;; amdgpu-corpus repo=ROCm/AMDMIGraphX kind=compiled arch=gfx906 opt=O3
	.text
	.amdgcn_target "amdgcn-amd-amdhsa--gfx906"
	.amdhsa_code_object_version 6
	.p2align	2                               ; -- Begin function _ZNK8migraphx13basic_printerIZNS_4coutEvEUlT_E_ElsEPKc
	.type	_ZNK8migraphx13basic_printerIZNS_4coutEvEUlT_E_ElsEPKc,@function
_ZNK8migraphx13basic_printerIZNS_4coutEvEUlT_E_ElsEPKc: ; @_ZNK8migraphx13basic_printerIZNS_4coutEvEUlT_E_ElsEPKc
; %bb.0:
	s_waitcnt vmcnt(0) expcnt(0) lgkmcnt(0)
	s_load_dwordx2 s[6:7], s[8:9], 0x50
	v_mbcnt_lo_u32_b32 v2, -1, 0
	v_mbcnt_hi_u32_b32 v35, -1, v2
	v_readfirstlane_b32 s4, v35
	v_mov_b32_e32 v7, 0
	v_mov_b32_e32 v8, 0
	v_cmp_eq_u32_e64 s[4:5], s4, v35
	s_and_saveexec_b64 s[8:9], s[4:5]
	s_cbranch_execz .LBB0_6
; %bb.1:
	v_mov_b32_e32 v2, 0
	s_waitcnt lgkmcnt(0)
	global_load_dwordx2 v[5:6], v2, s[6:7] offset:24 glc
	s_waitcnt vmcnt(0)
	buffer_wbinvl1_vol
	global_load_dwordx2 v[3:4], v2, s[6:7] offset:40
	global_load_dwordx2 v[7:8], v2, s[6:7]
	s_waitcnt vmcnt(1)
	v_and_b32_e32 v3, v3, v5
	v_and_b32_e32 v4, v4, v6
	v_mul_lo_u32 v4, v4, 24
	v_mul_hi_u32 v9, v3, 24
	v_mul_lo_u32 v3, v3, 24
	v_add_u32_e32 v4, v9, v4
	s_waitcnt vmcnt(0)
	v_add_co_u32_e32 v3, vcc, v7, v3
	v_addc_co_u32_e32 v4, vcc, v8, v4, vcc
	global_load_dwordx2 v[3:4], v[3:4], off glc
	s_waitcnt vmcnt(0)
	global_atomic_cmpswap_x2 v[7:8], v2, v[3:6], s[6:7] offset:24 glc
	s_waitcnt vmcnt(0)
	buffer_wbinvl1_vol
	v_cmp_ne_u64_e32 vcc, v[7:8], v[5:6]
	s_and_saveexec_b64 s[10:11], vcc
	s_cbranch_execz .LBB0_5
; %bb.2:
	s_mov_b64 s[12:13], 0
.LBB0_3:                                ; =>This Inner Loop Header: Depth=1
	s_sleep 1
	global_load_dwordx2 v[3:4], v2, s[6:7] offset:40
	global_load_dwordx2 v[9:10], v2, s[6:7]
	v_mov_b32_e32 v5, v7
	v_mov_b32_e32 v6, v8
	s_waitcnt vmcnt(1)
	v_and_b32_e32 v3, v3, v5
	s_waitcnt vmcnt(0)
	v_mad_u64_u32 v[7:8], s[14:15], v3, 24, v[9:10]
	v_and_b32_e32 v4, v4, v6
	v_mov_b32_e32 v3, v8
	v_mad_u64_u32 v[3:4], s[14:15], v4, 24, v[3:4]
	v_mov_b32_e32 v8, v3
	global_load_dwordx2 v[3:4], v[7:8], off glc
	s_waitcnt vmcnt(0)
	global_atomic_cmpswap_x2 v[7:8], v2, v[3:6], s[6:7] offset:24 glc
	s_waitcnt vmcnt(0)
	buffer_wbinvl1_vol
	v_cmp_eq_u64_e32 vcc, v[7:8], v[5:6]
	s_or_b64 s[12:13], vcc, s[12:13]
	s_andn2_b64 exec, exec, s[12:13]
	s_cbranch_execnz .LBB0_3
; %bb.4:
	s_or_b64 exec, exec, s[12:13]
.LBB0_5:
	s_or_b64 exec, exec, s[10:11]
.LBB0_6:
	s_or_b64 exec, exec, s[8:9]
	v_mov_b32_e32 v6, 0
	s_waitcnt lgkmcnt(0)
	global_load_dwordx2 v[9:10], v6, s[6:7] offset:40
	global_load_dwordx4 v[2:5], v6, s[6:7]
	v_readfirstlane_b32 s8, v7
	v_readfirstlane_b32 s9, v8
	s_mov_b64 s[10:11], exec
	s_waitcnt vmcnt(1)
	v_readfirstlane_b32 s12, v9
	v_readfirstlane_b32 s13, v10
	s_and_b64 s[12:13], s[8:9], s[12:13]
	s_mul_i32 s14, s13, 24
	s_mul_hi_u32 s15, s12, 24
	s_mul_i32 s16, s12, 24
	s_add_i32 s14, s15, s14
	v_mov_b32_e32 v7, s14
	s_waitcnt vmcnt(0)
	v_add_co_u32_e32 v9, vcc, s16, v2
	v_addc_co_u32_e32 v10, vcc, v3, v7, vcc
	s_and_saveexec_b64 s[14:15], s[4:5]
	s_cbranch_execz .LBB0_8
; %bb.7:
	v_mov_b32_e32 v12, s11
	v_mov_b32_e32 v11, s10
	;; [unrolled: 1-line block ×4, first 2 shown]
	global_store_dwordx4 v[9:10], v[11:14], off offset:8
.LBB0_8:
	s_or_b64 exec, exec, s[14:15]
	s_lshl_b64 s[10:11], s[12:13], 12
	v_mov_b32_e32 v7, s11
	v_add_co_u32_e32 v4, vcc, s10, v4
	v_addc_co_u32_e32 v13, vcc, v5, v7, vcc
	s_mov_b32 s12, 0
	v_lshlrev_b32_e32 v34, 6, v35
	v_mov_b32_e32 v5, 33
	v_mov_b32_e32 v7, v6
	;; [unrolled: 1-line block ×3, first 2 shown]
	v_readfirstlane_b32 s10, v4
	v_readfirstlane_b32 s11, v13
	v_add_co_u32_e32 v11, vcc, v4, v34
	s_mov_b32 s13, s12
	s_mov_b32 s14, s12
	s_mov_b32 s15, s12
	s_nop 0
	global_store_dwordx4 v34, v[5:8], s[10:11]
	v_mov_b32_e32 v4, s12
	v_addc_co_u32_e32 v12, vcc, 0, v13, vcc
	v_mov_b32_e32 v5, s13
	v_mov_b32_e32 v6, s14
	;; [unrolled: 1-line block ×3, first 2 shown]
	global_store_dwordx4 v34, v[4:7], s[10:11] offset:16
	global_store_dwordx4 v34, v[4:7], s[10:11] offset:32
	;; [unrolled: 1-line block ×3, first 2 shown]
	s_and_saveexec_b64 s[10:11], s[4:5]
	s_cbranch_execz .LBB0_16
; %bb.9:
	v_mov_b32_e32 v8, 0
	global_load_dwordx2 v[15:16], v8, s[6:7] offset:32 glc
	global_load_dwordx2 v[4:5], v8, s[6:7] offset:40
	v_mov_b32_e32 v13, s8
	v_mov_b32_e32 v14, s9
	s_waitcnt vmcnt(0)
	v_and_b32_e32 v4, s8, v4
	v_and_b32_e32 v5, s9, v5
	v_mul_lo_u32 v5, v5, 24
	v_mul_hi_u32 v6, v4, 24
	v_mul_lo_u32 v4, v4, 24
	v_add_u32_e32 v5, v6, v5
	v_add_co_u32_e32 v6, vcc, v2, v4
	v_addc_co_u32_e32 v7, vcc, v3, v5, vcc
	global_store_dwordx2 v[6:7], v[15:16], off
	s_waitcnt vmcnt(0)
	global_atomic_cmpswap_x2 v[4:5], v8, v[13:16], s[6:7] offset:32 glc
	s_waitcnt vmcnt(0)
	v_cmp_ne_u64_e32 vcc, v[4:5], v[15:16]
	s_and_saveexec_b64 s[12:13], vcc
	s_cbranch_execz .LBB0_12
; %bb.10:
	s_mov_b64 s[14:15], 0
.LBB0_11:                               ; =>This Inner Loop Header: Depth=1
	s_sleep 1
	global_store_dwordx2 v[6:7], v[4:5], off
	v_mov_b32_e32 v2, s8
	v_mov_b32_e32 v3, s9
	s_waitcnt vmcnt(0)
	global_atomic_cmpswap_x2 v[2:3], v8, v[2:5], s[6:7] offset:32 glc
	s_waitcnt vmcnt(0)
	v_cmp_eq_u64_e32 vcc, v[2:3], v[4:5]
	v_mov_b32_e32 v5, v3
	s_or_b64 s[14:15], vcc, s[14:15]
	v_mov_b32_e32 v4, v2
	s_andn2_b64 exec, exec, s[14:15]
	s_cbranch_execnz .LBB0_11
.LBB0_12:
	s_or_b64 exec, exec, s[12:13]
	v_mov_b32_e32 v5, 0
	global_load_dwordx2 v[2:3], v5, s[6:7] offset:16
	s_mov_b64 s[12:13], exec
	v_mbcnt_lo_u32_b32 v4, s12, 0
	v_mbcnt_hi_u32_b32 v4, s13, v4
	v_cmp_eq_u32_e32 vcc, 0, v4
	s_and_saveexec_b64 s[14:15], vcc
	s_cbranch_execz .LBB0_14
; %bb.13:
	s_bcnt1_i32_b64 s12, s[12:13]
	v_mov_b32_e32 v4, s12
	s_waitcnt vmcnt(0)
	global_atomic_add_x2 v[2:3], v[4:5], off offset:8
.LBB0_14:
	s_or_b64 exec, exec, s[14:15]
	s_waitcnt vmcnt(0)
	global_load_dwordx2 v[4:5], v[2:3], off offset:16
	s_waitcnt vmcnt(0)
	v_cmp_eq_u64_e32 vcc, 0, v[4:5]
	s_cbranch_vccnz .LBB0_16
; %bb.15:
	global_load_dword v2, v[2:3], off offset:24
	v_mov_b32_e32 v3, 0
	s_waitcnt vmcnt(0)
	global_store_dwordx2 v[4:5], v[2:3], off
	v_and_b32_e32 v2, 0xffffff, v2
	v_readfirstlane_b32 m0, v2
	s_sendmsg sendmsg(MSG_INTERRUPT)
.LBB0_16:
	s_or_b64 exec, exec, s[10:11]
	s_branch .LBB0_20
.LBB0_17:                               ;   in Loop: Header=BB0_20 Depth=1
	s_or_b64 exec, exec, s[10:11]
	v_readfirstlane_b32 s10, v2
	s_cmp_eq_u32 s10, 0
	s_cbranch_scc1 .LBB0_19
; %bb.18:                               ;   in Loop: Header=BB0_20 Depth=1
	s_sleep 1
	s_cbranch_execnz .LBB0_20
	s_branch .LBB0_22
.LBB0_19:
	s_branch .LBB0_22
.LBB0_20:                               ; =>This Inner Loop Header: Depth=1
	v_mov_b32_e32 v2, 1
	s_and_saveexec_b64 s[10:11], s[4:5]
	s_cbranch_execz .LBB0_17
; %bb.21:                               ;   in Loop: Header=BB0_20 Depth=1
	global_load_dword v2, v[9:10], off offset:20 glc
	s_waitcnt vmcnt(0)
	buffer_wbinvl1_vol
	v_and_b32_e32 v2, 1, v2
	s_branch .LBB0_17
.LBB0_22:
	global_load_dwordx2 v[6:7], v[11:12], off
	s_and_saveexec_b64 s[10:11], s[4:5]
	s_cbranch_execz .LBB0_25
; %bb.23:
	v_mov_b32_e32 v10, 0
	global_load_dwordx2 v[4:5], v10, s[6:7] offset:40
	global_load_dwordx2 v[11:12], v10, s[6:7] offset:24 glc
	global_load_dwordx2 v[8:9], v10, s[6:7]
	v_mov_b32_e32 v3, s9
	s_mov_b64 s[4:5], 0
	s_waitcnt vmcnt(2)
	v_add_co_u32_e32 v13, vcc, 1, v4
	v_addc_co_u32_e32 v14, vcc, 0, v5, vcc
	v_add_co_u32_e32 v2, vcc, s8, v13
	v_addc_co_u32_e32 v3, vcc, v14, v3, vcc
	v_cmp_eq_u64_e32 vcc, 0, v[2:3]
	v_cndmask_b32_e32 v3, v3, v14, vcc
	v_cndmask_b32_e32 v2, v2, v13, vcc
	v_and_b32_e32 v5, v3, v5
	v_and_b32_e32 v4, v2, v4
	v_mul_lo_u32 v5, v5, 24
	v_mul_hi_u32 v13, v4, 24
	v_mul_lo_u32 v14, v4, 24
	s_waitcnt vmcnt(1)
	v_mov_b32_e32 v4, v11
	v_add_u32_e32 v5, v13, v5
	s_waitcnt vmcnt(0)
	v_add_co_u32_e32 v8, vcc, v8, v14
	v_addc_co_u32_e32 v9, vcc, v9, v5, vcc
	global_store_dwordx2 v[8:9], v[11:12], off
	v_mov_b32_e32 v5, v12
	s_waitcnt vmcnt(0)
	global_atomic_cmpswap_x2 v[4:5], v10, v[2:5], s[6:7] offset:24 glc
	s_waitcnt vmcnt(0)
	v_cmp_ne_u64_e32 vcc, v[4:5], v[11:12]
	s_and_b64 exec, exec, vcc
	s_cbranch_execz .LBB0_25
.LBB0_24:                               ; =>This Inner Loop Header: Depth=1
	s_sleep 1
	global_store_dwordx2 v[8:9], v[4:5], off
	s_waitcnt vmcnt(0)
	global_atomic_cmpswap_x2 v[11:12], v10, v[2:5], s[6:7] offset:24 glc
	s_waitcnt vmcnt(0)
	v_cmp_eq_u64_e32 vcc, v[11:12], v[4:5]
	v_mov_b32_e32 v4, v11
	s_or_b64 s[4:5], vcc, s[4:5]
	v_mov_b32_e32 v5, v12
	s_andn2_b64 exec, exec, s[4:5]
	s_cbranch_execnz .LBB0_24
.LBB0_25:
	s_or_b64 exec, exec, s[10:11]
	s_getpc_b64 s[8:9]
	s_add_u32 s8, s8, .str.7@rel32@lo+4
	s_addc_u32 s9, s9, .str.7@rel32@hi+12
	s_cmp_lg_u64 s[8:9], 0
	s_cbranch_scc0 .LBB0_110
; %bb.26:
	s_waitcnt vmcnt(0)
	v_and_b32_e32 v31, 2, v6
	v_mov_b32_e32 v28, 0
	v_and_b32_e32 v2, -3, v6
	v_mov_b32_e32 v3, v7
	s_mov_b64 s[10:11], 3
	v_mov_b32_e32 v10, 2
	v_mov_b32_e32 v11, 1
	s_branch .LBB0_28
.LBB0_27:                               ;   in Loop: Header=BB0_28 Depth=1
	s_or_b64 exec, exec, s[16:17]
	s_sub_u32 s10, s10, s12
	s_subb_u32 s11, s11, s13
	s_add_u32 s8, s8, s12
	s_addc_u32 s9, s9, s13
	s_cmp_lg_u64 s[10:11], 0
	s_cbranch_scc0 .LBB0_109
.LBB0_28:                               ; =>This Loop Header: Depth=1
                                        ;     Child Loop BB0_31 Depth 2
                                        ;     Child Loop BB0_38 Depth 2
	;; [unrolled: 1-line block ×11, first 2 shown]
	v_cmp_lt_u64_e64 s[4:5], s[10:11], 56
	v_cmp_gt_u64_e64 s[14:15], s[10:11], 7
	s_and_b64 s[4:5], s[4:5], exec
	s_cselect_b32 s13, s11, 0
	s_cselect_b32 s12, s10, 56
	s_and_b64 vcc, exec, s[14:15]
	s_cbranch_vccnz .LBB0_33
; %bb.29:                               ;   in Loop: Header=BB0_28 Depth=1
	s_waitcnt vmcnt(0)
	v_mov_b32_e32 v4, 0
	s_cmp_eq_u64 s[10:11], 0
	v_mov_b32_e32 v5, 0
	s_mov_b64 s[4:5], 0
	s_cbranch_scc1 .LBB0_32
; %bb.30:                               ;   in Loop: Header=BB0_28 Depth=1
	v_mov_b32_e32 v4, 0
	s_lshl_b64 s[14:15], s[12:13], 3
	s_mov_b64 s[16:17], 0
	v_mov_b32_e32 v5, 0
	s_mov_b64 s[18:19], s[8:9]
.LBB0_31:                               ;   Parent Loop BB0_28 Depth=1
                                        ; =>  This Inner Loop Header: Depth=2
	global_load_ubyte v8, v28, s[18:19]
	s_waitcnt vmcnt(0)
	v_and_b32_e32 v27, 0xffff, v8
	v_lshlrev_b64 v[8:9], s16, v[27:28]
	s_add_u32 s16, s16, 8
	s_addc_u32 s17, s17, 0
	s_add_u32 s18, s18, 1
	s_addc_u32 s19, s19, 0
	v_or_b32_e32 v4, v8, v4
	s_cmp_lg_u32 s14, s16
	v_or_b32_e32 v5, v9, v5
	s_cbranch_scc1 .LBB0_31
.LBB0_32:                               ;   in Loop: Header=BB0_28 Depth=1
	s_mov_b32 s18, 0
	s_andn2_b64 vcc, exec, s[4:5]
	s_mov_b64 s[4:5], s[8:9]
	s_cbranch_vccz .LBB0_34
	s_branch .LBB0_35
.LBB0_33:                               ;   in Loop: Header=BB0_28 Depth=1
                                        ; implicit-def: $vgpr4_vgpr5
                                        ; implicit-def: $sgpr18
	s_mov_b64 s[4:5], s[8:9]
.LBB0_34:                               ;   in Loop: Header=BB0_28 Depth=1
	global_load_dwordx2 v[4:5], v28, s[8:9]
	s_add_i32 s18, s12, -8
	s_add_u32 s4, s8, 8
	s_addc_u32 s5, s9, 0
.LBB0_35:                               ;   in Loop: Header=BB0_28 Depth=1
	s_cmp_gt_u32 s18, 7
	s_cbranch_scc1 .LBB0_39
; %bb.36:                               ;   in Loop: Header=BB0_28 Depth=1
	s_cmp_eq_u32 s18, 0
	s_cbranch_scc1 .LBB0_40
; %bb.37:                               ;   in Loop: Header=BB0_28 Depth=1
	v_mov_b32_e32 v12, 0
	s_mov_b64 s[14:15], 0
	v_mov_b32_e32 v13, 0
	s_mov_b64 s[16:17], 0
.LBB0_38:                               ;   Parent Loop BB0_28 Depth=1
                                        ; =>  This Inner Loop Header: Depth=2
	s_add_u32 s20, s4, s16
	s_addc_u32 s21, s5, s17
	global_load_ubyte v8, v28, s[20:21]
	s_add_u32 s16, s16, 1
	s_addc_u32 s17, s17, 0
	s_waitcnt vmcnt(0)
	v_and_b32_e32 v27, 0xffff, v8
	v_lshlrev_b64 v[8:9], s14, v[27:28]
	s_add_u32 s14, s14, 8
	s_addc_u32 s15, s15, 0
	v_or_b32_e32 v12, v8, v12
	s_cmp_lg_u32 s18, s16
	v_or_b32_e32 v13, v9, v13
	s_cbranch_scc1 .LBB0_38
	s_branch .LBB0_41
.LBB0_39:                               ;   in Loop: Header=BB0_28 Depth=1
                                        ; implicit-def: $vgpr12_vgpr13
                                        ; implicit-def: $sgpr19
	s_branch .LBB0_42
.LBB0_40:                               ;   in Loop: Header=BB0_28 Depth=1
	v_mov_b32_e32 v12, 0
	v_mov_b32_e32 v13, 0
.LBB0_41:                               ;   in Loop: Header=BB0_28 Depth=1
	s_mov_b32 s19, 0
	s_cbranch_execnz .LBB0_43
.LBB0_42:                               ;   in Loop: Header=BB0_28 Depth=1
	global_load_dwordx2 v[12:13], v28, s[4:5]
	s_add_i32 s19, s18, -8
	s_add_u32 s4, s4, 8
	s_addc_u32 s5, s5, 0
.LBB0_43:                               ;   in Loop: Header=BB0_28 Depth=1
	s_cmp_gt_u32 s19, 7
	s_cbranch_scc1 .LBB0_47
; %bb.44:                               ;   in Loop: Header=BB0_28 Depth=1
	s_cmp_eq_u32 s19, 0
	s_cbranch_scc1 .LBB0_48
; %bb.45:                               ;   in Loop: Header=BB0_28 Depth=1
	v_mov_b32_e32 v14, 0
	s_mov_b64 s[14:15], 0
	v_mov_b32_e32 v15, 0
	s_mov_b64 s[16:17], 0
.LBB0_46:                               ;   Parent Loop BB0_28 Depth=1
                                        ; =>  This Inner Loop Header: Depth=2
	s_add_u32 s20, s4, s16
	s_addc_u32 s21, s5, s17
	global_load_ubyte v8, v28, s[20:21]
	s_add_u32 s16, s16, 1
	s_addc_u32 s17, s17, 0
	s_waitcnt vmcnt(0)
	v_and_b32_e32 v27, 0xffff, v8
	v_lshlrev_b64 v[8:9], s14, v[27:28]
	s_add_u32 s14, s14, 8
	s_addc_u32 s15, s15, 0
	v_or_b32_e32 v14, v8, v14
	s_cmp_lg_u32 s19, s16
	v_or_b32_e32 v15, v9, v15
	s_cbranch_scc1 .LBB0_46
	s_branch .LBB0_49
.LBB0_47:                               ;   in Loop: Header=BB0_28 Depth=1
                                        ; implicit-def: $sgpr18
	s_branch .LBB0_50
.LBB0_48:                               ;   in Loop: Header=BB0_28 Depth=1
	v_mov_b32_e32 v14, 0
	v_mov_b32_e32 v15, 0
.LBB0_49:                               ;   in Loop: Header=BB0_28 Depth=1
	s_mov_b32 s18, 0
	s_cbranch_execnz .LBB0_51
.LBB0_50:                               ;   in Loop: Header=BB0_28 Depth=1
	global_load_dwordx2 v[14:15], v28, s[4:5]
	s_add_i32 s18, s19, -8
	s_add_u32 s4, s4, 8
	s_addc_u32 s5, s5, 0
.LBB0_51:                               ;   in Loop: Header=BB0_28 Depth=1
	s_cmp_gt_u32 s18, 7
	s_cbranch_scc1 .LBB0_55
; %bb.52:                               ;   in Loop: Header=BB0_28 Depth=1
	s_cmp_eq_u32 s18, 0
	s_cbranch_scc1 .LBB0_56
; %bb.53:                               ;   in Loop: Header=BB0_28 Depth=1
	v_mov_b32_e32 v16, 0
	s_mov_b64 s[14:15], 0
	v_mov_b32_e32 v17, 0
	s_mov_b64 s[16:17], 0
.LBB0_54:                               ;   Parent Loop BB0_28 Depth=1
                                        ; =>  This Inner Loop Header: Depth=2
	s_add_u32 s20, s4, s16
	s_addc_u32 s21, s5, s17
	global_load_ubyte v8, v28, s[20:21]
	s_add_u32 s16, s16, 1
	s_addc_u32 s17, s17, 0
	s_waitcnt vmcnt(0)
	v_and_b32_e32 v27, 0xffff, v8
	v_lshlrev_b64 v[8:9], s14, v[27:28]
	s_add_u32 s14, s14, 8
	s_addc_u32 s15, s15, 0
	v_or_b32_e32 v16, v8, v16
	s_cmp_lg_u32 s18, s16
	v_or_b32_e32 v17, v9, v17
	s_cbranch_scc1 .LBB0_54
	s_branch .LBB0_57
.LBB0_55:                               ;   in Loop: Header=BB0_28 Depth=1
                                        ; implicit-def: $vgpr16_vgpr17
                                        ; implicit-def: $sgpr19
	s_branch .LBB0_58
.LBB0_56:                               ;   in Loop: Header=BB0_28 Depth=1
	v_mov_b32_e32 v16, 0
	v_mov_b32_e32 v17, 0
.LBB0_57:                               ;   in Loop: Header=BB0_28 Depth=1
	s_mov_b32 s19, 0
	s_cbranch_execnz .LBB0_59
.LBB0_58:                               ;   in Loop: Header=BB0_28 Depth=1
	global_load_dwordx2 v[16:17], v28, s[4:5]
	s_add_i32 s19, s18, -8
	s_add_u32 s4, s4, 8
	s_addc_u32 s5, s5, 0
.LBB0_59:                               ;   in Loop: Header=BB0_28 Depth=1
	s_cmp_gt_u32 s19, 7
	s_cbranch_scc1 .LBB0_63
; %bb.60:                               ;   in Loop: Header=BB0_28 Depth=1
	s_cmp_eq_u32 s19, 0
	s_cbranch_scc1 .LBB0_64
; %bb.61:                               ;   in Loop: Header=BB0_28 Depth=1
	v_mov_b32_e32 v18, 0
	s_mov_b64 s[14:15], 0
	v_mov_b32_e32 v19, 0
	s_mov_b64 s[16:17], 0
.LBB0_62:                               ;   Parent Loop BB0_28 Depth=1
                                        ; =>  This Inner Loop Header: Depth=2
	s_add_u32 s20, s4, s16
	s_addc_u32 s21, s5, s17
	global_load_ubyte v8, v28, s[20:21]
	s_add_u32 s16, s16, 1
	s_addc_u32 s17, s17, 0
	s_waitcnt vmcnt(0)
	v_and_b32_e32 v27, 0xffff, v8
	v_lshlrev_b64 v[8:9], s14, v[27:28]
	s_add_u32 s14, s14, 8
	s_addc_u32 s15, s15, 0
	v_or_b32_e32 v18, v8, v18
	s_cmp_lg_u32 s19, s16
	v_or_b32_e32 v19, v9, v19
	s_cbranch_scc1 .LBB0_62
	s_branch .LBB0_65
.LBB0_63:                               ;   in Loop: Header=BB0_28 Depth=1
                                        ; implicit-def: $sgpr18
	s_branch .LBB0_66
.LBB0_64:                               ;   in Loop: Header=BB0_28 Depth=1
	v_mov_b32_e32 v18, 0
	v_mov_b32_e32 v19, 0
.LBB0_65:                               ;   in Loop: Header=BB0_28 Depth=1
	s_mov_b32 s18, 0
	s_cbranch_execnz .LBB0_67
.LBB0_66:                               ;   in Loop: Header=BB0_28 Depth=1
	global_load_dwordx2 v[18:19], v28, s[4:5]
	s_add_i32 s18, s19, -8
	s_add_u32 s4, s4, 8
	s_addc_u32 s5, s5, 0
.LBB0_67:                               ;   in Loop: Header=BB0_28 Depth=1
	s_cmp_gt_u32 s18, 7
	s_cbranch_scc1 .LBB0_71
; %bb.68:                               ;   in Loop: Header=BB0_28 Depth=1
	s_cmp_eq_u32 s18, 0
	s_cbranch_scc1 .LBB0_72
; %bb.69:                               ;   in Loop: Header=BB0_28 Depth=1
	v_mov_b32_e32 v20, 0
	s_mov_b64 s[14:15], 0
	v_mov_b32_e32 v21, 0
	s_mov_b64 s[16:17], 0
.LBB0_70:                               ;   Parent Loop BB0_28 Depth=1
                                        ; =>  This Inner Loop Header: Depth=2
	s_add_u32 s20, s4, s16
	s_addc_u32 s21, s5, s17
	global_load_ubyte v8, v28, s[20:21]
	s_add_u32 s16, s16, 1
	s_addc_u32 s17, s17, 0
	s_waitcnt vmcnt(0)
	v_and_b32_e32 v27, 0xffff, v8
	v_lshlrev_b64 v[8:9], s14, v[27:28]
	s_add_u32 s14, s14, 8
	s_addc_u32 s15, s15, 0
	v_or_b32_e32 v20, v8, v20
	s_cmp_lg_u32 s18, s16
	v_or_b32_e32 v21, v9, v21
	s_cbranch_scc1 .LBB0_70
	s_branch .LBB0_73
.LBB0_71:                               ;   in Loop: Header=BB0_28 Depth=1
                                        ; implicit-def: $vgpr20_vgpr21
                                        ; implicit-def: $sgpr19
	s_branch .LBB0_74
.LBB0_72:                               ;   in Loop: Header=BB0_28 Depth=1
	v_mov_b32_e32 v20, 0
	v_mov_b32_e32 v21, 0
.LBB0_73:                               ;   in Loop: Header=BB0_28 Depth=1
	s_mov_b32 s19, 0
	s_cbranch_execnz .LBB0_75
.LBB0_74:                               ;   in Loop: Header=BB0_28 Depth=1
	global_load_dwordx2 v[20:21], v28, s[4:5]
	s_add_i32 s19, s18, -8
	s_add_u32 s4, s4, 8
	s_addc_u32 s5, s5, 0
.LBB0_75:                               ;   in Loop: Header=BB0_28 Depth=1
	s_cmp_gt_u32 s19, 7
	s_cbranch_scc1 .LBB0_79
; %bb.76:                               ;   in Loop: Header=BB0_28 Depth=1
	s_cmp_eq_u32 s19, 0
	s_cbranch_scc1 .LBB0_80
; %bb.77:                               ;   in Loop: Header=BB0_28 Depth=1
	v_mov_b32_e32 v22, 0
	s_mov_b64 s[14:15], 0
	v_mov_b32_e32 v23, 0
	s_mov_b64 s[16:17], s[4:5]
.LBB0_78:                               ;   Parent Loop BB0_28 Depth=1
                                        ; =>  This Inner Loop Header: Depth=2
	global_load_ubyte v8, v28, s[16:17]
	s_add_i32 s19, s19, -1
	s_waitcnt vmcnt(0)
	v_and_b32_e32 v27, 0xffff, v8
	v_lshlrev_b64 v[8:9], s14, v[27:28]
	s_add_u32 s14, s14, 8
	s_addc_u32 s15, s15, 0
	s_add_u32 s16, s16, 1
	s_addc_u32 s17, s17, 0
	v_or_b32_e32 v22, v8, v22
	s_cmp_lg_u32 s19, 0
	v_or_b32_e32 v23, v9, v23
	s_cbranch_scc1 .LBB0_78
	s_branch .LBB0_81
.LBB0_79:                               ;   in Loop: Header=BB0_28 Depth=1
	s_branch .LBB0_82
.LBB0_80:                               ;   in Loop: Header=BB0_28 Depth=1
	v_mov_b32_e32 v22, 0
	v_mov_b32_e32 v23, 0
.LBB0_81:                               ;   in Loop: Header=BB0_28 Depth=1
	s_cbranch_execnz .LBB0_83
.LBB0_82:                               ;   in Loop: Header=BB0_28 Depth=1
	global_load_dwordx2 v[22:23], v28, s[4:5]
.LBB0_83:                               ;   in Loop: Header=BB0_28 Depth=1
	v_readfirstlane_b32 s4, v35
	v_mov_b32_e32 v8, 0
	v_mov_b32_e32 v9, 0
	v_cmp_eq_u32_e64 s[4:5], s4, v35
	s_and_saveexec_b64 s[14:15], s[4:5]
	s_cbranch_execz .LBB0_89
; %bb.84:                               ;   in Loop: Header=BB0_28 Depth=1
	global_load_dwordx2 v[26:27], v28, s[6:7] offset:24 glc
	s_waitcnt vmcnt(0)
	buffer_wbinvl1_vol
	global_load_dwordx2 v[8:9], v28, s[6:7] offset:40
	global_load_dwordx2 v[24:25], v28, s[6:7]
	s_waitcnt vmcnt(1)
	v_and_b32_e32 v8, v8, v26
	v_and_b32_e32 v9, v9, v27
	v_mul_lo_u32 v9, v9, 24
	v_mul_hi_u32 v29, v8, 24
	v_mul_lo_u32 v8, v8, 24
	v_add_u32_e32 v9, v29, v9
	s_waitcnt vmcnt(0)
	v_add_co_u32_e32 v8, vcc, v24, v8
	v_addc_co_u32_e32 v9, vcc, v25, v9, vcc
	global_load_dwordx2 v[24:25], v[8:9], off glc
	s_waitcnt vmcnt(0)
	global_atomic_cmpswap_x2 v[8:9], v28, v[24:27], s[6:7] offset:24 glc
	s_waitcnt vmcnt(0)
	buffer_wbinvl1_vol
	v_cmp_ne_u64_e32 vcc, v[8:9], v[26:27]
	s_and_saveexec_b64 s[16:17], vcc
	s_cbranch_execz .LBB0_88
; %bb.85:                               ;   in Loop: Header=BB0_28 Depth=1
	s_mov_b64 s[18:19], 0
.LBB0_86:                               ;   Parent Loop BB0_28 Depth=1
                                        ; =>  This Inner Loop Header: Depth=2
	s_sleep 1
	global_load_dwordx2 v[24:25], v28, s[6:7] offset:40
	global_load_dwordx2 v[29:30], v28, s[6:7]
	v_mov_b32_e32 v27, v9
	v_mov_b32_e32 v26, v8
	s_waitcnt vmcnt(1)
	v_and_b32_e32 v8, v24, v26
	s_waitcnt vmcnt(0)
	v_mad_u64_u32 v[8:9], s[20:21], v8, 24, v[29:30]
	v_and_b32_e32 v24, v25, v27
	v_mad_u64_u32 v[24:25], s[20:21], v24, 24, v[9:10]
	v_mov_b32_e32 v9, v24
	global_load_dwordx2 v[24:25], v[8:9], off glc
	s_waitcnt vmcnt(0)
	global_atomic_cmpswap_x2 v[8:9], v28, v[24:27], s[6:7] offset:24 glc
	s_waitcnt vmcnt(0)
	buffer_wbinvl1_vol
	v_cmp_eq_u64_e32 vcc, v[8:9], v[26:27]
	s_or_b64 s[18:19], vcc, s[18:19]
	s_andn2_b64 exec, exec, s[18:19]
	s_cbranch_execnz .LBB0_86
; %bb.87:                               ;   in Loop: Header=BB0_28 Depth=1
	s_or_b64 exec, exec, s[18:19]
.LBB0_88:                               ;   in Loop: Header=BB0_28 Depth=1
	s_or_b64 exec, exec, s[16:17]
.LBB0_89:                               ;   in Loop: Header=BB0_28 Depth=1
	s_or_b64 exec, exec, s[14:15]
	global_load_dwordx2 v[29:30], v28, s[6:7] offset:40
	global_load_dwordx4 v[24:27], v28, s[6:7]
	v_readfirstlane_b32 s14, v8
	v_readfirstlane_b32 s15, v9
	s_mov_b64 s[16:17], exec
	s_waitcnt vmcnt(1)
	v_readfirstlane_b32 s18, v29
	v_readfirstlane_b32 s19, v30
	s_and_b64 s[18:19], s[14:15], s[18:19]
	s_mul_i32 s20, s19, 24
	s_mul_hi_u32 s21, s18, 24
	s_mul_i32 s22, s18, 24
	s_add_i32 s20, s21, s20
	v_mov_b32_e32 v8, s20
	s_waitcnt vmcnt(0)
	v_add_co_u32_e32 v29, vcc, s22, v24
	v_addc_co_u32_e32 v30, vcc, v25, v8, vcc
	s_and_saveexec_b64 s[20:21], s[4:5]
	s_cbranch_execz .LBB0_91
; %bb.90:                               ;   in Loop: Header=BB0_28 Depth=1
	v_mov_b32_e32 v8, s16
	v_mov_b32_e32 v9, s17
	global_store_dwordx4 v[29:30], v[8:11], off offset:8
.LBB0_91:                               ;   in Loop: Header=BB0_28 Depth=1
	s_or_b64 exec, exec, s[20:21]
	s_lshl_b64 s[16:17], s[18:19], 12
	v_mov_b32_e32 v8, s17
	v_add_co_u32_e32 v26, vcc, s16, v26
	v_addc_co_u32_e32 v32, vcc, v27, v8, vcc
	v_cmp_gt_u64_e64 vcc, s[10:11], 56
	v_or_b32_e32 v9, v2, v31
	s_lshl_b32 s16, s12, 2
	v_cndmask_b32_e32 v2, v9, v2, vcc
	s_add_i32 s16, s16, 28
	v_or_b32_e32 v8, 0, v3
	s_and_b32 s16, s16, 0x1e0
	v_and_b32_e32 v2, 0xffffff1f, v2
	v_cndmask_b32_e32 v3, v8, v3, vcc
	v_or_b32_e32 v2, s16, v2
	v_readfirstlane_b32 s16, v26
	v_readfirstlane_b32 s17, v32
	s_nop 4
	global_store_dwordx4 v34, v[2:5], s[16:17]
	global_store_dwordx4 v34, v[12:15], s[16:17] offset:16
	global_store_dwordx4 v34, v[16:19], s[16:17] offset:32
	;; [unrolled: 1-line block ×3, first 2 shown]
	s_and_saveexec_b64 s[16:17], s[4:5]
	s_cbranch_execz .LBB0_99
; %bb.92:                               ;   in Loop: Header=BB0_28 Depth=1
	global_load_dwordx2 v[14:15], v28, s[6:7] offset:32 glc
	global_load_dwordx2 v[2:3], v28, s[6:7] offset:40
	v_mov_b32_e32 v12, s14
	v_mov_b32_e32 v13, s15
	s_waitcnt vmcnt(0)
	v_readfirstlane_b32 s18, v2
	v_readfirstlane_b32 s19, v3
	s_and_b64 s[18:19], s[18:19], s[14:15]
	s_mul_i32 s19, s19, 24
	s_mul_hi_u32 s20, s18, 24
	s_mul_i32 s18, s18, 24
	s_add_i32 s19, s20, s19
	v_mov_b32_e32 v2, s19
	v_add_co_u32_e32 v8, vcc, s18, v24
	v_addc_co_u32_e32 v9, vcc, v25, v2, vcc
	global_store_dwordx2 v[8:9], v[14:15], off
	s_waitcnt vmcnt(0)
	global_atomic_cmpswap_x2 v[4:5], v28, v[12:15], s[6:7] offset:32 glc
	s_waitcnt vmcnt(0)
	v_cmp_ne_u64_e32 vcc, v[4:5], v[14:15]
	s_and_saveexec_b64 s[18:19], vcc
	s_cbranch_execz .LBB0_95
; %bb.93:                               ;   in Loop: Header=BB0_28 Depth=1
	s_mov_b64 s[20:21], 0
.LBB0_94:                               ;   Parent Loop BB0_28 Depth=1
                                        ; =>  This Inner Loop Header: Depth=2
	s_sleep 1
	global_store_dwordx2 v[8:9], v[4:5], off
	v_mov_b32_e32 v2, s14
	v_mov_b32_e32 v3, s15
	s_waitcnt vmcnt(0)
	global_atomic_cmpswap_x2 v[2:3], v28, v[2:5], s[6:7] offset:32 glc
	s_waitcnt vmcnt(0)
	v_cmp_eq_u64_e32 vcc, v[2:3], v[4:5]
	v_mov_b32_e32 v5, v3
	s_or_b64 s[20:21], vcc, s[20:21]
	v_mov_b32_e32 v4, v2
	s_andn2_b64 exec, exec, s[20:21]
	s_cbranch_execnz .LBB0_94
.LBB0_95:                               ;   in Loop: Header=BB0_28 Depth=1
	s_or_b64 exec, exec, s[18:19]
	global_load_dwordx2 v[2:3], v28, s[6:7] offset:16
	s_mov_b64 s[20:21], exec
	v_mbcnt_lo_u32_b32 v4, s20, 0
	v_mbcnt_hi_u32_b32 v4, s21, v4
	v_cmp_eq_u32_e32 vcc, 0, v4
	s_and_saveexec_b64 s[18:19], vcc
	s_cbranch_execz .LBB0_97
; %bb.96:                               ;   in Loop: Header=BB0_28 Depth=1
	s_bcnt1_i32_b64 s20, s[20:21]
	v_mov_b32_e32 v27, s20
	s_waitcnt vmcnt(0)
	global_atomic_add_x2 v[2:3], v[27:28], off offset:8
.LBB0_97:                               ;   in Loop: Header=BB0_28 Depth=1
	s_or_b64 exec, exec, s[18:19]
	s_waitcnt vmcnt(0)
	global_load_dwordx2 v[4:5], v[2:3], off offset:16
	s_waitcnt vmcnt(0)
	v_cmp_eq_u64_e32 vcc, 0, v[4:5]
	s_cbranch_vccnz .LBB0_99
; %bb.98:                               ;   in Loop: Header=BB0_28 Depth=1
	global_load_dword v27, v[2:3], off offset:24
	s_waitcnt vmcnt(0)
	v_and_b32_e32 v2, 0xffffff, v27
	v_readfirstlane_b32 m0, v2
	global_store_dwordx2 v[4:5], v[27:28], off
	s_sendmsg sendmsg(MSG_INTERRUPT)
.LBB0_99:                               ;   in Loop: Header=BB0_28 Depth=1
	s_or_b64 exec, exec, s[16:17]
	v_add_co_u32_e32 v2, vcc, v26, v34
	v_addc_co_u32_e32 v3, vcc, 0, v32, vcc
	s_branch .LBB0_103
.LBB0_100:                              ;   in Loop: Header=BB0_103 Depth=2
	s_or_b64 exec, exec, s[16:17]
	v_readfirstlane_b32 s16, v4
	s_cmp_eq_u32 s16, 0
	s_cbranch_scc1 .LBB0_102
; %bb.101:                              ;   in Loop: Header=BB0_103 Depth=2
	s_sleep 1
	s_cbranch_execnz .LBB0_103
	s_branch .LBB0_105
.LBB0_102:                              ;   in Loop: Header=BB0_28 Depth=1
	s_branch .LBB0_105
.LBB0_103:                              ;   Parent Loop BB0_28 Depth=1
                                        ; =>  This Inner Loop Header: Depth=2
	v_mov_b32_e32 v4, 1
	s_and_saveexec_b64 s[16:17], s[4:5]
	s_cbranch_execz .LBB0_100
; %bb.104:                              ;   in Loop: Header=BB0_103 Depth=2
	global_load_dword v4, v[29:30], off offset:20 glc
	s_waitcnt vmcnt(0)
	buffer_wbinvl1_vol
	v_and_b32_e32 v4, 1, v4
	s_branch .LBB0_100
.LBB0_105:                              ;   in Loop: Header=BB0_28 Depth=1
	global_load_dwordx4 v[2:5], v[2:3], off
	s_and_saveexec_b64 s[16:17], s[4:5]
	s_cbranch_execz .LBB0_27
; %bb.106:                              ;   in Loop: Header=BB0_28 Depth=1
	global_load_dwordx2 v[4:5], v28, s[6:7] offset:40
	global_load_dwordx2 v[8:9], v28, s[6:7] offset:24 glc
	global_load_dwordx2 v[15:16], v28, s[6:7]
	v_mov_b32_e32 v13, s15
	s_waitcnt vmcnt(2)
	v_add_co_u32_e32 v14, vcc, 1, v4
	v_addc_co_u32_e32 v17, vcc, 0, v5, vcc
	v_add_co_u32_e32 v12, vcc, s14, v14
	v_addc_co_u32_e32 v13, vcc, v17, v13, vcc
	v_cmp_eq_u64_e32 vcc, 0, v[12:13]
	v_cndmask_b32_e32 v13, v13, v17, vcc
	v_cndmask_b32_e32 v12, v12, v14, vcc
	v_and_b32_e32 v5, v13, v5
	v_and_b32_e32 v4, v12, v4
	v_mul_lo_u32 v5, v5, 24
	v_mul_hi_u32 v17, v4, 24
	v_mul_lo_u32 v4, v4, 24
	s_waitcnt vmcnt(1)
	v_mov_b32_e32 v14, v8
	v_add_u32_e32 v5, v17, v5
	s_waitcnt vmcnt(0)
	v_add_co_u32_e32 v4, vcc, v15, v4
	v_addc_co_u32_e32 v5, vcc, v16, v5, vcc
	global_store_dwordx2 v[4:5], v[8:9], off
	v_mov_b32_e32 v15, v9
	s_waitcnt vmcnt(0)
	global_atomic_cmpswap_x2 v[14:15], v28, v[12:15], s[6:7] offset:24 glc
	s_waitcnt vmcnt(0)
	v_cmp_ne_u64_e32 vcc, v[14:15], v[8:9]
	s_and_b64 exec, exec, vcc
	s_cbranch_execz .LBB0_27
; %bb.107:                              ;   in Loop: Header=BB0_28 Depth=1
	s_mov_b64 s[4:5], 0
.LBB0_108:                              ;   Parent Loop BB0_28 Depth=1
                                        ; =>  This Inner Loop Header: Depth=2
	s_sleep 1
	global_store_dwordx2 v[4:5], v[14:15], off
	s_waitcnt vmcnt(0)
	global_atomic_cmpswap_x2 v[8:9], v28, v[12:15], s[6:7] offset:24 glc
	s_waitcnt vmcnt(0)
	v_cmp_eq_u64_e32 vcc, v[8:9], v[14:15]
	v_mov_b32_e32 v15, v9
	s_or_b64 s[4:5], vcc, s[4:5]
	v_mov_b32_e32 v14, v8
	s_andn2_b64 exec, exec, s[4:5]
	s_cbranch_execnz .LBB0_108
	s_branch .LBB0_27
.LBB0_109:
	s_branch .LBB0_137
.LBB0_110:
                                        ; implicit-def: $vgpr2_vgpr3
	s_cbranch_execz .LBB0_137
; %bb.111:
	v_readfirstlane_b32 s4, v35
	v_mov_b32_e32 v9, 0
	v_mov_b32_e32 v10, 0
	v_cmp_eq_u32_e64 s[4:5], s4, v35
	s_and_saveexec_b64 s[8:9], s[4:5]
	s_cbranch_execz .LBB0_117
; %bb.112:
	s_waitcnt vmcnt(0)
	v_mov_b32_e32 v2, 0
	global_load_dwordx2 v[11:12], v2, s[6:7] offset:24 glc
	s_waitcnt vmcnt(0)
	buffer_wbinvl1_vol
	global_load_dwordx2 v[3:4], v2, s[6:7] offset:40
	global_load_dwordx2 v[8:9], v2, s[6:7]
	s_waitcnt vmcnt(1)
	v_and_b32_e32 v3, v3, v11
	v_and_b32_e32 v4, v4, v12
	v_mul_lo_u32 v4, v4, 24
	v_mul_hi_u32 v5, v3, 24
	v_mul_lo_u32 v3, v3, 24
	v_add_u32_e32 v4, v5, v4
	s_waitcnt vmcnt(0)
	v_add_co_u32_e32 v3, vcc, v8, v3
	v_addc_co_u32_e32 v4, vcc, v9, v4, vcc
	global_load_dwordx2 v[9:10], v[3:4], off glc
	s_waitcnt vmcnt(0)
	global_atomic_cmpswap_x2 v[9:10], v2, v[9:12], s[6:7] offset:24 glc
	s_waitcnt vmcnt(0)
	buffer_wbinvl1_vol
	v_cmp_ne_u64_e32 vcc, v[9:10], v[11:12]
	s_and_saveexec_b64 s[10:11], vcc
	s_cbranch_execz .LBB0_116
; %bb.113:
	s_mov_b64 s[12:13], 0
.LBB0_114:                              ; =>This Inner Loop Header: Depth=1
	s_sleep 1
	global_load_dwordx2 v[3:4], v2, s[6:7] offset:40
	global_load_dwordx2 v[13:14], v2, s[6:7]
	v_mov_b32_e32 v12, v10
	v_mov_b32_e32 v11, v9
	s_waitcnt vmcnt(1)
	v_and_b32_e32 v3, v3, v11
	s_waitcnt vmcnt(0)
	v_mad_u64_u32 v[8:9], s[14:15], v3, 24, v[13:14]
	v_and_b32_e32 v4, v4, v12
	v_mov_b32_e32 v3, v9
	v_mad_u64_u32 v[3:4], s[14:15], v4, 24, v[3:4]
	v_mov_b32_e32 v9, v3
	global_load_dwordx2 v[9:10], v[8:9], off glc
	s_waitcnt vmcnt(0)
	global_atomic_cmpswap_x2 v[9:10], v2, v[9:12], s[6:7] offset:24 glc
	s_waitcnt vmcnt(0)
	buffer_wbinvl1_vol
	v_cmp_eq_u64_e32 vcc, v[9:10], v[11:12]
	s_or_b64 s[12:13], vcc, s[12:13]
	s_andn2_b64 exec, exec, s[12:13]
	s_cbranch_execnz .LBB0_114
; %bb.115:
	s_or_b64 exec, exec, s[12:13]
.LBB0_116:
	s_or_b64 exec, exec, s[10:11]
.LBB0_117:
	s_or_b64 exec, exec, s[8:9]
	v_mov_b32_e32 v8, 0
	global_load_dwordx2 v[11:12], v8, s[6:7] offset:40
	global_load_dwordx4 v[2:5], v8, s[6:7]
	v_readfirstlane_b32 s8, v9
	v_readfirstlane_b32 s9, v10
	s_mov_b64 s[10:11], exec
	s_waitcnt vmcnt(1)
	v_readfirstlane_b32 s12, v11
	v_readfirstlane_b32 s13, v12
	s_and_b64 s[12:13], s[8:9], s[12:13]
	s_mul_i32 s14, s13, 24
	s_mul_hi_u32 s15, s12, 24
	s_mul_i32 s16, s12, 24
	s_add_i32 s14, s15, s14
	v_mov_b32_e32 v9, s14
	s_waitcnt vmcnt(0)
	v_add_co_u32_e32 v10, vcc, s16, v2
	v_addc_co_u32_e32 v11, vcc, v3, v9, vcc
	s_and_saveexec_b64 s[14:15], s[4:5]
	s_cbranch_execz .LBB0_119
; %bb.118:
	v_mov_b32_e32 v13, s11
	v_mov_b32_e32 v12, s10
	;; [unrolled: 1-line block ×4, first 2 shown]
	global_store_dwordx4 v[10:11], v[12:15], off offset:8
.LBB0_119:
	s_or_b64 exec, exec, s[14:15]
	s_lshl_b64 s[10:11], s[12:13], 12
	v_mov_b32_e32 v9, s11
	v_add_co_u32_e32 v4, vcc, s10, v4
	v_addc_co_u32_e32 v5, vcc, v5, v9, vcc
	s_movk_i32 s10, 0xff1f
	v_and_or_b32 v6, v6, s10, 32
	v_add_co_u32_e32 v12, vcc, v4, v34
	s_mov_b32 s12, 0
	v_mov_b32_e32 v9, v8
	v_readfirstlane_b32 s10, v4
	v_readfirstlane_b32 s11, v5
	v_addc_co_u32_e32 v13, vcc, 0, v5, vcc
	s_mov_b32 s13, s12
	s_mov_b32 s14, s12
	;; [unrolled: 1-line block ×3, first 2 shown]
	s_nop 0
	global_store_dwordx4 v34, v[6:9], s[10:11]
	v_mov_b32_e32 v4, s12
	v_mov_b32_e32 v5, s13
	v_mov_b32_e32 v6, s14
	v_mov_b32_e32 v7, s15
	global_store_dwordx4 v34, v[4:7], s[10:11] offset:16
	global_store_dwordx4 v34, v[4:7], s[10:11] offset:32
	;; [unrolled: 1-line block ×3, first 2 shown]
	s_and_saveexec_b64 s[10:11], s[4:5]
	s_cbranch_execz .LBB0_127
; %bb.120:
	v_mov_b32_e32 v8, 0
	global_load_dwordx2 v[16:17], v8, s[6:7] offset:32 glc
	global_load_dwordx2 v[4:5], v8, s[6:7] offset:40
	v_mov_b32_e32 v14, s8
	v_mov_b32_e32 v15, s9
	s_waitcnt vmcnt(0)
	v_readfirstlane_b32 s12, v4
	v_readfirstlane_b32 s13, v5
	s_and_b64 s[12:13], s[12:13], s[8:9]
	s_mul_i32 s13, s13, 24
	s_mul_hi_u32 s14, s12, 24
	s_mul_i32 s12, s12, 24
	s_add_i32 s13, s14, s13
	v_mov_b32_e32 v4, s13
	v_add_co_u32_e32 v6, vcc, s12, v2
	v_addc_co_u32_e32 v7, vcc, v3, v4, vcc
	global_store_dwordx2 v[6:7], v[16:17], off
	s_waitcnt vmcnt(0)
	global_atomic_cmpswap_x2 v[4:5], v8, v[14:17], s[6:7] offset:32 glc
	s_waitcnt vmcnt(0)
	v_cmp_ne_u64_e32 vcc, v[4:5], v[16:17]
	s_and_saveexec_b64 s[12:13], vcc
	s_cbranch_execz .LBB0_123
; %bb.121:
	s_mov_b64 s[14:15], 0
.LBB0_122:                              ; =>This Inner Loop Header: Depth=1
	s_sleep 1
	global_store_dwordx2 v[6:7], v[4:5], off
	v_mov_b32_e32 v2, s8
	v_mov_b32_e32 v3, s9
	s_waitcnt vmcnt(0)
	global_atomic_cmpswap_x2 v[2:3], v8, v[2:5], s[6:7] offset:32 glc
	s_waitcnt vmcnt(0)
	v_cmp_eq_u64_e32 vcc, v[2:3], v[4:5]
	v_mov_b32_e32 v5, v3
	s_or_b64 s[14:15], vcc, s[14:15]
	v_mov_b32_e32 v4, v2
	s_andn2_b64 exec, exec, s[14:15]
	s_cbranch_execnz .LBB0_122
.LBB0_123:
	s_or_b64 exec, exec, s[12:13]
	v_mov_b32_e32 v5, 0
	global_load_dwordx2 v[2:3], v5, s[6:7] offset:16
	s_mov_b64 s[12:13], exec
	v_mbcnt_lo_u32_b32 v4, s12, 0
	v_mbcnt_hi_u32_b32 v4, s13, v4
	v_cmp_eq_u32_e32 vcc, 0, v4
	s_and_saveexec_b64 s[14:15], vcc
	s_cbranch_execz .LBB0_125
; %bb.124:
	s_bcnt1_i32_b64 s12, s[12:13]
	v_mov_b32_e32 v4, s12
	s_waitcnt vmcnt(0)
	global_atomic_add_x2 v[2:3], v[4:5], off offset:8
.LBB0_125:
	s_or_b64 exec, exec, s[14:15]
	s_waitcnt vmcnt(0)
	global_load_dwordx2 v[4:5], v[2:3], off offset:16
	s_waitcnt vmcnt(0)
	v_cmp_eq_u64_e32 vcc, 0, v[4:5]
	s_cbranch_vccnz .LBB0_127
; %bb.126:
	global_load_dword v2, v[2:3], off offset:24
	v_mov_b32_e32 v3, 0
	s_waitcnt vmcnt(0)
	global_store_dwordx2 v[4:5], v[2:3], off
	v_and_b32_e32 v2, 0xffffff, v2
	v_readfirstlane_b32 m0, v2
	s_sendmsg sendmsg(MSG_INTERRUPT)
.LBB0_127:
	s_or_b64 exec, exec, s[10:11]
	s_branch .LBB0_131
.LBB0_128:                              ;   in Loop: Header=BB0_131 Depth=1
	s_or_b64 exec, exec, s[10:11]
	v_readfirstlane_b32 s10, v2
	s_cmp_eq_u32 s10, 0
	s_cbranch_scc1 .LBB0_130
; %bb.129:                              ;   in Loop: Header=BB0_131 Depth=1
	s_sleep 1
	s_cbranch_execnz .LBB0_131
	s_branch .LBB0_133
.LBB0_130:
	s_branch .LBB0_133
.LBB0_131:                              ; =>This Inner Loop Header: Depth=1
	v_mov_b32_e32 v2, 1
	s_and_saveexec_b64 s[10:11], s[4:5]
	s_cbranch_execz .LBB0_128
; %bb.132:                              ;   in Loop: Header=BB0_131 Depth=1
	global_load_dword v2, v[10:11], off offset:20 glc
	s_waitcnt vmcnt(0)
	buffer_wbinvl1_vol
	v_and_b32_e32 v2, 1, v2
	s_branch .LBB0_128
.LBB0_133:
	global_load_dwordx2 v[2:3], v[12:13], off
	s_and_saveexec_b64 s[10:11], s[4:5]
	s_cbranch_execz .LBB0_136
; %bb.134:
	v_mov_b32_e32 v10, 0
	global_load_dwordx2 v[6:7], v10, s[6:7] offset:40
	global_load_dwordx2 v[11:12], v10, s[6:7] offset:24 glc
	global_load_dwordx2 v[8:9], v10, s[6:7]
	v_mov_b32_e32 v5, s9
	s_mov_b64 s[4:5], 0
	s_waitcnt vmcnt(2)
	v_add_co_u32_e32 v13, vcc, 1, v6
	v_addc_co_u32_e32 v14, vcc, 0, v7, vcc
	v_add_co_u32_e32 v4, vcc, s8, v13
	v_addc_co_u32_e32 v5, vcc, v14, v5, vcc
	v_cmp_eq_u64_e32 vcc, 0, v[4:5]
	v_cndmask_b32_e32 v5, v5, v14, vcc
	v_cndmask_b32_e32 v4, v4, v13, vcc
	v_and_b32_e32 v7, v5, v7
	v_and_b32_e32 v6, v4, v6
	v_mul_lo_u32 v7, v7, 24
	v_mul_hi_u32 v13, v6, 24
	v_mul_lo_u32 v14, v6, 24
	s_waitcnt vmcnt(1)
	v_mov_b32_e32 v6, v11
	v_add_u32_e32 v7, v13, v7
	s_waitcnt vmcnt(0)
	v_add_co_u32_e32 v8, vcc, v8, v14
	v_addc_co_u32_e32 v9, vcc, v9, v7, vcc
	global_store_dwordx2 v[8:9], v[11:12], off
	v_mov_b32_e32 v7, v12
	s_waitcnt vmcnt(0)
	global_atomic_cmpswap_x2 v[6:7], v10, v[4:7], s[6:7] offset:24 glc
	s_waitcnt vmcnt(0)
	v_cmp_ne_u64_e32 vcc, v[6:7], v[11:12]
	s_and_b64 exec, exec, vcc
	s_cbranch_execz .LBB0_136
.LBB0_135:                              ; =>This Inner Loop Header: Depth=1
	s_sleep 1
	global_store_dwordx2 v[8:9], v[6:7], off
	s_waitcnt vmcnt(0)
	global_atomic_cmpswap_x2 v[11:12], v10, v[4:7], s[6:7] offset:24 glc
	s_waitcnt vmcnt(0)
	v_cmp_eq_u64_e32 vcc, v[11:12], v[6:7]
	v_mov_b32_e32 v6, v11
	s_or_b64 s[4:5], vcc, s[4:5]
	v_mov_b32_e32 v7, v12
	s_andn2_b64 exec, exec, s[4:5]
	s_cbranch_execnz .LBB0_135
.LBB0_136:
	s_or_b64 exec, exec, s[10:11]
.LBB0_137:
	v_cmp_ne_u64_e32 vcc, 0, v[0:1]
	v_mov_b32_e32 v26, 0
	v_mov_b32_e32 v27, 0
	s_mov_b64 s[10:11], 0
	s_and_saveexec_b64 s[8:9], vcc
	s_cbranch_execnz .LBB0_162
; %bb.138:
	s_or_b64 exec, exec, s[8:9]
	s_and_saveexec_b64 s[4:5], vcc
	s_xor_b64 s[8:9], exec, s[4:5]
	s_cbranch_execnz .LBB0_165
.LBB0_139:
	s_andn2_saveexec_b64 s[8:9], s[8:9]
	s_cbranch_execz .LBB0_254
.LBB0_140:
	v_readfirstlane_b32 s4, v35
	v_mov_b32_e32 v0, 0
	v_mov_b32_e32 v1, 0
	v_cmp_eq_u32_e64 s[4:5], s4, v35
	s_and_saveexec_b64 s[10:11], s[4:5]
	s_cbranch_execz .LBB0_146
; %bb.141:
	s_waitcnt vmcnt(0)
	v_mov_b32_e32 v4, 0
	global_load_dwordx2 v[7:8], v4, s[6:7] offset:24 glc
	s_waitcnt vmcnt(0)
	buffer_wbinvl1_vol
	global_load_dwordx2 v[0:1], v4, s[6:7] offset:40
	global_load_dwordx2 v[5:6], v4, s[6:7]
	s_waitcnt vmcnt(1)
	v_and_b32_e32 v0, v0, v7
	v_and_b32_e32 v1, v1, v8
	v_mul_lo_u32 v1, v1, 24
	v_mul_hi_u32 v9, v0, 24
	v_mul_lo_u32 v0, v0, 24
	v_add_u32_e32 v1, v9, v1
	s_waitcnt vmcnt(0)
	v_add_co_u32_e32 v0, vcc, v5, v0
	v_addc_co_u32_e32 v1, vcc, v6, v1, vcc
	global_load_dwordx2 v[5:6], v[0:1], off glc
	s_waitcnt vmcnt(0)
	global_atomic_cmpswap_x2 v[0:1], v4, v[5:8], s[6:7] offset:24 glc
	s_waitcnt vmcnt(0)
	buffer_wbinvl1_vol
	v_cmp_ne_u64_e32 vcc, v[0:1], v[7:8]
	s_and_saveexec_b64 s[12:13], vcc
	s_cbranch_execz .LBB0_145
; %bb.142:
	s_mov_b64 s[14:15], 0
.LBB0_143:                              ; =>This Inner Loop Header: Depth=1
	s_sleep 1
	global_load_dwordx2 v[5:6], v4, s[6:7] offset:40
	global_load_dwordx2 v[9:10], v4, s[6:7]
	v_mov_b32_e32 v8, v1
	v_mov_b32_e32 v7, v0
	s_waitcnt vmcnt(1)
	v_and_b32_e32 v0, v5, v7
	s_waitcnt vmcnt(0)
	v_mad_u64_u32 v[0:1], s[16:17], v0, 24, v[9:10]
	v_and_b32_e32 v5, v6, v8
	v_mad_u64_u32 v[5:6], s[16:17], v5, 24, v[1:2]
	v_mov_b32_e32 v1, v5
	global_load_dwordx2 v[5:6], v[0:1], off glc
	s_waitcnt vmcnt(0)
	global_atomic_cmpswap_x2 v[0:1], v4, v[5:8], s[6:7] offset:24 glc
	s_waitcnt vmcnt(0)
	buffer_wbinvl1_vol
	v_cmp_eq_u64_e32 vcc, v[0:1], v[7:8]
	s_or_b64 s[14:15], vcc, s[14:15]
	s_andn2_b64 exec, exec, s[14:15]
	s_cbranch_execnz .LBB0_143
; %bb.144:
	s_or_b64 exec, exec, s[14:15]
.LBB0_145:
	s_or_b64 exec, exec, s[12:13]
.LBB0_146:
	s_or_b64 exec, exec, s[10:11]
	s_waitcnt vmcnt(0)
	v_mov_b32_e32 v4, 0
	global_load_dwordx2 v[10:11], v4, s[6:7] offset:40
	global_load_dwordx4 v[6:9], v4, s[6:7]
	v_readfirstlane_b32 s10, v0
	v_readfirstlane_b32 s11, v1
	s_mov_b64 s[12:13], exec
	s_waitcnt vmcnt(1)
	v_readfirstlane_b32 s14, v10
	v_readfirstlane_b32 s15, v11
	s_and_b64 s[14:15], s[10:11], s[14:15]
	s_mul_i32 s16, s15, 24
	s_mul_hi_u32 s17, s14, 24
	s_mul_i32 s18, s14, 24
	s_add_i32 s16, s17, s16
	v_mov_b32_e32 v0, s16
	s_waitcnt vmcnt(0)
	v_add_co_u32_e32 v10, vcc, s18, v6
	v_addc_co_u32_e32 v11, vcc, v7, v0, vcc
	s_and_saveexec_b64 s[16:17], s[4:5]
	s_cbranch_execz .LBB0_148
; %bb.147:
	v_mov_b32_e32 v12, s12
	v_mov_b32_e32 v13, s13
	;; [unrolled: 1-line block ×4, first 2 shown]
	global_store_dwordx4 v[10:11], v[12:15], off offset:8
.LBB0_148:
	s_or_b64 exec, exec, s[16:17]
	s_lshl_b64 s[12:13], s[14:15], 12
	v_mov_b32_e32 v0, s13
	v_add_co_u32_e32 v1, vcc, s12, v8
	v_addc_co_u32_e32 v0, vcc, v9, v0, vcc
	s_movk_i32 s12, 0xff1d
	v_and_or_b32 v2, v2, s12, 34
	s_mov_b32 s12, 0
	v_mov_b32_e32 v5, v4
	v_readfirstlane_b32 s16, v1
	v_readfirstlane_b32 s17, v0
	s_mov_b32 s13, s12
	s_mov_b32 s14, s12
	;; [unrolled: 1-line block ×3, first 2 shown]
	s_nop 1
	global_store_dwordx4 v34, v[2:5], s[16:17]
	v_mov_b32_e32 v0, s12
	v_mov_b32_e32 v1, s13
	;; [unrolled: 1-line block ×4, first 2 shown]
	global_store_dwordx4 v34, v[0:3], s[16:17] offset:16
	global_store_dwordx4 v34, v[0:3], s[16:17] offset:32
	;; [unrolled: 1-line block ×3, first 2 shown]
	s_and_saveexec_b64 s[12:13], s[4:5]
	s_cbranch_execz .LBB0_156
; %bb.149:
	v_mov_b32_e32 v8, 0
	global_load_dwordx2 v[14:15], v8, s[6:7] offset:32 glc
	global_load_dwordx2 v[0:1], v8, s[6:7] offset:40
	v_mov_b32_e32 v12, s10
	v_mov_b32_e32 v13, s11
	s_waitcnt vmcnt(0)
	v_readfirstlane_b32 s14, v0
	v_readfirstlane_b32 s15, v1
	s_and_b64 s[14:15], s[14:15], s[10:11]
	s_mul_i32 s15, s15, 24
	s_mul_hi_u32 s16, s14, 24
	s_mul_i32 s14, s14, 24
	s_add_i32 s15, s16, s15
	v_mov_b32_e32 v0, s15
	v_add_co_u32_e32 v4, vcc, s14, v6
	v_addc_co_u32_e32 v5, vcc, v7, v0, vcc
	global_store_dwordx2 v[4:5], v[14:15], off
	s_waitcnt vmcnt(0)
	global_atomic_cmpswap_x2 v[2:3], v8, v[12:15], s[6:7] offset:32 glc
	s_waitcnt vmcnt(0)
	v_cmp_ne_u64_e32 vcc, v[2:3], v[14:15]
	s_and_saveexec_b64 s[14:15], vcc
	s_cbranch_execz .LBB0_152
; %bb.150:
	s_mov_b64 s[16:17], 0
.LBB0_151:                              ; =>This Inner Loop Header: Depth=1
	s_sleep 1
	global_store_dwordx2 v[4:5], v[2:3], off
	v_mov_b32_e32 v0, s10
	v_mov_b32_e32 v1, s11
	s_waitcnt vmcnt(0)
	global_atomic_cmpswap_x2 v[0:1], v8, v[0:3], s[6:7] offset:32 glc
	s_waitcnt vmcnt(0)
	v_cmp_eq_u64_e32 vcc, v[0:1], v[2:3]
	v_mov_b32_e32 v3, v1
	s_or_b64 s[16:17], vcc, s[16:17]
	v_mov_b32_e32 v2, v0
	s_andn2_b64 exec, exec, s[16:17]
	s_cbranch_execnz .LBB0_151
.LBB0_152:
	s_or_b64 exec, exec, s[14:15]
	v_mov_b32_e32 v3, 0
	global_load_dwordx2 v[0:1], v3, s[6:7] offset:16
	s_mov_b64 s[14:15], exec
	v_mbcnt_lo_u32_b32 v2, s14, 0
	v_mbcnt_hi_u32_b32 v2, s15, v2
	v_cmp_eq_u32_e32 vcc, 0, v2
	s_and_saveexec_b64 s[16:17], vcc
	s_cbranch_execz .LBB0_154
; %bb.153:
	s_bcnt1_i32_b64 s14, s[14:15]
	v_mov_b32_e32 v2, s14
	s_waitcnt vmcnt(0)
	global_atomic_add_x2 v[0:1], v[2:3], off offset:8
.LBB0_154:
	s_or_b64 exec, exec, s[16:17]
	s_waitcnt vmcnt(0)
	global_load_dwordx2 v[2:3], v[0:1], off offset:16
	s_waitcnt vmcnt(0)
	v_cmp_eq_u64_e32 vcc, 0, v[2:3]
	s_cbranch_vccnz .LBB0_156
; %bb.155:
	global_load_dword v0, v[0:1], off offset:24
	v_mov_b32_e32 v1, 0
	s_waitcnt vmcnt(0)
	global_store_dwordx2 v[2:3], v[0:1], off
	v_and_b32_e32 v0, 0xffffff, v0
	v_readfirstlane_b32 m0, v0
	s_sendmsg sendmsg(MSG_INTERRUPT)
.LBB0_156:
	s_or_b64 exec, exec, s[12:13]
	s_branch .LBB0_160
.LBB0_157:                              ;   in Loop: Header=BB0_160 Depth=1
	s_or_b64 exec, exec, s[12:13]
	v_readfirstlane_b32 s12, v0
	s_cmp_eq_u32 s12, 0
	s_cbranch_scc1 .LBB0_159
; %bb.158:                              ;   in Loop: Header=BB0_160 Depth=1
	s_sleep 1
	s_cbranch_execnz .LBB0_160
	s_branch .LBB0_249
.LBB0_159:
	s_branch .LBB0_249
.LBB0_160:                              ; =>This Inner Loop Header: Depth=1
	v_mov_b32_e32 v0, 1
	s_and_saveexec_b64 s[12:13], s[4:5]
	s_cbranch_execz .LBB0_157
; %bb.161:                              ;   in Loop: Header=BB0_160 Depth=1
	global_load_dword v0, v[10:11], off offset:20 glc
	s_waitcnt vmcnt(0)
	buffer_wbinvl1_vol
	v_and_b32_e32 v0, 1, v0
	s_branch .LBB0_157
.LBB0_162:
	s_waitcnt vmcnt(0)
	v_add_co_u32_e64 v4, s[4:5], -1, v0
	v_addc_co_u32_e64 v5, s[4:5], -1, v1, s[4:5]
.LBB0_163:                              ; =>This Inner Loop Header: Depth=1
	flat_load_ubyte v8, v[4:5] offset:1
	v_add_co_u32_e64 v6, s[4:5], 1, v4
	v_addc_co_u32_e64 v7, s[4:5], 0, v5, s[4:5]
	v_mov_b32_e32 v4, v6
	v_mov_b32_e32 v5, v7
	s_waitcnt vmcnt(0) lgkmcnt(0)
	v_cmp_eq_u16_e64 s[4:5], 0, v8
	s_or_b64 s[10:11], s[4:5], s[10:11]
	s_andn2_b64 exec, exec, s[10:11]
	s_cbranch_execnz .LBB0_163
; %bb.164:
	s_or_b64 exec, exec, s[10:11]
	v_sub_co_u32_e64 v4, s[4:5], v6, v0
	v_subb_co_u32_e64 v5, s[4:5], v7, v1, s[4:5]
	v_add_co_u32_e64 v26, s[4:5], 1, v4
	v_addc_co_u32_e64 v27, s[4:5], 0, v5, s[4:5]
	s_or_b64 exec, exec, s[8:9]
	s_and_saveexec_b64 s[4:5], vcc
	s_xor_b64 s[8:9], exec, s[4:5]
	s_cbranch_execz .LBB0_139
.LBB0_165:
	s_waitcnt vmcnt(0)
	v_and_b32_e32 v2, -3, v2
	s_mov_b64 s[10:11], 0
	s_mov_b32 s20, 0
	v_mov_b32_e32 v29, 0
	s_movk_i32 s21, 0xff1f
	v_mov_b32_e32 v8, 2
	v_mov_b32_e32 v9, 1
	s_branch .LBB0_167
.LBB0_166:                              ;   in Loop: Header=BB0_167 Depth=1
	s_or_b64 exec, exec, s[14:15]
	v_sub_co_u32_e32 v26, vcc, v26, v30
	v_subb_co_u32_e32 v27, vcc, v27, v31, vcc
	v_cmp_eq_u64_e32 vcc, 0, v[26:27]
	s_or_b64 s[10:11], vcc, s[10:11]
	v_add_co_u32_e32 v0, vcc, v0, v30
	v_addc_co_u32_e32 v1, vcc, v1, v31, vcc
	s_andn2_b64 exec, exec, s[10:11]
	s_cbranch_execz .LBB0_253
.LBB0_167:                              ; =>This Loop Header: Depth=1
                                        ;     Child Loop BB0_170 Depth 2
                                        ;     Child Loop BB0_178 Depth 2
	;; [unrolled: 1-line block ×11, first 2 shown]
	v_cmp_gt_u64_e32 vcc, 56, v[26:27]
	v_cmp_gt_u64_e64 s[4:5], 8, v[26:27]
	v_cndmask_b32_e32 v31, 0, v27, vcc
	v_cndmask_b32_e32 v30, 56, v26, vcc
                                        ; implicit-def: $sgpr12
	s_and_saveexec_b64 s[14:15], s[4:5]
	s_xor_b64 s[4:5], exec, s[14:15]
	s_cbranch_execz .LBB0_173
; %bb.168:                              ;   in Loop: Header=BB0_167 Depth=1
	v_cmp_ne_u64_e32 vcc, 0, v[26:27]
	s_waitcnt vmcnt(0)
	v_mov_b32_e32 v4, 0
	v_mov_b32_e32 v5, 0
	s_mov_b64 s[14:15], 0
	s_and_saveexec_b64 s[12:13], vcc
	s_cbranch_execz .LBB0_172
; %bb.169:                              ;   in Loop: Header=BB0_167 Depth=1
	v_lshlrev_b64 v[6:7], 3, v[30:31]
	v_mov_b32_e32 v4, 0
	v_mov_b32_e32 v11, v1
	;; [unrolled: 1-line block ×4, first 2 shown]
	s_mov_b64 s[16:17], 0
.LBB0_170:                              ;   Parent Loop BB0_167 Depth=1
                                        ; =>  This Inner Loop Header: Depth=2
	flat_load_ubyte v7, v[10:11]
	v_mov_b32_e32 v13, s20
	v_add_co_u32_e32 v10, vcc, 1, v10
	v_addc_co_u32_e32 v11, vcc, 0, v11, vcc
	s_waitcnt vmcnt(0) lgkmcnt(0)
	v_and_b32_e32 v12, 0xffff, v7
	v_lshlrev_b64 v[12:13], s16, v[12:13]
	s_add_u32 s16, s16, 8
	s_addc_u32 s17, s17, 0
	v_cmp_eq_u32_e32 vcc, s16, v6
	v_or_b32_e32 v5, v13, v5
	s_or_b64 s[14:15], vcc, s[14:15]
	v_or_b32_e32 v4, v12, v4
	s_andn2_b64 exec, exec, s[14:15]
	s_cbranch_execnz .LBB0_170
; %bb.171:                              ;   in Loop: Header=BB0_167 Depth=1
	s_or_b64 exec, exec, s[14:15]
.LBB0_172:                              ;   in Loop: Header=BB0_167 Depth=1
	s_or_b64 exec, exec, s[12:13]
	s_mov_b32 s12, 0
.LBB0_173:                              ;   in Loop: Header=BB0_167 Depth=1
	s_or_saveexec_b64 s[4:5], s[4:5]
	v_mov_b32_e32 v7, v1
	v_mov_b32_e32 v12, s12
	;; [unrolled: 1-line block ×3, first 2 shown]
	s_xor_b64 exec, exec, s[4:5]
	s_cbranch_execz .LBB0_175
; %bb.174:                              ;   in Loop: Header=BB0_167 Depth=1
	s_waitcnt vmcnt(0)
	flat_load_dwordx2 v[4:5], v[0:1]
	v_add_u32_e32 v12, -8, v30
	s_waitcnt vmcnt(0) lgkmcnt(0)
	v_and_b32_e32 v6, 0xff, v5
	v_and_b32_e32 v7, 0xff00, v5
	;; [unrolled: 1-line block ×4, first 2 shown]
	v_or_b32_e32 v6, v6, v7
	v_or3_b32 v5, v6, v10, v5
	v_add_co_u32_e32 v6, vcc, 8, v0
	v_or3_b32 v4, v4, 0, 0
	v_addc_co_u32_e32 v7, vcc, 0, v1, vcc
.LBB0_175:                              ;   in Loop: Header=BB0_167 Depth=1
	s_or_b64 exec, exec, s[4:5]
	v_cmp_gt_u32_e32 vcc, 8, v12
                                        ; implicit-def: $vgpr10_vgpr11
                                        ; implicit-def: $sgpr12
	s_and_saveexec_b64 s[4:5], vcc
	s_xor_b64 s[4:5], exec, s[4:5]
	s_cbranch_execz .LBB0_181
; %bb.176:                              ;   in Loop: Header=BB0_167 Depth=1
	v_mov_b32_e32 v10, 0
	v_mov_b32_e32 v11, 0
	v_cmp_ne_u32_e32 vcc, 0, v12
	s_and_saveexec_b64 s[12:13], vcc
	s_cbranch_execz .LBB0_180
; %bb.177:                              ;   in Loop: Header=BB0_167 Depth=1
	v_mov_b32_e32 v10, 0
	s_mov_b64 s[14:15], 0
	v_mov_b32_e32 v11, 0
	s_mov_b64 s[16:17], 0
	s_mov_b64 s[18:19], 0
.LBB0_178:                              ;   Parent Loop BB0_167 Depth=1
                                        ; =>  This Inner Loop Header: Depth=2
	v_mov_b32_e32 v14, s19
	v_add_co_u32_e32 v13, vcc, s18, v6
	v_addc_co_u32_e32 v14, vcc, v7, v14, vcc
	flat_load_ubyte v13, v[13:14]
	s_add_u32 s18, s18, 1
	v_mov_b32_e32 v14, s20
	s_addc_u32 s19, s19, 0
	v_cmp_eq_u32_e32 vcc, s18, v12
	s_waitcnt vmcnt(0) lgkmcnt(0)
	v_and_b32_e32 v13, 0xffff, v13
	v_lshlrev_b64 v[13:14], s16, v[13:14]
	s_add_u32 s16, s16, 8
	s_addc_u32 s17, s17, 0
	v_or_b32_e32 v11, v14, v11
	s_or_b64 s[14:15], vcc, s[14:15]
	v_or_b32_e32 v10, v13, v10
	s_andn2_b64 exec, exec, s[14:15]
	s_cbranch_execnz .LBB0_178
; %bb.179:                              ;   in Loop: Header=BB0_167 Depth=1
	s_or_b64 exec, exec, s[14:15]
.LBB0_180:                              ;   in Loop: Header=BB0_167 Depth=1
	s_or_b64 exec, exec, s[12:13]
	s_mov_b32 s12, 0
                                        ; implicit-def: $vgpr12
.LBB0_181:                              ;   in Loop: Header=BB0_167 Depth=1
	s_or_saveexec_b64 s[4:5], s[4:5]
	v_mov_b32_e32 v14, s12
	s_xor_b64 exec, exec, s[4:5]
	s_cbranch_execz .LBB0_183
; %bb.182:                              ;   in Loop: Header=BB0_167 Depth=1
	flat_load_dwordx2 v[10:11], v[6:7]
	v_add_u32_e32 v14, -8, v12
	v_add_co_u32_e32 v6, vcc, 8, v6
	v_addc_co_u32_e32 v7, vcc, 0, v7, vcc
	s_waitcnt vmcnt(0) lgkmcnt(0)
	v_and_b32_e32 v12, 0xff, v11
	v_and_b32_e32 v13, 0xff00, v11
	;; [unrolled: 1-line block ×4, first 2 shown]
	v_or_b32_e32 v12, v12, v13
	v_or3_b32 v10, v10, 0, 0
	v_or3_b32 v11, v12, v15, v11
.LBB0_183:                              ;   in Loop: Header=BB0_167 Depth=1
	s_or_b64 exec, exec, s[4:5]
	v_cmp_gt_u32_e32 vcc, 8, v14
                                        ; implicit-def: $sgpr12
	s_and_saveexec_b64 s[4:5], vcc
	s_xor_b64 s[4:5], exec, s[4:5]
	s_cbranch_execz .LBB0_189
; %bb.184:                              ;   in Loop: Header=BB0_167 Depth=1
	v_mov_b32_e32 v12, 0
	v_mov_b32_e32 v13, 0
	v_cmp_ne_u32_e32 vcc, 0, v14
	s_and_saveexec_b64 s[12:13], vcc
	s_cbranch_execz .LBB0_188
; %bb.185:                              ;   in Loop: Header=BB0_167 Depth=1
	v_mov_b32_e32 v12, 0
	s_mov_b64 s[14:15], 0
	v_mov_b32_e32 v13, 0
	s_mov_b64 s[16:17], 0
	s_mov_b64 s[18:19], 0
.LBB0_186:                              ;   Parent Loop BB0_167 Depth=1
                                        ; =>  This Inner Loop Header: Depth=2
	v_mov_b32_e32 v16, s19
	v_add_co_u32_e32 v15, vcc, s18, v6
	v_addc_co_u32_e32 v16, vcc, v7, v16, vcc
	flat_load_ubyte v15, v[15:16]
	s_add_u32 s18, s18, 1
	v_mov_b32_e32 v16, s20
	s_addc_u32 s19, s19, 0
	v_cmp_eq_u32_e32 vcc, s18, v14
	s_waitcnt vmcnt(0) lgkmcnt(0)
	v_and_b32_e32 v15, 0xffff, v15
	v_lshlrev_b64 v[15:16], s16, v[15:16]
	s_add_u32 s16, s16, 8
	s_addc_u32 s17, s17, 0
	v_or_b32_e32 v13, v16, v13
	s_or_b64 s[14:15], vcc, s[14:15]
	v_or_b32_e32 v12, v15, v12
	s_andn2_b64 exec, exec, s[14:15]
	s_cbranch_execnz .LBB0_186
; %bb.187:                              ;   in Loop: Header=BB0_167 Depth=1
	s_or_b64 exec, exec, s[14:15]
.LBB0_188:                              ;   in Loop: Header=BB0_167 Depth=1
	s_or_b64 exec, exec, s[12:13]
	s_mov_b32 s12, 0
                                        ; implicit-def: $vgpr14
.LBB0_189:                              ;   in Loop: Header=BB0_167 Depth=1
	s_or_saveexec_b64 s[4:5], s[4:5]
	v_mov_b32_e32 v16, s12
	s_xor_b64 exec, exec, s[4:5]
	s_cbranch_execz .LBB0_191
; %bb.190:                              ;   in Loop: Header=BB0_167 Depth=1
	flat_load_dwordx2 v[12:13], v[6:7]
	v_add_u32_e32 v16, -8, v14
	v_add_co_u32_e32 v6, vcc, 8, v6
	v_addc_co_u32_e32 v7, vcc, 0, v7, vcc
	s_waitcnt vmcnt(0) lgkmcnt(0)
	v_and_b32_e32 v14, 0xff, v13
	v_and_b32_e32 v15, 0xff00, v13
	;; [unrolled: 1-line block ×4, first 2 shown]
	v_or_b32_e32 v14, v14, v15
	v_or3_b32 v12, v12, 0, 0
	v_or3_b32 v13, v14, v17, v13
.LBB0_191:                              ;   in Loop: Header=BB0_167 Depth=1
	s_or_b64 exec, exec, s[4:5]
	v_cmp_gt_u32_e32 vcc, 8, v16
                                        ; implicit-def: $vgpr14_vgpr15
                                        ; implicit-def: $sgpr12
	s_and_saveexec_b64 s[4:5], vcc
	s_xor_b64 s[4:5], exec, s[4:5]
	s_cbranch_execz .LBB0_197
; %bb.192:                              ;   in Loop: Header=BB0_167 Depth=1
	v_mov_b32_e32 v14, 0
	v_mov_b32_e32 v15, 0
	v_cmp_ne_u32_e32 vcc, 0, v16
	s_and_saveexec_b64 s[12:13], vcc
	s_cbranch_execz .LBB0_196
; %bb.193:                              ;   in Loop: Header=BB0_167 Depth=1
	v_mov_b32_e32 v14, 0
	s_mov_b64 s[14:15], 0
	v_mov_b32_e32 v15, 0
	s_mov_b64 s[16:17], 0
	s_mov_b64 s[18:19], 0
.LBB0_194:                              ;   Parent Loop BB0_167 Depth=1
                                        ; =>  This Inner Loop Header: Depth=2
	v_mov_b32_e32 v18, s19
	v_add_co_u32_e32 v17, vcc, s18, v6
	v_addc_co_u32_e32 v18, vcc, v7, v18, vcc
	flat_load_ubyte v17, v[17:18]
	s_add_u32 s18, s18, 1
	v_mov_b32_e32 v18, s20
	s_addc_u32 s19, s19, 0
	v_cmp_eq_u32_e32 vcc, s18, v16
	s_waitcnt vmcnt(0) lgkmcnt(0)
	v_and_b32_e32 v17, 0xffff, v17
	v_lshlrev_b64 v[17:18], s16, v[17:18]
	s_add_u32 s16, s16, 8
	s_addc_u32 s17, s17, 0
	v_or_b32_e32 v15, v18, v15
	s_or_b64 s[14:15], vcc, s[14:15]
	v_or_b32_e32 v14, v17, v14
	s_andn2_b64 exec, exec, s[14:15]
	s_cbranch_execnz .LBB0_194
; %bb.195:                              ;   in Loop: Header=BB0_167 Depth=1
	s_or_b64 exec, exec, s[14:15]
.LBB0_196:                              ;   in Loop: Header=BB0_167 Depth=1
	s_or_b64 exec, exec, s[12:13]
	s_mov_b32 s12, 0
                                        ; implicit-def: $vgpr16
.LBB0_197:                              ;   in Loop: Header=BB0_167 Depth=1
	s_or_saveexec_b64 s[4:5], s[4:5]
	v_mov_b32_e32 v18, s12
	s_xor_b64 exec, exec, s[4:5]
	s_cbranch_execz .LBB0_199
; %bb.198:                              ;   in Loop: Header=BB0_167 Depth=1
	flat_load_dwordx2 v[14:15], v[6:7]
	v_add_u32_e32 v18, -8, v16
	v_add_co_u32_e32 v6, vcc, 8, v6
	v_addc_co_u32_e32 v7, vcc, 0, v7, vcc
	s_waitcnt vmcnt(0) lgkmcnt(0)
	v_and_b32_e32 v16, 0xff, v15
	v_and_b32_e32 v17, 0xff00, v15
	;; [unrolled: 1-line block ×4, first 2 shown]
	v_or_b32_e32 v16, v16, v17
	v_or3_b32 v14, v14, 0, 0
	v_or3_b32 v15, v16, v19, v15
.LBB0_199:                              ;   in Loop: Header=BB0_167 Depth=1
	s_or_b64 exec, exec, s[4:5]
	v_cmp_gt_u32_e32 vcc, 8, v18
                                        ; implicit-def: $sgpr12
	s_and_saveexec_b64 s[4:5], vcc
	s_xor_b64 s[4:5], exec, s[4:5]
	s_cbranch_execz .LBB0_205
; %bb.200:                              ;   in Loop: Header=BB0_167 Depth=1
	v_mov_b32_e32 v16, 0
	v_mov_b32_e32 v17, 0
	v_cmp_ne_u32_e32 vcc, 0, v18
	s_and_saveexec_b64 s[12:13], vcc
	s_cbranch_execz .LBB0_204
; %bb.201:                              ;   in Loop: Header=BB0_167 Depth=1
	v_mov_b32_e32 v16, 0
	s_mov_b64 s[14:15], 0
	v_mov_b32_e32 v17, 0
	s_mov_b64 s[16:17], 0
	s_mov_b64 s[18:19], 0
.LBB0_202:                              ;   Parent Loop BB0_167 Depth=1
                                        ; =>  This Inner Loop Header: Depth=2
	v_mov_b32_e32 v20, s19
	v_add_co_u32_e32 v19, vcc, s18, v6
	v_addc_co_u32_e32 v20, vcc, v7, v20, vcc
	flat_load_ubyte v19, v[19:20]
	s_add_u32 s18, s18, 1
	v_mov_b32_e32 v20, s20
	s_addc_u32 s19, s19, 0
	v_cmp_eq_u32_e32 vcc, s18, v18
	s_waitcnt vmcnt(0) lgkmcnt(0)
	v_and_b32_e32 v19, 0xffff, v19
	v_lshlrev_b64 v[19:20], s16, v[19:20]
	s_add_u32 s16, s16, 8
	s_addc_u32 s17, s17, 0
	v_or_b32_e32 v17, v20, v17
	s_or_b64 s[14:15], vcc, s[14:15]
	v_or_b32_e32 v16, v19, v16
	s_andn2_b64 exec, exec, s[14:15]
	s_cbranch_execnz .LBB0_202
; %bb.203:                              ;   in Loop: Header=BB0_167 Depth=1
	s_or_b64 exec, exec, s[14:15]
.LBB0_204:                              ;   in Loop: Header=BB0_167 Depth=1
	s_or_b64 exec, exec, s[12:13]
	s_mov_b32 s12, 0
                                        ; implicit-def: $vgpr18
.LBB0_205:                              ;   in Loop: Header=BB0_167 Depth=1
	s_or_saveexec_b64 s[4:5], s[4:5]
	v_mov_b32_e32 v20, s12
	s_xor_b64 exec, exec, s[4:5]
	s_cbranch_execz .LBB0_207
; %bb.206:                              ;   in Loop: Header=BB0_167 Depth=1
	flat_load_dwordx2 v[16:17], v[6:7]
	v_add_u32_e32 v20, -8, v18
	v_add_co_u32_e32 v6, vcc, 8, v6
	v_addc_co_u32_e32 v7, vcc, 0, v7, vcc
	s_waitcnt vmcnt(0) lgkmcnt(0)
	v_and_b32_e32 v18, 0xff, v17
	v_and_b32_e32 v19, 0xff00, v17
	;; [unrolled: 1-line block ×4, first 2 shown]
	v_or_b32_e32 v18, v18, v19
	v_or3_b32 v16, v16, 0, 0
	v_or3_b32 v17, v18, v21, v17
.LBB0_207:                              ;   in Loop: Header=BB0_167 Depth=1
	s_or_b64 exec, exec, s[4:5]
	v_cmp_gt_u32_e32 vcc, 8, v20
                                        ; implicit-def: $vgpr18_vgpr19
                                        ; implicit-def: $sgpr12
	s_and_saveexec_b64 s[4:5], vcc
	s_xor_b64 s[4:5], exec, s[4:5]
	s_cbranch_execz .LBB0_213
; %bb.208:                              ;   in Loop: Header=BB0_167 Depth=1
	v_mov_b32_e32 v18, 0
	v_mov_b32_e32 v19, 0
	v_cmp_ne_u32_e32 vcc, 0, v20
	s_and_saveexec_b64 s[12:13], vcc
	s_cbranch_execz .LBB0_212
; %bb.209:                              ;   in Loop: Header=BB0_167 Depth=1
	v_mov_b32_e32 v18, 0
	s_mov_b64 s[14:15], 0
	v_mov_b32_e32 v19, 0
	s_mov_b64 s[16:17], 0
	s_mov_b64 s[18:19], 0
.LBB0_210:                              ;   Parent Loop BB0_167 Depth=1
                                        ; =>  This Inner Loop Header: Depth=2
	v_mov_b32_e32 v22, s19
	v_add_co_u32_e32 v21, vcc, s18, v6
	v_addc_co_u32_e32 v22, vcc, v7, v22, vcc
	flat_load_ubyte v21, v[21:22]
	s_add_u32 s18, s18, 1
	v_mov_b32_e32 v22, s20
	s_addc_u32 s19, s19, 0
	v_cmp_eq_u32_e32 vcc, s18, v20
	s_waitcnt vmcnt(0) lgkmcnt(0)
	v_and_b32_e32 v21, 0xffff, v21
	v_lshlrev_b64 v[21:22], s16, v[21:22]
	s_add_u32 s16, s16, 8
	s_addc_u32 s17, s17, 0
	v_or_b32_e32 v19, v22, v19
	s_or_b64 s[14:15], vcc, s[14:15]
	v_or_b32_e32 v18, v21, v18
	s_andn2_b64 exec, exec, s[14:15]
	s_cbranch_execnz .LBB0_210
; %bb.211:                              ;   in Loop: Header=BB0_167 Depth=1
	s_or_b64 exec, exec, s[14:15]
.LBB0_212:                              ;   in Loop: Header=BB0_167 Depth=1
	s_or_b64 exec, exec, s[12:13]
	s_mov_b32 s12, 0
                                        ; implicit-def: $vgpr20
.LBB0_213:                              ;   in Loop: Header=BB0_167 Depth=1
	s_or_saveexec_b64 s[4:5], s[4:5]
	v_mov_b32_e32 v22, s12
	s_xor_b64 exec, exec, s[4:5]
	s_cbranch_execz .LBB0_215
; %bb.214:                              ;   in Loop: Header=BB0_167 Depth=1
	flat_load_dwordx2 v[18:19], v[6:7]
	v_add_u32_e32 v22, -8, v20
	v_add_co_u32_e32 v6, vcc, 8, v6
	v_addc_co_u32_e32 v7, vcc, 0, v7, vcc
	s_waitcnt vmcnt(0) lgkmcnt(0)
	v_and_b32_e32 v20, 0xff, v19
	v_and_b32_e32 v21, 0xff00, v19
	v_and_b32_e32 v23, 0xff0000, v19
	v_and_b32_e32 v19, 0xff000000, v19
	v_or_b32_e32 v20, v20, v21
	v_or3_b32 v18, v18, 0, 0
	v_or3_b32 v19, v20, v23, v19
.LBB0_215:                              ;   in Loop: Header=BB0_167 Depth=1
	s_or_b64 exec, exec, s[4:5]
	v_cmp_gt_u32_e32 vcc, 8, v22
	s_and_saveexec_b64 s[4:5], vcc
	s_xor_b64 s[4:5], exec, s[4:5]
	s_cbranch_execz .LBB0_221
; %bb.216:                              ;   in Loop: Header=BB0_167 Depth=1
	v_mov_b32_e32 v20, 0
	v_mov_b32_e32 v21, 0
	v_cmp_ne_u32_e32 vcc, 0, v22
	s_and_saveexec_b64 s[12:13], vcc
	s_cbranch_execz .LBB0_220
; %bb.217:                              ;   in Loop: Header=BB0_167 Depth=1
	v_mov_b32_e32 v20, 0
	s_mov_b64 s[14:15], 0
	v_mov_b32_e32 v21, 0
	s_mov_b64 s[16:17], 0
.LBB0_218:                              ;   Parent Loop BB0_167 Depth=1
                                        ; =>  This Inner Loop Header: Depth=2
	flat_load_ubyte v23, v[6:7]
	v_mov_b32_e32 v24, s20
	v_add_co_u32_e32 v6, vcc, 1, v6
	v_add_u32_e32 v22, -1, v22
	v_addc_co_u32_e32 v7, vcc, 0, v7, vcc
	v_cmp_eq_u32_e32 vcc, 0, v22
	s_waitcnt vmcnt(0) lgkmcnt(0)
	v_and_b32_e32 v23, 0xffff, v23
	v_lshlrev_b64 v[23:24], s16, v[23:24]
	s_add_u32 s16, s16, 8
	s_addc_u32 s17, s17, 0
	v_or_b32_e32 v21, v24, v21
	s_or_b64 s[14:15], vcc, s[14:15]
	v_or_b32_e32 v20, v23, v20
	s_andn2_b64 exec, exec, s[14:15]
	s_cbranch_execnz .LBB0_218
; %bb.219:                              ;   in Loop: Header=BB0_167 Depth=1
	s_or_b64 exec, exec, s[14:15]
.LBB0_220:                              ;   in Loop: Header=BB0_167 Depth=1
	s_or_b64 exec, exec, s[12:13]
                                        ; implicit-def: $vgpr6_vgpr7
.LBB0_221:                              ;   in Loop: Header=BB0_167 Depth=1
	s_andn2_saveexec_b64 s[4:5], s[4:5]
	s_cbranch_execz .LBB0_223
; %bb.222:                              ;   in Loop: Header=BB0_167 Depth=1
	flat_load_dwordx2 v[6:7], v[6:7]
	s_waitcnt vmcnt(0) lgkmcnt(0)
	v_and_b32_e32 v20, 0xff, v7
	v_and_b32_e32 v21, 0xff00, v7
	;; [unrolled: 1-line block ×4, first 2 shown]
	v_or_b32_e32 v20, v20, v21
	v_or3_b32 v21, v20, v22, v7
	v_or3_b32 v20, v6, 0, 0
.LBB0_223:                              ;   in Loop: Header=BB0_167 Depth=1
	s_or_b64 exec, exec, s[4:5]
	v_readfirstlane_b32 s4, v35
	v_mov_b32_e32 v6, 0
	v_mov_b32_e32 v7, 0
	v_cmp_eq_u32_e64 s[4:5], s4, v35
	s_and_saveexec_b64 s[12:13], s[4:5]
	s_cbranch_execz .LBB0_229
; %bb.224:                              ;   in Loop: Header=BB0_167 Depth=1
	global_load_dwordx2 v[24:25], v29, s[6:7] offset:24 glc
	s_waitcnt vmcnt(0)
	buffer_wbinvl1_vol
	global_load_dwordx2 v[6:7], v29, s[6:7] offset:40
	global_load_dwordx2 v[22:23], v29, s[6:7]
	s_waitcnt vmcnt(1)
	v_and_b32_e32 v6, v6, v24
	v_and_b32_e32 v7, v7, v25
	v_mul_lo_u32 v7, v7, 24
	v_mul_hi_u32 v28, v6, 24
	v_mul_lo_u32 v6, v6, 24
	v_add_u32_e32 v7, v28, v7
	s_waitcnt vmcnt(0)
	v_add_co_u32_e32 v6, vcc, v22, v6
	v_addc_co_u32_e32 v7, vcc, v23, v7, vcc
	global_load_dwordx2 v[22:23], v[6:7], off glc
	s_waitcnt vmcnt(0)
	global_atomic_cmpswap_x2 v[6:7], v29, v[22:25], s[6:7] offset:24 glc
	s_waitcnt vmcnt(0)
	buffer_wbinvl1_vol
	v_cmp_ne_u64_e32 vcc, v[6:7], v[24:25]
	s_and_saveexec_b64 s[14:15], vcc
	s_cbranch_execz .LBB0_228
; %bb.225:                              ;   in Loop: Header=BB0_167 Depth=1
	s_mov_b64 s[16:17], 0
.LBB0_226:                              ;   Parent Loop BB0_167 Depth=1
                                        ; =>  This Inner Loop Header: Depth=2
	s_sleep 1
	global_load_dwordx2 v[22:23], v29, s[6:7] offset:40
	global_load_dwordx2 v[32:33], v29, s[6:7]
	v_mov_b32_e32 v25, v7
	v_mov_b32_e32 v24, v6
	s_waitcnt vmcnt(1)
	v_and_b32_e32 v6, v22, v24
	s_waitcnt vmcnt(0)
	v_mad_u64_u32 v[6:7], s[18:19], v6, 24, v[32:33]
	v_and_b32_e32 v22, v23, v25
	v_mad_u64_u32 v[22:23], s[18:19], v22, 24, v[7:8]
	v_mov_b32_e32 v7, v22
	global_load_dwordx2 v[22:23], v[6:7], off glc
	s_waitcnt vmcnt(0)
	global_atomic_cmpswap_x2 v[6:7], v29, v[22:25], s[6:7] offset:24 glc
	s_waitcnt vmcnt(0)
	buffer_wbinvl1_vol
	v_cmp_eq_u64_e32 vcc, v[6:7], v[24:25]
	s_or_b64 s[16:17], vcc, s[16:17]
	s_andn2_b64 exec, exec, s[16:17]
	s_cbranch_execnz .LBB0_226
; %bb.227:                              ;   in Loop: Header=BB0_167 Depth=1
	s_or_b64 exec, exec, s[16:17]
.LBB0_228:                              ;   in Loop: Header=BB0_167 Depth=1
	s_or_b64 exec, exec, s[14:15]
.LBB0_229:                              ;   in Loop: Header=BB0_167 Depth=1
	s_or_b64 exec, exec, s[12:13]
	global_load_dwordx2 v[32:33], v29, s[6:7] offset:40
	global_load_dwordx4 v[22:25], v29, s[6:7]
	v_readfirstlane_b32 s12, v6
	v_readfirstlane_b32 s13, v7
	s_mov_b64 s[14:15], exec
	s_waitcnt vmcnt(1)
	v_readfirstlane_b32 s16, v32
	v_readfirstlane_b32 s17, v33
	s_and_b64 s[16:17], s[12:13], s[16:17]
	s_mul_i32 s18, s17, 24
	s_mul_hi_u32 s19, s16, 24
	s_mul_i32 s22, s16, 24
	s_add_i32 s18, s19, s18
	v_mov_b32_e32 v6, s18
	s_waitcnt vmcnt(0)
	v_add_co_u32_e32 v32, vcc, s22, v22
	v_addc_co_u32_e32 v33, vcc, v23, v6, vcc
	s_and_saveexec_b64 s[18:19], s[4:5]
	s_cbranch_execz .LBB0_231
; %bb.230:                              ;   in Loop: Header=BB0_167 Depth=1
	v_mov_b32_e32 v6, s14
	v_mov_b32_e32 v7, s15
	global_store_dwordx4 v[32:33], v[6:9], off offset:8
.LBB0_231:                              ;   in Loop: Header=BB0_167 Depth=1
	s_or_b64 exec, exec, s[18:19]
	s_lshl_b64 s[14:15], s[16:17], 12
	v_mov_b32_e32 v6, s15
	v_add_co_u32_e32 v24, vcc, s14, v24
	v_addc_co_u32_e32 v25, vcc, v25, v6, vcc
	v_cmp_lt_u64_e32 vcc, 56, v[26:27]
	v_or_b32_e32 v6, 2, v2
	v_cndmask_b32_e32 v2, v6, v2, vcc
	v_lshl_add_u32 v6, v30, 2, 28
	v_and_b32_e32 v6, 0x1e0, v6
	v_and_or_b32 v2, v2, s21, v6
	v_readfirstlane_b32 s14, v24
	v_readfirstlane_b32 s15, v25
	s_nop 4
	global_store_dwordx4 v34, v[2:5], s[14:15]
	global_store_dwordx4 v34, v[10:13], s[14:15] offset:16
	global_store_dwordx4 v34, v[14:17], s[14:15] offset:32
	;; [unrolled: 1-line block ×3, first 2 shown]
	s_and_saveexec_b64 s[14:15], s[4:5]
	s_cbranch_execz .LBB0_239
; %bb.232:                              ;   in Loop: Header=BB0_167 Depth=1
	global_load_dwordx2 v[12:13], v29, s[6:7] offset:32 glc
	global_load_dwordx2 v[2:3], v29, s[6:7] offset:40
	v_mov_b32_e32 v10, s12
	v_mov_b32_e32 v11, s13
	s_waitcnt vmcnt(0)
	v_readfirstlane_b32 s16, v2
	v_readfirstlane_b32 s17, v3
	s_and_b64 s[16:17], s[16:17], s[12:13]
	s_mul_i32 s17, s17, 24
	s_mul_hi_u32 s18, s16, 24
	s_mul_i32 s16, s16, 24
	s_add_i32 s17, s18, s17
	v_mov_b32_e32 v2, s17
	v_add_co_u32_e32 v6, vcc, s16, v22
	v_addc_co_u32_e32 v7, vcc, v23, v2, vcc
	global_store_dwordx2 v[6:7], v[12:13], off
	s_waitcnt vmcnt(0)
	global_atomic_cmpswap_x2 v[4:5], v29, v[10:13], s[6:7] offset:32 glc
	s_waitcnt vmcnt(0)
	v_cmp_ne_u64_e32 vcc, v[4:5], v[12:13]
	s_and_saveexec_b64 s[16:17], vcc
	s_cbranch_execz .LBB0_235
; %bb.233:                              ;   in Loop: Header=BB0_167 Depth=1
	s_mov_b64 s[18:19], 0
.LBB0_234:                              ;   Parent Loop BB0_167 Depth=1
                                        ; =>  This Inner Loop Header: Depth=2
	s_sleep 1
	global_store_dwordx2 v[6:7], v[4:5], off
	v_mov_b32_e32 v2, s12
	v_mov_b32_e32 v3, s13
	s_waitcnt vmcnt(0)
	global_atomic_cmpswap_x2 v[2:3], v29, v[2:5], s[6:7] offset:32 glc
	s_waitcnt vmcnt(0)
	v_cmp_eq_u64_e32 vcc, v[2:3], v[4:5]
	v_mov_b32_e32 v5, v3
	s_or_b64 s[18:19], vcc, s[18:19]
	v_mov_b32_e32 v4, v2
	s_andn2_b64 exec, exec, s[18:19]
	s_cbranch_execnz .LBB0_234
.LBB0_235:                              ;   in Loop: Header=BB0_167 Depth=1
	s_or_b64 exec, exec, s[16:17]
	global_load_dwordx2 v[2:3], v29, s[6:7] offset:16
	s_mov_b64 s[18:19], exec
	v_mbcnt_lo_u32_b32 v4, s18, 0
	v_mbcnt_hi_u32_b32 v4, s19, v4
	v_cmp_eq_u32_e32 vcc, 0, v4
	s_and_saveexec_b64 s[16:17], vcc
	s_cbranch_execz .LBB0_237
; %bb.236:                              ;   in Loop: Header=BB0_167 Depth=1
	s_bcnt1_i32_b64 s18, s[18:19]
	v_mov_b32_e32 v28, s18
	s_waitcnt vmcnt(0)
	global_atomic_add_x2 v[2:3], v[28:29], off offset:8
.LBB0_237:                              ;   in Loop: Header=BB0_167 Depth=1
	s_or_b64 exec, exec, s[16:17]
	s_waitcnt vmcnt(0)
	global_load_dwordx2 v[4:5], v[2:3], off offset:16
	s_waitcnt vmcnt(0)
	v_cmp_eq_u64_e32 vcc, 0, v[4:5]
	s_cbranch_vccnz .LBB0_239
; %bb.238:                              ;   in Loop: Header=BB0_167 Depth=1
	global_load_dword v28, v[2:3], off offset:24
	s_waitcnt vmcnt(0)
	v_and_b32_e32 v2, 0xffffff, v28
	v_readfirstlane_b32 m0, v2
	global_store_dwordx2 v[4:5], v[28:29], off
	s_sendmsg sendmsg(MSG_INTERRUPT)
.LBB0_239:                              ;   in Loop: Header=BB0_167 Depth=1
	s_or_b64 exec, exec, s[14:15]
	v_add_co_u32_e32 v2, vcc, v24, v34
	v_addc_co_u32_e32 v3, vcc, 0, v25, vcc
	s_branch .LBB0_243
.LBB0_240:                              ;   in Loop: Header=BB0_243 Depth=2
	s_or_b64 exec, exec, s[14:15]
	v_readfirstlane_b32 s14, v4
	s_cmp_eq_u32 s14, 0
	s_cbranch_scc1 .LBB0_242
; %bb.241:                              ;   in Loop: Header=BB0_243 Depth=2
	s_sleep 1
	s_cbranch_execnz .LBB0_243
	s_branch .LBB0_245
.LBB0_242:                              ;   in Loop: Header=BB0_167 Depth=1
	s_branch .LBB0_245
.LBB0_243:                              ;   Parent Loop BB0_167 Depth=1
                                        ; =>  This Inner Loop Header: Depth=2
	v_mov_b32_e32 v4, 1
	s_and_saveexec_b64 s[14:15], s[4:5]
	s_cbranch_execz .LBB0_240
; %bb.244:                              ;   in Loop: Header=BB0_243 Depth=2
	global_load_dword v4, v[32:33], off offset:20 glc
	s_waitcnt vmcnt(0)
	buffer_wbinvl1_vol
	v_and_b32_e32 v4, 1, v4
	s_branch .LBB0_240
.LBB0_245:                              ;   in Loop: Header=BB0_167 Depth=1
	global_load_dwordx4 v[2:5], v[2:3], off
	s_and_saveexec_b64 s[14:15], s[4:5]
	s_cbranch_execz .LBB0_166
; %bb.246:                              ;   in Loop: Header=BB0_167 Depth=1
	global_load_dwordx2 v[6:7], v29, s[6:7] offset:40
	global_load_dwordx2 v[12:13], v29, s[6:7] offset:24 glc
	global_load_dwordx2 v[10:11], v29, s[6:7]
	s_waitcnt vmcnt(3)
	v_mov_b32_e32 v5, s13
	s_waitcnt vmcnt(2)
	v_add_co_u32_e32 v14, vcc, 1, v6
	v_addc_co_u32_e32 v15, vcc, 0, v7, vcc
	v_add_co_u32_e32 v4, vcc, s12, v14
	v_addc_co_u32_e32 v5, vcc, v15, v5, vcc
	v_cmp_eq_u64_e32 vcc, 0, v[4:5]
	v_cndmask_b32_e32 v5, v5, v15, vcc
	v_cndmask_b32_e32 v4, v4, v14, vcc
	v_and_b32_e32 v7, v5, v7
	v_and_b32_e32 v6, v4, v6
	v_mul_lo_u32 v7, v7, 24
	v_mul_hi_u32 v14, v6, 24
	v_mul_lo_u32 v15, v6, 24
	s_waitcnt vmcnt(1)
	v_mov_b32_e32 v6, v12
	v_add_u32_e32 v7, v14, v7
	s_waitcnt vmcnt(0)
	v_add_co_u32_e32 v10, vcc, v10, v15
	v_addc_co_u32_e32 v11, vcc, v11, v7, vcc
	global_store_dwordx2 v[10:11], v[12:13], off
	v_mov_b32_e32 v7, v13
	s_waitcnt vmcnt(0)
	global_atomic_cmpswap_x2 v[6:7], v29, v[4:7], s[6:7] offset:24 glc
	s_waitcnt vmcnt(0)
	v_cmp_ne_u64_e32 vcc, v[6:7], v[12:13]
	s_and_b64 exec, exec, vcc
	s_cbranch_execz .LBB0_166
; %bb.247:                              ;   in Loop: Header=BB0_167 Depth=1
	s_mov_b64 s[4:5], 0
.LBB0_248:                              ;   Parent Loop BB0_167 Depth=1
                                        ; =>  This Inner Loop Header: Depth=2
	s_sleep 1
	global_store_dwordx2 v[10:11], v[6:7], off
	s_waitcnt vmcnt(0)
	global_atomic_cmpswap_x2 v[12:13], v29, v[4:7], s[6:7] offset:24 glc
	s_waitcnt vmcnt(0)
	v_cmp_eq_u64_e32 vcc, v[12:13], v[6:7]
	v_mov_b32_e32 v6, v12
	s_or_b64 s[4:5], vcc, s[4:5]
	v_mov_b32_e32 v7, v13
	s_andn2_b64 exec, exec, s[4:5]
	s_cbranch_execnz .LBB0_248
	s_branch .LBB0_166
.LBB0_249:
	s_and_saveexec_b64 s[12:13], s[4:5]
	s_cbranch_execz .LBB0_252
; %bb.250:
	v_mov_b32_e32 v6, 0
	global_load_dwordx2 v[2:3], v6, s[6:7] offset:40
	global_load_dwordx2 v[7:8], v6, s[6:7] offset:24 glc
	global_load_dwordx2 v[4:5], v6, s[6:7]
	v_mov_b32_e32 v1, s11
	s_mov_b64 s[4:5], 0
	s_waitcnt vmcnt(2)
	v_add_co_u32_e32 v9, vcc, 1, v2
	v_addc_co_u32_e32 v10, vcc, 0, v3, vcc
	v_add_co_u32_e32 v0, vcc, s10, v9
	v_addc_co_u32_e32 v1, vcc, v10, v1, vcc
	v_cmp_eq_u64_e32 vcc, 0, v[0:1]
	v_cndmask_b32_e32 v1, v1, v10, vcc
	v_cndmask_b32_e32 v0, v0, v9, vcc
	v_and_b32_e32 v3, v1, v3
	v_and_b32_e32 v2, v0, v2
	v_mul_lo_u32 v3, v3, 24
	v_mul_hi_u32 v9, v2, 24
	v_mul_lo_u32 v10, v2, 24
	s_waitcnt vmcnt(1)
	v_mov_b32_e32 v2, v7
	v_add_u32_e32 v3, v9, v3
	s_waitcnt vmcnt(0)
	v_add_co_u32_e32 v4, vcc, v4, v10
	v_addc_co_u32_e32 v5, vcc, v5, v3, vcc
	global_store_dwordx2 v[4:5], v[7:8], off
	v_mov_b32_e32 v3, v8
	s_waitcnt vmcnt(0)
	global_atomic_cmpswap_x2 v[2:3], v6, v[0:3], s[6:7] offset:24 glc
	s_waitcnt vmcnt(0)
	v_cmp_ne_u64_e32 vcc, v[2:3], v[7:8]
	s_and_b64 exec, exec, vcc
	s_cbranch_execz .LBB0_252
.LBB0_251:                              ; =>This Inner Loop Header: Depth=1
	s_sleep 1
	global_store_dwordx2 v[4:5], v[2:3], off
	s_waitcnt vmcnt(0)
	global_atomic_cmpswap_x2 v[7:8], v6, v[0:3], s[6:7] offset:24 glc
	s_waitcnt vmcnt(0)
	v_cmp_eq_u64_e32 vcc, v[7:8], v[2:3]
	v_mov_b32_e32 v2, v7
	s_or_b64 s[4:5], vcc, s[4:5]
	v_mov_b32_e32 v3, v8
	s_andn2_b64 exec, exec, s[4:5]
	s_cbranch_execnz .LBB0_251
.LBB0_252:
	s_or_b64 exec, exec, s[12:13]
	s_or_b64 exec, exec, s[8:9]
	s_waitcnt vmcnt(0) lgkmcnt(0)
	s_setpc_b64 s[30:31]
.LBB0_253:
	s_or_b64 exec, exec, s[10:11]
                                        ; implicit-def: $vgpr2_vgpr3
                                        ; implicit-def: $vgpr34
                                        ; implicit-def: $vgpr35
	s_andn2_saveexec_b64 s[8:9], s[8:9]
	s_cbranch_execnz .LBB0_140
.LBB0_254:
	s_or_b64 exec, exec, s[8:9]
	s_waitcnt vmcnt(0) lgkmcnt(0)
	s_setpc_b64 s[30:31]
.Lfunc_end0:
	.size	_ZNK8migraphx13basic_printerIZNS_4coutEvEUlT_E_ElsEPKc, .Lfunc_end0-_ZNK8migraphx13basic_printerIZNS_4coutEvEUlT_E_ElsEPKc
                                        ; -- End function
	.section	.AMDGPU.csdata,"",@progbits
; Function info:
; codeLenInByte = 8900
; NumSgprs: 36
; NumVgprs: 36
; ScratchSize: 0
; MemoryBound: 0
	.text
	.p2align	2                               ; -- Begin function _ZN8migraphx4testlsIKNS_13basic_printerIZNS_4coutEvEUlT_E_EEEERS3_S7_RKNS0_14lhs_expressionIbNS0_3nopEEE
	.type	_ZN8migraphx4testlsIKNS_13basic_printerIZNS_4coutEvEUlT_E_EEEERS3_S7_RKNS0_14lhs_expressionIbNS0_3nopEEE,@function
_ZN8migraphx4testlsIKNS_13basic_printerIZNS_4coutEvEUlT_E_EEEERS3_S7_RKNS0_14lhs_expressionIbNS0_3nopEEE: ; @_ZN8migraphx4testlsIKNS_13basic_printerIZNS_4coutEvEUlT_E_EEEERS3_S7_RKNS0_14lhs_expressionIbNS0_3nopEEE
; %bb.0:
	s_waitcnt vmcnt(0) expcnt(0) lgkmcnt(0)
	s_load_dwordx2 s[6:7], s[8:9], 0x50
	v_and_b32_e32 v0, 1, v0
	v_cmp_eq_u32_e32 vcc, 1, v0
	v_mbcnt_lo_u32_b32 v0, -1, 0
	s_xor_b64 s[4:5], vcc, -1
	v_mbcnt_hi_u32_b32 v29, -1, v0
	s_and_saveexec_b64 s[8:9], s[4:5]
	s_xor_b64 s[8:9], exec, s[8:9]
	s_cbranch_execz .LBB1_111
; %bb.1:
	v_readfirstlane_b32 s4, v29
	v_mov_b32_e32 v5, 0
	v_mov_b32_e32 v6, 0
	v_cmp_eq_u32_e64 s[4:5], s4, v29
	s_and_saveexec_b64 s[10:11], s[4:5]
	s_cbranch_execz .LBB1_7
; %bb.2:
	v_mov_b32_e32 v0, 0
	s_waitcnt lgkmcnt(0)
	global_load_dwordx2 v[3:4], v0, s[6:7] offset:24 glc
	s_waitcnt vmcnt(0)
	buffer_wbinvl1_vol
	global_load_dwordx2 v[1:2], v0, s[6:7] offset:40
	global_load_dwordx2 v[5:6], v0, s[6:7]
	s_waitcnt vmcnt(1)
	v_and_b32_e32 v1, v1, v3
	v_and_b32_e32 v2, v2, v4
	v_mul_lo_u32 v2, v2, 24
	v_mul_hi_u32 v7, v1, 24
	v_mul_lo_u32 v1, v1, 24
	v_add_u32_e32 v2, v7, v2
	s_waitcnt vmcnt(0)
	v_add_co_u32_e32 v1, vcc, v5, v1
	v_addc_co_u32_e32 v2, vcc, v6, v2, vcc
	global_load_dwordx2 v[1:2], v[1:2], off glc
	s_waitcnt vmcnt(0)
	global_atomic_cmpswap_x2 v[5:6], v0, v[1:4], s[6:7] offset:24 glc
	s_waitcnt vmcnt(0)
	buffer_wbinvl1_vol
	v_cmp_ne_u64_e32 vcc, v[5:6], v[3:4]
	s_and_saveexec_b64 s[12:13], vcc
	s_cbranch_execz .LBB1_6
; %bb.3:
	s_mov_b64 s[14:15], 0
.LBB1_4:                                ; =>This Inner Loop Header: Depth=1
	s_sleep 1
	global_load_dwordx2 v[1:2], v0, s[6:7] offset:40
	global_load_dwordx2 v[7:8], v0, s[6:7]
	v_mov_b32_e32 v3, v5
	v_mov_b32_e32 v4, v6
	s_waitcnt vmcnt(1)
	v_and_b32_e32 v1, v1, v3
	s_waitcnt vmcnt(0)
	v_mad_u64_u32 v[5:6], s[16:17], v1, 24, v[7:8]
	v_and_b32_e32 v2, v2, v4
	v_mov_b32_e32 v1, v6
	v_mad_u64_u32 v[1:2], s[16:17], v2, 24, v[1:2]
	v_mov_b32_e32 v6, v1
	global_load_dwordx2 v[1:2], v[5:6], off glc
	s_waitcnt vmcnt(0)
	global_atomic_cmpswap_x2 v[5:6], v0, v[1:4], s[6:7] offset:24 glc
	s_waitcnt vmcnt(0)
	buffer_wbinvl1_vol
	v_cmp_eq_u64_e32 vcc, v[5:6], v[3:4]
	s_or_b64 s[14:15], vcc, s[14:15]
	s_andn2_b64 exec, exec, s[14:15]
	s_cbranch_execnz .LBB1_4
; %bb.5:
	s_or_b64 exec, exec, s[14:15]
.LBB1_6:
	s_or_b64 exec, exec, s[12:13]
.LBB1_7:
	s_or_b64 exec, exec, s[10:11]
	v_mov_b32_e32 v4, 0
	s_waitcnt lgkmcnt(0)
	global_load_dwordx2 v[7:8], v4, s[6:7] offset:40
	global_load_dwordx4 v[0:3], v4, s[6:7]
	v_readfirstlane_b32 s10, v5
	v_readfirstlane_b32 s11, v6
	s_mov_b64 s[12:13], exec
	s_waitcnt vmcnt(1)
	v_readfirstlane_b32 s14, v7
	v_readfirstlane_b32 s15, v8
	s_and_b64 s[14:15], s[10:11], s[14:15]
	s_mul_i32 s16, s15, 24
	s_mul_hi_u32 s17, s14, 24
	s_mul_i32 s18, s14, 24
	s_add_i32 s16, s17, s16
	v_mov_b32_e32 v5, s16
	s_waitcnt vmcnt(0)
	v_add_co_u32_e32 v7, vcc, s18, v0
	v_addc_co_u32_e32 v8, vcc, v1, v5, vcc
	s_and_saveexec_b64 s[16:17], s[4:5]
	s_cbranch_execz .LBB1_9
; %bb.8:
	v_mov_b32_e32 v9, s12
	v_mov_b32_e32 v10, s13
	;; [unrolled: 1-line block ×4, first 2 shown]
	global_store_dwordx4 v[7:8], v[9:12], off offset:8
.LBB1_9:
	s_or_b64 exec, exec, s[16:17]
	s_lshl_b64 s[12:13], s[14:15], 12
	v_mov_b32_e32 v5, s13
	v_add_co_u32_e32 v2, vcc, s12, v2
	v_addc_co_u32_e32 v11, vcc, v3, v5, vcc
	s_mov_b32 s12, 0
	v_lshlrev_b32_e32 v30, 6, v29
	v_mov_b32_e32 v3, 33
	v_mov_b32_e32 v5, v4
	;; [unrolled: 1-line block ×3, first 2 shown]
	v_readfirstlane_b32 s16, v2
	v_readfirstlane_b32 s17, v11
	v_add_co_u32_e32 v9, vcc, v2, v30
	s_mov_b32 s13, s12
	s_mov_b32 s14, s12
	s_mov_b32 s15, s12
	s_nop 0
	global_store_dwordx4 v30, v[3:6], s[16:17]
	v_mov_b32_e32 v2, s12
	v_addc_co_u32_e32 v10, vcc, 0, v11, vcc
	v_mov_b32_e32 v3, s13
	v_mov_b32_e32 v4, s14
	;; [unrolled: 1-line block ×3, first 2 shown]
	global_store_dwordx4 v30, v[2:5], s[16:17] offset:16
	global_store_dwordx4 v30, v[2:5], s[16:17] offset:32
	;; [unrolled: 1-line block ×3, first 2 shown]
	s_and_saveexec_b64 s[12:13], s[4:5]
	s_cbranch_execz .LBB1_17
; %bb.10:
	v_mov_b32_e32 v6, 0
	global_load_dwordx2 v[13:14], v6, s[6:7] offset:32 glc
	global_load_dwordx2 v[2:3], v6, s[6:7] offset:40
	v_mov_b32_e32 v11, s10
	v_mov_b32_e32 v12, s11
	s_waitcnt vmcnt(0)
	v_and_b32_e32 v2, s10, v2
	v_and_b32_e32 v3, s11, v3
	v_mul_lo_u32 v3, v3, 24
	v_mul_hi_u32 v4, v2, 24
	v_mul_lo_u32 v2, v2, 24
	v_add_u32_e32 v3, v4, v3
	v_add_co_u32_e32 v4, vcc, v0, v2
	v_addc_co_u32_e32 v5, vcc, v1, v3, vcc
	global_store_dwordx2 v[4:5], v[13:14], off
	s_waitcnt vmcnt(0)
	global_atomic_cmpswap_x2 v[2:3], v6, v[11:14], s[6:7] offset:32 glc
	s_waitcnt vmcnt(0)
	v_cmp_ne_u64_e32 vcc, v[2:3], v[13:14]
	s_and_saveexec_b64 s[14:15], vcc
	s_cbranch_execz .LBB1_13
; %bb.11:
	s_mov_b64 s[16:17], 0
.LBB1_12:                               ; =>This Inner Loop Header: Depth=1
	s_sleep 1
	global_store_dwordx2 v[4:5], v[2:3], off
	v_mov_b32_e32 v0, s10
	v_mov_b32_e32 v1, s11
	s_waitcnt vmcnt(0)
	global_atomic_cmpswap_x2 v[0:1], v6, v[0:3], s[6:7] offset:32 glc
	s_waitcnt vmcnt(0)
	v_cmp_eq_u64_e32 vcc, v[0:1], v[2:3]
	v_mov_b32_e32 v3, v1
	s_or_b64 s[16:17], vcc, s[16:17]
	v_mov_b32_e32 v2, v0
	s_andn2_b64 exec, exec, s[16:17]
	s_cbranch_execnz .LBB1_12
.LBB1_13:
	s_or_b64 exec, exec, s[14:15]
	v_mov_b32_e32 v3, 0
	global_load_dwordx2 v[0:1], v3, s[6:7] offset:16
	s_mov_b64 s[14:15], exec
	v_mbcnt_lo_u32_b32 v2, s14, 0
	v_mbcnt_hi_u32_b32 v2, s15, v2
	v_cmp_eq_u32_e32 vcc, 0, v2
	s_and_saveexec_b64 s[16:17], vcc
	s_cbranch_execz .LBB1_15
; %bb.14:
	s_bcnt1_i32_b64 s14, s[14:15]
	v_mov_b32_e32 v2, s14
	s_waitcnt vmcnt(0)
	global_atomic_add_x2 v[0:1], v[2:3], off offset:8
.LBB1_15:
	s_or_b64 exec, exec, s[16:17]
	s_waitcnt vmcnt(0)
	global_load_dwordx2 v[2:3], v[0:1], off offset:16
	s_waitcnt vmcnt(0)
	v_cmp_eq_u64_e32 vcc, 0, v[2:3]
	s_cbranch_vccnz .LBB1_17
; %bb.16:
	global_load_dword v0, v[0:1], off offset:24
	v_mov_b32_e32 v1, 0
	s_waitcnt vmcnt(0)
	global_store_dwordx2 v[2:3], v[0:1], off
	v_and_b32_e32 v0, 0xffffff, v0
	v_readfirstlane_b32 m0, v0
	s_sendmsg sendmsg(MSG_INTERRUPT)
.LBB1_17:
	s_or_b64 exec, exec, s[12:13]
	s_branch .LBB1_21
.LBB1_18:                               ;   in Loop: Header=BB1_21 Depth=1
	s_or_b64 exec, exec, s[12:13]
	v_readfirstlane_b32 s12, v0
	s_cmp_eq_u32 s12, 0
	s_cbranch_scc1 .LBB1_20
; %bb.19:                               ;   in Loop: Header=BB1_21 Depth=1
	s_sleep 1
	s_cbranch_execnz .LBB1_21
	s_branch .LBB1_23
.LBB1_20:
	s_branch .LBB1_23
.LBB1_21:                               ; =>This Inner Loop Header: Depth=1
	v_mov_b32_e32 v0, 1
	s_and_saveexec_b64 s[12:13], s[4:5]
	s_cbranch_execz .LBB1_18
; %bb.22:                               ;   in Loop: Header=BB1_21 Depth=1
	global_load_dword v0, v[7:8], off offset:20 glc
	s_waitcnt vmcnt(0)
	buffer_wbinvl1_vol
	v_and_b32_e32 v0, 1, v0
	s_branch .LBB1_18
.LBB1_23:
	global_load_dwordx2 v[0:1], v[9:10], off
	s_and_saveexec_b64 s[12:13], s[4:5]
	s_cbranch_execz .LBB1_26
; %bb.24:
	v_mov_b32_e32 v8, 0
	global_load_dwordx2 v[4:5], v8, s[6:7] offset:40
	global_load_dwordx2 v[9:10], v8, s[6:7] offset:24 glc
	global_load_dwordx2 v[6:7], v8, s[6:7]
	v_mov_b32_e32 v3, s11
	s_mov_b64 s[4:5], 0
	s_waitcnt vmcnt(2)
	v_add_co_u32_e32 v11, vcc, 1, v4
	v_addc_co_u32_e32 v12, vcc, 0, v5, vcc
	v_add_co_u32_e32 v2, vcc, s10, v11
	v_addc_co_u32_e32 v3, vcc, v12, v3, vcc
	v_cmp_eq_u64_e32 vcc, 0, v[2:3]
	v_cndmask_b32_e32 v3, v3, v12, vcc
	v_cndmask_b32_e32 v2, v2, v11, vcc
	v_and_b32_e32 v5, v3, v5
	v_and_b32_e32 v4, v2, v4
	v_mul_lo_u32 v5, v5, 24
	v_mul_hi_u32 v11, v4, 24
	v_mul_lo_u32 v12, v4, 24
	s_waitcnt vmcnt(1)
	v_mov_b32_e32 v4, v9
	v_add_u32_e32 v5, v11, v5
	s_waitcnt vmcnt(0)
	v_add_co_u32_e32 v6, vcc, v6, v12
	v_addc_co_u32_e32 v7, vcc, v7, v5, vcc
	global_store_dwordx2 v[6:7], v[9:10], off
	v_mov_b32_e32 v5, v10
	s_waitcnt vmcnt(0)
	global_atomic_cmpswap_x2 v[4:5], v8, v[2:5], s[6:7] offset:24 glc
	s_waitcnt vmcnt(0)
	v_cmp_ne_u64_e32 vcc, v[4:5], v[9:10]
	s_and_b64 exec, exec, vcc
	s_cbranch_execz .LBB1_26
.LBB1_25:                               ; =>This Inner Loop Header: Depth=1
	s_sleep 1
	global_store_dwordx2 v[6:7], v[4:5], off
	s_waitcnt vmcnt(0)
	global_atomic_cmpswap_x2 v[9:10], v8, v[2:5], s[6:7] offset:24 glc
	s_waitcnt vmcnt(0)
	v_cmp_eq_u64_e32 vcc, v[9:10], v[4:5]
	v_mov_b32_e32 v4, v9
	s_or_b64 s[4:5], vcc, s[4:5]
	v_mov_b32_e32 v5, v10
	s_andn2_b64 exec, exec, s[4:5]
	s_cbranch_execnz .LBB1_25
.LBB1_26:
	s_or_b64 exec, exec, s[12:13]
	s_getpc_b64 s[10:11]
	s_add_u32 s10, s10, .str.13@rel32@lo+4
	s_addc_u32 s11, s11, .str.13@rel32@hi+12
	s_cmp_lg_u64 s[10:11], 0
	s_cbranch_scc0 .LBB1_222
; %bb.27:
	s_waitcnt vmcnt(0)
	v_and_b32_e32 v6, -3, v0
	v_mov_b32_e32 v7, v1
	s_mov_b64 s[12:13], 6
	v_mov_b32_e32 v26, 0
	v_mov_b32_e32 v4, 2
	;; [unrolled: 1-line block ×3, first 2 shown]
	s_branch .LBB1_29
.LBB1_28:                               ;   in Loop: Header=BB1_29 Depth=1
	s_or_b64 exec, exec, s[18:19]
	s_sub_u32 s12, s12, s14
	s_subb_u32 s13, s13, s15
	s_add_u32 s10, s10, s14
	s_addc_u32 s11, s11, s15
	s_cmp_lg_u64 s[12:13], 0
	s_cbranch_scc0 .LBB1_110
.LBB1_29:                               ; =>This Loop Header: Depth=1
                                        ;     Child Loop BB1_32 Depth 2
                                        ;     Child Loop BB1_39 Depth 2
	;; [unrolled: 1-line block ×11, first 2 shown]
	v_cmp_lt_u64_e64 s[4:5], s[12:13], 56
	v_cmp_gt_u64_e64 s[16:17], s[12:13], 7
	s_and_b64 s[4:5], s[4:5], exec
	s_cselect_b32 s15, s13, 0
	s_cselect_b32 s14, s12, 56
	s_and_b64 vcc, exec, s[16:17]
	s_cbranch_vccnz .LBB1_34
; %bb.30:                               ;   in Loop: Header=BB1_29 Depth=1
	s_waitcnt vmcnt(0)
	v_mov_b32_e32 v8, 0
	s_cmp_eq_u64 s[12:13], 0
	v_mov_b32_e32 v9, 0
	s_mov_b64 s[4:5], 0
	s_cbranch_scc1 .LBB1_33
; %bb.31:                               ;   in Loop: Header=BB1_29 Depth=1
	v_mov_b32_e32 v8, 0
	s_lshl_b64 s[16:17], s[14:15], 3
	s_mov_b64 s[18:19], 0
	v_mov_b32_e32 v9, 0
	s_mov_b64 s[20:21], s[10:11]
.LBB1_32:                               ;   Parent Loop BB1_29 Depth=1
                                        ; =>  This Inner Loop Header: Depth=2
	global_load_ubyte v2, v26, s[20:21]
	s_waitcnt vmcnt(0)
	v_and_b32_e32 v25, 0xffff, v2
	v_lshlrev_b64 v[2:3], s18, v[25:26]
	s_add_u32 s18, s18, 8
	s_addc_u32 s19, s19, 0
	s_add_u32 s20, s20, 1
	s_addc_u32 s21, s21, 0
	v_or_b32_e32 v8, v2, v8
	s_cmp_lg_u32 s16, s18
	v_or_b32_e32 v9, v3, v9
	s_cbranch_scc1 .LBB1_32
.LBB1_33:                               ;   in Loop: Header=BB1_29 Depth=1
	s_mov_b32 s20, 0
	s_andn2_b64 vcc, exec, s[4:5]
	s_mov_b64 s[4:5], s[10:11]
	s_cbranch_vccz .LBB1_35
	s_branch .LBB1_36
.LBB1_34:                               ;   in Loop: Header=BB1_29 Depth=1
                                        ; implicit-def: $sgpr20
	s_mov_b64 s[4:5], s[10:11]
.LBB1_35:                               ;   in Loop: Header=BB1_29 Depth=1
	global_load_dwordx2 v[8:9], v26, s[10:11]
	s_add_i32 s20, s14, -8
	s_add_u32 s4, s10, 8
	s_addc_u32 s5, s11, 0
.LBB1_36:                               ;   in Loop: Header=BB1_29 Depth=1
	s_cmp_gt_u32 s20, 7
	s_cbranch_scc1 .LBB1_40
; %bb.37:                               ;   in Loop: Header=BB1_29 Depth=1
	s_cmp_eq_u32 s20, 0
	s_cbranch_scc1 .LBB1_41
; %bb.38:                               ;   in Loop: Header=BB1_29 Depth=1
	v_mov_b32_e32 v10, 0
	s_mov_b64 s[16:17], 0
	v_mov_b32_e32 v11, 0
	s_mov_b64 s[18:19], 0
.LBB1_39:                               ;   Parent Loop BB1_29 Depth=1
                                        ; =>  This Inner Loop Header: Depth=2
	s_add_u32 s22, s4, s18
	s_addc_u32 s23, s5, s19
	global_load_ubyte v2, v26, s[22:23]
	s_add_u32 s18, s18, 1
	s_addc_u32 s19, s19, 0
	s_waitcnt vmcnt(0)
	v_and_b32_e32 v25, 0xffff, v2
	v_lshlrev_b64 v[2:3], s16, v[25:26]
	s_add_u32 s16, s16, 8
	s_addc_u32 s17, s17, 0
	v_or_b32_e32 v10, v2, v10
	s_cmp_lg_u32 s20, s18
	v_or_b32_e32 v11, v3, v11
	s_cbranch_scc1 .LBB1_39
	s_branch .LBB1_42
.LBB1_40:                               ;   in Loop: Header=BB1_29 Depth=1
                                        ; implicit-def: $vgpr10_vgpr11
                                        ; implicit-def: $sgpr21
	s_branch .LBB1_43
.LBB1_41:                               ;   in Loop: Header=BB1_29 Depth=1
	v_mov_b32_e32 v10, 0
	v_mov_b32_e32 v11, 0
.LBB1_42:                               ;   in Loop: Header=BB1_29 Depth=1
	s_mov_b32 s21, 0
	s_cbranch_execnz .LBB1_44
.LBB1_43:                               ;   in Loop: Header=BB1_29 Depth=1
	global_load_dwordx2 v[10:11], v26, s[4:5]
	s_add_i32 s21, s20, -8
	s_add_u32 s4, s4, 8
	s_addc_u32 s5, s5, 0
.LBB1_44:                               ;   in Loop: Header=BB1_29 Depth=1
	s_cmp_gt_u32 s21, 7
	s_cbranch_scc1 .LBB1_48
; %bb.45:                               ;   in Loop: Header=BB1_29 Depth=1
	s_cmp_eq_u32 s21, 0
	s_cbranch_scc1 .LBB1_49
; %bb.46:                               ;   in Loop: Header=BB1_29 Depth=1
	v_mov_b32_e32 v12, 0
	s_mov_b64 s[16:17], 0
	v_mov_b32_e32 v13, 0
	s_mov_b64 s[18:19], 0
.LBB1_47:                               ;   Parent Loop BB1_29 Depth=1
                                        ; =>  This Inner Loop Header: Depth=2
	s_add_u32 s22, s4, s18
	s_addc_u32 s23, s5, s19
	global_load_ubyte v2, v26, s[22:23]
	s_add_u32 s18, s18, 1
	s_addc_u32 s19, s19, 0
	s_waitcnt vmcnt(0)
	v_and_b32_e32 v25, 0xffff, v2
	v_lshlrev_b64 v[2:3], s16, v[25:26]
	s_add_u32 s16, s16, 8
	s_addc_u32 s17, s17, 0
	v_or_b32_e32 v12, v2, v12
	s_cmp_lg_u32 s21, s18
	v_or_b32_e32 v13, v3, v13
	s_cbranch_scc1 .LBB1_47
	s_branch .LBB1_50
.LBB1_48:                               ;   in Loop: Header=BB1_29 Depth=1
                                        ; implicit-def: $sgpr20
	s_branch .LBB1_51
.LBB1_49:                               ;   in Loop: Header=BB1_29 Depth=1
	v_mov_b32_e32 v12, 0
	v_mov_b32_e32 v13, 0
.LBB1_50:                               ;   in Loop: Header=BB1_29 Depth=1
	s_mov_b32 s20, 0
	s_cbranch_execnz .LBB1_52
.LBB1_51:                               ;   in Loop: Header=BB1_29 Depth=1
	global_load_dwordx2 v[12:13], v26, s[4:5]
	s_add_i32 s20, s21, -8
	s_add_u32 s4, s4, 8
	s_addc_u32 s5, s5, 0
.LBB1_52:                               ;   in Loop: Header=BB1_29 Depth=1
	s_cmp_gt_u32 s20, 7
	s_cbranch_scc1 .LBB1_56
; %bb.53:                               ;   in Loop: Header=BB1_29 Depth=1
	s_cmp_eq_u32 s20, 0
	s_cbranch_scc1 .LBB1_57
; %bb.54:                               ;   in Loop: Header=BB1_29 Depth=1
	v_mov_b32_e32 v14, 0
	s_mov_b64 s[16:17], 0
	v_mov_b32_e32 v15, 0
	s_mov_b64 s[18:19], 0
.LBB1_55:                               ;   Parent Loop BB1_29 Depth=1
                                        ; =>  This Inner Loop Header: Depth=2
	s_add_u32 s22, s4, s18
	s_addc_u32 s23, s5, s19
	global_load_ubyte v2, v26, s[22:23]
	s_add_u32 s18, s18, 1
	s_addc_u32 s19, s19, 0
	s_waitcnt vmcnt(0)
	v_and_b32_e32 v25, 0xffff, v2
	v_lshlrev_b64 v[2:3], s16, v[25:26]
	s_add_u32 s16, s16, 8
	s_addc_u32 s17, s17, 0
	v_or_b32_e32 v14, v2, v14
	s_cmp_lg_u32 s20, s18
	v_or_b32_e32 v15, v3, v15
	s_cbranch_scc1 .LBB1_55
	s_branch .LBB1_58
.LBB1_56:                               ;   in Loop: Header=BB1_29 Depth=1
                                        ; implicit-def: $vgpr14_vgpr15
                                        ; implicit-def: $sgpr21
	s_branch .LBB1_59
.LBB1_57:                               ;   in Loop: Header=BB1_29 Depth=1
	v_mov_b32_e32 v14, 0
	v_mov_b32_e32 v15, 0
.LBB1_58:                               ;   in Loop: Header=BB1_29 Depth=1
	s_mov_b32 s21, 0
	s_cbranch_execnz .LBB1_60
.LBB1_59:                               ;   in Loop: Header=BB1_29 Depth=1
	global_load_dwordx2 v[14:15], v26, s[4:5]
	s_add_i32 s21, s20, -8
	s_add_u32 s4, s4, 8
	s_addc_u32 s5, s5, 0
.LBB1_60:                               ;   in Loop: Header=BB1_29 Depth=1
	s_cmp_gt_u32 s21, 7
	s_cbranch_scc1 .LBB1_64
; %bb.61:                               ;   in Loop: Header=BB1_29 Depth=1
	s_cmp_eq_u32 s21, 0
	s_cbranch_scc1 .LBB1_65
; %bb.62:                               ;   in Loop: Header=BB1_29 Depth=1
	v_mov_b32_e32 v16, 0
	s_mov_b64 s[16:17], 0
	v_mov_b32_e32 v17, 0
	s_mov_b64 s[18:19], 0
.LBB1_63:                               ;   Parent Loop BB1_29 Depth=1
                                        ; =>  This Inner Loop Header: Depth=2
	s_add_u32 s22, s4, s18
	s_addc_u32 s23, s5, s19
	global_load_ubyte v2, v26, s[22:23]
	s_add_u32 s18, s18, 1
	s_addc_u32 s19, s19, 0
	s_waitcnt vmcnt(0)
	v_and_b32_e32 v25, 0xffff, v2
	v_lshlrev_b64 v[2:3], s16, v[25:26]
	s_add_u32 s16, s16, 8
	s_addc_u32 s17, s17, 0
	v_or_b32_e32 v16, v2, v16
	s_cmp_lg_u32 s21, s18
	v_or_b32_e32 v17, v3, v17
	s_cbranch_scc1 .LBB1_63
	s_branch .LBB1_66
.LBB1_64:                               ;   in Loop: Header=BB1_29 Depth=1
                                        ; implicit-def: $sgpr20
	s_branch .LBB1_67
.LBB1_65:                               ;   in Loop: Header=BB1_29 Depth=1
	v_mov_b32_e32 v16, 0
	v_mov_b32_e32 v17, 0
.LBB1_66:                               ;   in Loop: Header=BB1_29 Depth=1
	s_mov_b32 s20, 0
	s_cbranch_execnz .LBB1_68
.LBB1_67:                               ;   in Loop: Header=BB1_29 Depth=1
	global_load_dwordx2 v[16:17], v26, s[4:5]
	s_add_i32 s20, s21, -8
	s_add_u32 s4, s4, 8
	s_addc_u32 s5, s5, 0
.LBB1_68:                               ;   in Loop: Header=BB1_29 Depth=1
	s_cmp_gt_u32 s20, 7
	s_cbranch_scc1 .LBB1_72
; %bb.69:                               ;   in Loop: Header=BB1_29 Depth=1
	s_cmp_eq_u32 s20, 0
	s_cbranch_scc1 .LBB1_73
; %bb.70:                               ;   in Loop: Header=BB1_29 Depth=1
	v_mov_b32_e32 v18, 0
	s_mov_b64 s[16:17], 0
	v_mov_b32_e32 v19, 0
	s_mov_b64 s[18:19], 0
.LBB1_71:                               ;   Parent Loop BB1_29 Depth=1
                                        ; =>  This Inner Loop Header: Depth=2
	s_add_u32 s22, s4, s18
	s_addc_u32 s23, s5, s19
	global_load_ubyte v2, v26, s[22:23]
	s_add_u32 s18, s18, 1
	s_addc_u32 s19, s19, 0
	s_waitcnt vmcnt(0)
	v_and_b32_e32 v25, 0xffff, v2
	v_lshlrev_b64 v[2:3], s16, v[25:26]
	s_add_u32 s16, s16, 8
	s_addc_u32 s17, s17, 0
	v_or_b32_e32 v18, v2, v18
	s_cmp_lg_u32 s20, s18
	v_or_b32_e32 v19, v3, v19
	s_cbranch_scc1 .LBB1_71
	s_branch .LBB1_74
.LBB1_72:                               ;   in Loop: Header=BB1_29 Depth=1
                                        ; implicit-def: $vgpr18_vgpr19
                                        ; implicit-def: $sgpr21
	s_branch .LBB1_75
.LBB1_73:                               ;   in Loop: Header=BB1_29 Depth=1
	v_mov_b32_e32 v18, 0
	v_mov_b32_e32 v19, 0
.LBB1_74:                               ;   in Loop: Header=BB1_29 Depth=1
	s_mov_b32 s21, 0
	s_cbranch_execnz .LBB1_76
.LBB1_75:                               ;   in Loop: Header=BB1_29 Depth=1
	global_load_dwordx2 v[18:19], v26, s[4:5]
	s_add_i32 s21, s20, -8
	s_add_u32 s4, s4, 8
	s_addc_u32 s5, s5, 0
.LBB1_76:                               ;   in Loop: Header=BB1_29 Depth=1
	s_cmp_gt_u32 s21, 7
	s_cbranch_scc1 .LBB1_80
; %bb.77:                               ;   in Loop: Header=BB1_29 Depth=1
	s_cmp_eq_u32 s21, 0
	s_cbranch_scc1 .LBB1_81
; %bb.78:                               ;   in Loop: Header=BB1_29 Depth=1
	v_mov_b32_e32 v20, 0
	s_mov_b64 s[16:17], 0
	v_mov_b32_e32 v21, 0
	s_mov_b64 s[18:19], s[4:5]
.LBB1_79:                               ;   Parent Loop BB1_29 Depth=1
                                        ; =>  This Inner Loop Header: Depth=2
	global_load_ubyte v2, v26, s[18:19]
	s_add_i32 s21, s21, -1
	s_waitcnt vmcnt(0)
	v_and_b32_e32 v25, 0xffff, v2
	v_lshlrev_b64 v[2:3], s16, v[25:26]
	s_add_u32 s16, s16, 8
	s_addc_u32 s17, s17, 0
	s_add_u32 s18, s18, 1
	s_addc_u32 s19, s19, 0
	v_or_b32_e32 v20, v2, v20
	s_cmp_lg_u32 s21, 0
	v_or_b32_e32 v21, v3, v21
	s_cbranch_scc1 .LBB1_79
	s_branch .LBB1_82
.LBB1_80:                               ;   in Loop: Header=BB1_29 Depth=1
	s_branch .LBB1_83
.LBB1_81:                               ;   in Loop: Header=BB1_29 Depth=1
	v_mov_b32_e32 v20, 0
	v_mov_b32_e32 v21, 0
.LBB1_82:                               ;   in Loop: Header=BB1_29 Depth=1
	s_cbranch_execnz .LBB1_84
.LBB1_83:                               ;   in Loop: Header=BB1_29 Depth=1
	global_load_dwordx2 v[20:21], v26, s[4:5]
.LBB1_84:                               ;   in Loop: Header=BB1_29 Depth=1
	v_readfirstlane_b32 s4, v29
	v_mov_b32_e32 v2, 0
	v_mov_b32_e32 v3, 0
	v_cmp_eq_u32_e64 s[4:5], s4, v29
	s_and_saveexec_b64 s[16:17], s[4:5]
	s_cbranch_execz .LBB1_90
; %bb.85:                               ;   in Loop: Header=BB1_29 Depth=1
	global_load_dwordx2 v[24:25], v26, s[6:7] offset:24 glc
	s_waitcnt vmcnt(0)
	buffer_wbinvl1_vol
	global_load_dwordx2 v[2:3], v26, s[6:7] offset:40
	global_load_dwordx2 v[22:23], v26, s[6:7]
	s_waitcnt vmcnt(1)
	v_and_b32_e32 v2, v2, v24
	v_and_b32_e32 v3, v3, v25
	v_mul_lo_u32 v3, v3, 24
	v_mul_hi_u32 v27, v2, 24
	v_mul_lo_u32 v2, v2, 24
	v_add_u32_e32 v3, v27, v3
	s_waitcnt vmcnt(0)
	v_add_co_u32_e32 v2, vcc, v22, v2
	v_addc_co_u32_e32 v3, vcc, v23, v3, vcc
	global_load_dwordx2 v[22:23], v[2:3], off glc
	s_waitcnt vmcnt(0)
	global_atomic_cmpswap_x2 v[2:3], v26, v[22:25], s[6:7] offset:24 glc
	s_waitcnt vmcnt(0)
	buffer_wbinvl1_vol
	v_cmp_ne_u64_e32 vcc, v[2:3], v[24:25]
	s_and_saveexec_b64 s[18:19], vcc
	s_cbranch_execz .LBB1_89
; %bb.86:                               ;   in Loop: Header=BB1_29 Depth=1
	s_mov_b64 s[20:21], 0
.LBB1_87:                               ;   Parent Loop BB1_29 Depth=1
                                        ; =>  This Inner Loop Header: Depth=2
	s_sleep 1
	global_load_dwordx2 v[22:23], v26, s[6:7] offset:40
	global_load_dwordx2 v[27:28], v26, s[6:7]
	v_mov_b32_e32 v25, v3
	v_mov_b32_e32 v24, v2
	s_waitcnt vmcnt(1)
	v_and_b32_e32 v2, v22, v24
	s_waitcnt vmcnt(0)
	v_mad_u64_u32 v[2:3], s[22:23], v2, 24, v[27:28]
	v_and_b32_e32 v22, v23, v25
	v_mad_u64_u32 v[22:23], s[22:23], v22, 24, v[3:4]
	v_mov_b32_e32 v3, v22
	global_load_dwordx2 v[22:23], v[2:3], off glc
	s_waitcnt vmcnt(0)
	global_atomic_cmpswap_x2 v[2:3], v26, v[22:25], s[6:7] offset:24 glc
	s_waitcnt vmcnt(0)
	buffer_wbinvl1_vol
	v_cmp_eq_u64_e32 vcc, v[2:3], v[24:25]
	s_or_b64 s[20:21], vcc, s[20:21]
	s_andn2_b64 exec, exec, s[20:21]
	s_cbranch_execnz .LBB1_87
; %bb.88:                               ;   in Loop: Header=BB1_29 Depth=1
	s_or_b64 exec, exec, s[20:21]
.LBB1_89:                               ;   in Loop: Header=BB1_29 Depth=1
	s_or_b64 exec, exec, s[18:19]
.LBB1_90:                               ;   in Loop: Header=BB1_29 Depth=1
	s_or_b64 exec, exec, s[16:17]
	global_load_dwordx2 v[27:28], v26, s[6:7] offset:40
	global_load_dwordx4 v[22:25], v26, s[6:7]
	v_readfirstlane_b32 s16, v2
	v_readfirstlane_b32 s17, v3
	s_mov_b64 s[18:19], exec
	s_waitcnt vmcnt(1)
	v_readfirstlane_b32 s20, v27
	v_readfirstlane_b32 s21, v28
	s_and_b64 s[20:21], s[16:17], s[20:21]
	s_mul_i32 s22, s21, 24
	s_mul_hi_u32 s23, s20, 24
	s_mul_i32 s24, s20, 24
	s_add_i32 s22, s23, s22
	v_mov_b32_e32 v2, s22
	s_waitcnt vmcnt(0)
	v_add_co_u32_e32 v27, vcc, s24, v22
	v_addc_co_u32_e32 v28, vcc, v23, v2, vcc
	s_and_saveexec_b64 s[22:23], s[4:5]
	s_cbranch_execz .LBB1_92
; %bb.91:                               ;   in Loop: Header=BB1_29 Depth=1
	v_mov_b32_e32 v2, s18
	v_mov_b32_e32 v3, s19
	global_store_dwordx4 v[27:28], v[2:5], off offset:8
.LBB1_92:                               ;   in Loop: Header=BB1_29 Depth=1
	s_or_b64 exec, exec, s[22:23]
	s_lshl_b64 s[18:19], s[20:21], 12
	v_mov_b32_e32 v2, s19
	v_add_co_u32_e32 v24, vcc, s18, v24
	v_addc_co_u32_e32 v31, vcc, v25, v2, vcc
	v_cmp_gt_u64_e64 vcc, s[12:13], 56
	v_or_b32_e32 v2, 2, v6
	s_lshl_b32 s18, s14, 2
	v_cndmask_b32_e32 v2, v2, v6, vcc
	s_add_i32 s18, s18, 28
	s_and_b32 s18, s18, 0x1e0
	v_and_b32_e32 v2, 0xffffff1f, v2
	v_or_b32_e32 v6, s18, v2
	v_readfirstlane_b32 s18, v24
	v_readfirstlane_b32 s19, v31
	s_nop 4
	global_store_dwordx4 v30, v[6:9], s[18:19]
	global_store_dwordx4 v30, v[10:13], s[18:19] offset:16
	global_store_dwordx4 v30, v[14:17], s[18:19] offset:32
	;; [unrolled: 1-line block ×3, first 2 shown]
	s_and_saveexec_b64 s[18:19], s[4:5]
	s_cbranch_execz .LBB1_100
; %bb.93:                               ;   in Loop: Header=BB1_29 Depth=1
	global_load_dwordx2 v[10:11], v26, s[6:7] offset:32 glc
	global_load_dwordx2 v[2:3], v26, s[6:7] offset:40
	v_mov_b32_e32 v8, s16
	v_mov_b32_e32 v9, s17
	s_waitcnt vmcnt(0)
	v_readfirstlane_b32 s20, v2
	v_readfirstlane_b32 s21, v3
	s_and_b64 s[20:21], s[20:21], s[16:17]
	s_mul_i32 s21, s21, 24
	s_mul_hi_u32 s22, s20, 24
	s_mul_i32 s20, s20, 24
	s_add_i32 s21, s22, s21
	v_mov_b32_e32 v3, s21
	v_add_co_u32_e32 v2, vcc, s20, v22
	v_addc_co_u32_e32 v3, vcc, v23, v3, vcc
	global_store_dwordx2 v[2:3], v[10:11], off
	s_waitcnt vmcnt(0)
	global_atomic_cmpswap_x2 v[8:9], v26, v[8:11], s[6:7] offset:32 glc
	s_waitcnt vmcnt(0)
	v_cmp_ne_u64_e32 vcc, v[8:9], v[10:11]
	s_and_saveexec_b64 s[20:21], vcc
	s_cbranch_execz .LBB1_96
; %bb.94:                               ;   in Loop: Header=BB1_29 Depth=1
	s_mov_b64 s[22:23], 0
.LBB1_95:                               ;   Parent Loop BB1_29 Depth=1
                                        ; =>  This Inner Loop Header: Depth=2
	s_sleep 1
	global_store_dwordx2 v[2:3], v[8:9], off
	v_mov_b32_e32 v6, s16
	v_mov_b32_e32 v7, s17
	s_waitcnt vmcnt(0)
	global_atomic_cmpswap_x2 v[6:7], v26, v[6:9], s[6:7] offset:32 glc
	s_waitcnt vmcnt(0)
	v_cmp_eq_u64_e32 vcc, v[6:7], v[8:9]
	v_mov_b32_e32 v9, v7
	s_or_b64 s[22:23], vcc, s[22:23]
	v_mov_b32_e32 v8, v6
	s_andn2_b64 exec, exec, s[22:23]
	s_cbranch_execnz .LBB1_95
.LBB1_96:                               ;   in Loop: Header=BB1_29 Depth=1
	s_or_b64 exec, exec, s[20:21]
	global_load_dwordx2 v[2:3], v26, s[6:7] offset:16
	s_mov_b64 s[22:23], exec
	v_mbcnt_lo_u32_b32 v6, s22, 0
	v_mbcnt_hi_u32_b32 v6, s23, v6
	v_cmp_eq_u32_e32 vcc, 0, v6
	s_and_saveexec_b64 s[20:21], vcc
	s_cbranch_execz .LBB1_98
; %bb.97:                               ;   in Loop: Header=BB1_29 Depth=1
	s_bcnt1_i32_b64 s22, s[22:23]
	v_mov_b32_e32 v25, s22
	s_waitcnt vmcnt(0)
	global_atomic_add_x2 v[2:3], v[25:26], off offset:8
.LBB1_98:                               ;   in Loop: Header=BB1_29 Depth=1
	s_or_b64 exec, exec, s[20:21]
	s_waitcnt vmcnt(0)
	global_load_dwordx2 v[6:7], v[2:3], off offset:16
	s_waitcnt vmcnt(0)
	v_cmp_eq_u64_e32 vcc, 0, v[6:7]
	s_cbranch_vccnz .LBB1_100
; %bb.99:                               ;   in Loop: Header=BB1_29 Depth=1
	global_load_dword v25, v[2:3], off offset:24
	s_waitcnt vmcnt(0)
	v_and_b32_e32 v2, 0xffffff, v25
	v_readfirstlane_b32 m0, v2
	global_store_dwordx2 v[6:7], v[25:26], off
	s_sendmsg sendmsg(MSG_INTERRUPT)
.LBB1_100:                              ;   in Loop: Header=BB1_29 Depth=1
	s_or_b64 exec, exec, s[18:19]
	v_add_co_u32_e32 v2, vcc, v24, v30
	v_addc_co_u32_e32 v3, vcc, 0, v31, vcc
	s_branch .LBB1_104
.LBB1_101:                              ;   in Loop: Header=BB1_104 Depth=2
	s_or_b64 exec, exec, s[18:19]
	v_readfirstlane_b32 s18, v6
	s_cmp_eq_u32 s18, 0
	s_cbranch_scc1 .LBB1_103
; %bb.102:                              ;   in Loop: Header=BB1_104 Depth=2
	s_sleep 1
	s_cbranch_execnz .LBB1_104
	s_branch .LBB1_106
.LBB1_103:                              ;   in Loop: Header=BB1_29 Depth=1
	s_branch .LBB1_106
.LBB1_104:                              ;   Parent Loop BB1_29 Depth=1
                                        ; =>  This Inner Loop Header: Depth=2
	v_mov_b32_e32 v6, 1
	s_and_saveexec_b64 s[18:19], s[4:5]
	s_cbranch_execz .LBB1_101
; %bb.105:                              ;   in Loop: Header=BB1_104 Depth=2
	global_load_dword v6, v[27:28], off offset:20 glc
	s_waitcnt vmcnt(0)
	buffer_wbinvl1_vol
	v_and_b32_e32 v6, 1, v6
	s_branch .LBB1_101
.LBB1_106:                              ;   in Loop: Header=BB1_29 Depth=1
	global_load_dwordx4 v[6:9], v[2:3], off
	s_and_saveexec_b64 s[18:19], s[4:5]
	s_cbranch_execz .LBB1_28
; %bb.107:                              ;   in Loop: Header=BB1_29 Depth=1
	global_load_dwordx2 v[2:3], v26, s[6:7] offset:40
	global_load_dwordx2 v[12:13], v26, s[6:7] offset:24 glc
	global_load_dwordx2 v[14:15], v26, s[6:7]
	s_waitcnt vmcnt(3)
	v_mov_b32_e32 v9, s17
	s_waitcnt vmcnt(2)
	v_add_co_u32_e32 v10, vcc, 1, v2
	v_addc_co_u32_e32 v11, vcc, 0, v3, vcc
	v_add_co_u32_e32 v8, vcc, s16, v10
	v_addc_co_u32_e32 v9, vcc, v11, v9, vcc
	v_cmp_eq_u64_e32 vcc, 0, v[8:9]
	v_cndmask_b32_e32 v9, v9, v11, vcc
	v_cndmask_b32_e32 v8, v8, v10, vcc
	v_and_b32_e32 v3, v9, v3
	v_and_b32_e32 v2, v8, v2
	v_mul_lo_u32 v3, v3, 24
	v_mul_hi_u32 v11, v2, 24
	v_mul_lo_u32 v2, v2, 24
	s_waitcnt vmcnt(1)
	v_mov_b32_e32 v10, v12
	v_add_u32_e32 v3, v11, v3
	s_waitcnt vmcnt(0)
	v_add_co_u32_e32 v2, vcc, v14, v2
	v_addc_co_u32_e32 v3, vcc, v15, v3, vcc
	global_store_dwordx2 v[2:3], v[12:13], off
	v_mov_b32_e32 v11, v13
	s_waitcnt vmcnt(0)
	global_atomic_cmpswap_x2 v[10:11], v26, v[8:11], s[6:7] offset:24 glc
	s_waitcnt vmcnt(0)
	v_cmp_ne_u64_e32 vcc, v[10:11], v[12:13]
	s_and_b64 exec, exec, vcc
	s_cbranch_execz .LBB1_28
; %bb.108:                              ;   in Loop: Header=BB1_29 Depth=1
	s_mov_b64 s[4:5], 0
.LBB1_109:                              ;   Parent Loop BB1_29 Depth=1
                                        ; =>  This Inner Loop Header: Depth=2
	s_sleep 1
	global_store_dwordx2 v[2:3], v[10:11], off
	s_waitcnt vmcnt(0)
	global_atomic_cmpswap_x2 v[12:13], v26, v[8:11], s[6:7] offset:24 glc
	s_waitcnt vmcnt(0)
	v_cmp_eq_u64_e32 vcc, v[12:13], v[10:11]
	v_mov_b32_e32 v10, v12
	s_or_b64 s[4:5], vcc, s[4:5]
	v_mov_b32_e32 v11, v13
	s_andn2_b64 exec, exec, s[4:5]
	s_cbranch_execnz .LBB1_109
	s_branch .LBB1_28
.LBB1_110:
.LBB1_111:
	s_andn2_saveexec_b64 s[8:9], s[8:9]
	s_cbranch_execz .LBB1_272
.LBB1_112:
	v_readfirstlane_b32 s4, v29
	s_waitcnt vmcnt(0)
	v_mov_b32_e32 v5, 0
	v_mov_b32_e32 v6, 0
	v_cmp_eq_u32_e64 s[4:5], s4, v29
	s_and_saveexec_b64 s[10:11], s[4:5]
	s_cbranch_execz .LBB1_118
; %bb.113:
	v_mov_b32_e32 v0, 0
	s_waitcnt lgkmcnt(0)
	global_load_dwordx2 v[3:4], v0, s[6:7] offset:24 glc
	s_waitcnt vmcnt(0)
	buffer_wbinvl1_vol
	global_load_dwordx2 v[1:2], v0, s[6:7] offset:40
	global_load_dwordx2 v[5:6], v0, s[6:7]
	s_waitcnt vmcnt(1)
	v_and_b32_e32 v1, v1, v3
	v_and_b32_e32 v2, v2, v4
	v_mul_lo_u32 v2, v2, 24
	v_mul_hi_u32 v7, v1, 24
	v_mul_lo_u32 v1, v1, 24
	v_add_u32_e32 v2, v7, v2
	s_waitcnt vmcnt(0)
	v_add_co_u32_e32 v1, vcc, v5, v1
	v_addc_co_u32_e32 v2, vcc, v6, v2, vcc
	global_load_dwordx2 v[1:2], v[1:2], off glc
	s_waitcnt vmcnt(0)
	global_atomic_cmpswap_x2 v[5:6], v0, v[1:4], s[6:7] offset:24 glc
	s_waitcnt vmcnt(0)
	buffer_wbinvl1_vol
	v_cmp_ne_u64_e32 vcc, v[5:6], v[3:4]
	s_and_saveexec_b64 s[12:13], vcc
	s_cbranch_execz .LBB1_117
; %bb.114:
	s_mov_b64 s[14:15], 0
.LBB1_115:                              ; =>This Inner Loop Header: Depth=1
	s_sleep 1
	global_load_dwordx2 v[1:2], v0, s[6:7] offset:40
	global_load_dwordx2 v[7:8], v0, s[6:7]
	v_mov_b32_e32 v3, v5
	v_mov_b32_e32 v4, v6
	s_waitcnt vmcnt(1)
	v_and_b32_e32 v1, v1, v3
	s_waitcnt vmcnt(0)
	v_mad_u64_u32 v[5:6], s[16:17], v1, 24, v[7:8]
	v_and_b32_e32 v2, v2, v4
	v_mov_b32_e32 v1, v6
	v_mad_u64_u32 v[1:2], s[16:17], v2, 24, v[1:2]
	v_mov_b32_e32 v6, v1
	global_load_dwordx2 v[1:2], v[5:6], off glc
	s_waitcnt vmcnt(0)
	global_atomic_cmpswap_x2 v[5:6], v0, v[1:4], s[6:7] offset:24 glc
	s_waitcnt vmcnt(0)
	buffer_wbinvl1_vol
	v_cmp_eq_u64_e32 vcc, v[5:6], v[3:4]
	s_or_b64 s[14:15], vcc, s[14:15]
	s_andn2_b64 exec, exec, s[14:15]
	s_cbranch_execnz .LBB1_115
; %bb.116:
	s_or_b64 exec, exec, s[14:15]
.LBB1_117:
	s_or_b64 exec, exec, s[12:13]
.LBB1_118:
	s_or_b64 exec, exec, s[10:11]
	v_mov_b32_e32 v4, 0
	s_waitcnt lgkmcnt(0)
	global_load_dwordx2 v[7:8], v4, s[6:7] offset:40
	global_load_dwordx4 v[0:3], v4, s[6:7]
	v_readfirstlane_b32 s10, v5
	v_readfirstlane_b32 s11, v6
	s_mov_b64 s[12:13], exec
	s_waitcnt vmcnt(1)
	v_readfirstlane_b32 s14, v7
	v_readfirstlane_b32 s15, v8
	s_and_b64 s[14:15], s[10:11], s[14:15]
	s_mul_i32 s16, s15, 24
	s_mul_hi_u32 s17, s14, 24
	s_mul_i32 s18, s14, 24
	s_add_i32 s16, s17, s16
	v_mov_b32_e32 v5, s16
	s_waitcnt vmcnt(0)
	v_add_co_u32_e32 v7, vcc, s18, v0
	v_addc_co_u32_e32 v8, vcc, v1, v5, vcc
	s_and_saveexec_b64 s[16:17], s[4:5]
	s_cbranch_execz .LBB1_120
; %bb.119:
	v_mov_b32_e32 v9, s12
	v_mov_b32_e32 v10, s13
	;; [unrolled: 1-line block ×4, first 2 shown]
	global_store_dwordx4 v[7:8], v[9:12], off offset:8
.LBB1_120:
	s_or_b64 exec, exec, s[16:17]
	s_lshl_b64 s[12:13], s[14:15], 12
	v_mov_b32_e32 v5, s13
	v_add_co_u32_e32 v2, vcc, s12, v2
	v_addc_co_u32_e32 v11, vcc, v3, v5, vcc
	s_mov_b32 s12, 0
	v_lshlrev_b32_e32 v30, 6, v29
	v_mov_b32_e32 v3, 33
	v_mov_b32_e32 v5, v4
	;; [unrolled: 1-line block ×3, first 2 shown]
	v_readfirstlane_b32 s16, v2
	v_readfirstlane_b32 s17, v11
	v_add_co_u32_e32 v9, vcc, v2, v30
	s_mov_b32 s13, s12
	s_mov_b32 s14, s12
	;; [unrolled: 1-line block ×3, first 2 shown]
	s_nop 0
	global_store_dwordx4 v30, v[3:6], s[16:17]
	v_mov_b32_e32 v2, s12
	v_addc_co_u32_e32 v10, vcc, 0, v11, vcc
	v_mov_b32_e32 v3, s13
	v_mov_b32_e32 v4, s14
	;; [unrolled: 1-line block ×3, first 2 shown]
	global_store_dwordx4 v30, v[2:5], s[16:17] offset:16
	global_store_dwordx4 v30, v[2:5], s[16:17] offset:32
	;; [unrolled: 1-line block ×3, first 2 shown]
	s_and_saveexec_b64 s[12:13], s[4:5]
	s_cbranch_execz .LBB1_128
; %bb.121:
	v_mov_b32_e32 v6, 0
	global_load_dwordx2 v[13:14], v6, s[6:7] offset:32 glc
	global_load_dwordx2 v[2:3], v6, s[6:7] offset:40
	v_mov_b32_e32 v11, s10
	v_mov_b32_e32 v12, s11
	s_waitcnt vmcnt(0)
	v_and_b32_e32 v2, s10, v2
	v_and_b32_e32 v3, s11, v3
	v_mul_lo_u32 v3, v3, 24
	v_mul_hi_u32 v4, v2, 24
	v_mul_lo_u32 v2, v2, 24
	v_add_u32_e32 v3, v4, v3
	v_add_co_u32_e32 v4, vcc, v0, v2
	v_addc_co_u32_e32 v5, vcc, v1, v3, vcc
	global_store_dwordx2 v[4:5], v[13:14], off
	s_waitcnt vmcnt(0)
	global_atomic_cmpswap_x2 v[2:3], v6, v[11:14], s[6:7] offset:32 glc
	s_waitcnt vmcnt(0)
	v_cmp_ne_u64_e32 vcc, v[2:3], v[13:14]
	s_and_saveexec_b64 s[14:15], vcc
	s_cbranch_execz .LBB1_124
; %bb.122:
	s_mov_b64 s[16:17], 0
.LBB1_123:                              ; =>This Inner Loop Header: Depth=1
	s_sleep 1
	global_store_dwordx2 v[4:5], v[2:3], off
	v_mov_b32_e32 v0, s10
	v_mov_b32_e32 v1, s11
	s_waitcnt vmcnt(0)
	global_atomic_cmpswap_x2 v[0:1], v6, v[0:3], s[6:7] offset:32 glc
	s_waitcnt vmcnt(0)
	v_cmp_eq_u64_e32 vcc, v[0:1], v[2:3]
	v_mov_b32_e32 v3, v1
	s_or_b64 s[16:17], vcc, s[16:17]
	v_mov_b32_e32 v2, v0
	s_andn2_b64 exec, exec, s[16:17]
	s_cbranch_execnz .LBB1_123
.LBB1_124:
	s_or_b64 exec, exec, s[14:15]
	v_mov_b32_e32 v3, 0
	global_load_dwordx2 v[0:1], v3, s[6:7] offset:16
	s_mov_b64 s[14:15], exec
	v_mbcnt_lo_u32_b32 v2, s14, 0
	v_mbcnt_hi_u32_b32 v2, s15, v2
	v_cmp_eq_u32_e32 vcc, 0, v2
	s_and_saveexec_b64 s[16:17], vcc
	s_cbranch_execz .LBB1_126
; %bb.125:
	s_bcnt1_i32_b64 s14, s[14:15]
	v_mov_b32_e32 v2, s14
	s_waitcnt vmcnt(0)
	global_atomic_add_x2 v[0:1], v[2:3], off offset:8
.LBB1_126:
	s_or_b64 exec, exec, s[16:17]
	s_waitcnt vmcnt(0)
	global_load_dwordx2 v[2:3], v[0:1], off offset:16
	s_waitcnt vmcnt(0)
	v_cmp_eq_u64_e32 vcc, 0, v[2:3]
	s_cbranch_vccnz .LBB1_128
; %bb.127:
	global_load_dword v0, v[0:1], off offset:24
	v_mov_b32_e32 v1, 0
	s_waitcnt vmcnt(0)
	global_store_dwordx2 v[2:3], v[0:1], off
	v_and_b32_e32 v0, 0xffffff, v0
	v_readfirstlane_b32 m0, v0
	s_sendmsg sendmsg(MSG_INTERRUPT)
.LBB1_128:
	s_or_b64 exec, exec, s[12:13]
	s_branch .LBB1_132
.LBB1_129:                              ;   in Loop: Header=BB1_132 Depth=1
	s_or_b64 exec, exec, s[12:13]
	v_readfirstlane_b32 s12, v0
	s_cmp_eq_u32 s12, 0
	s_cbranch_scc1 .LBB1_131
; %bb.130:                              ;   in Loop: Header=BB1_132 Depth=1
	s_sleep 1
	s_cbranch_execnz .LBB1_132
	s_branch .LBB1_134
.LBB1_131:
	s_branch .LBB1_134
.LBB1_132:                              ; =>This Inner Loop Header: Depth=1
	v_mov_b32_e32 v0, 1
	s_and_saveexec_b64 s[12:13], s[4:5]
	s_cbranch_execz .LBB1_129
; %bb.133:                              ;   in Loop: Header=BB1_132 Depth=1
	global_load_dword v0, v[7:8], off offset:20 glc
	s_waitcnt vmcnt(0)
	buffer_wbinvl1_vol
	v_and_b32_e32 v0, 1, v0
	s_branch .LBB1_129
.LBB1_134:
	global_load_dwordx2 v[0:1], v[9:10], off
	s_and_saveexec_b64 s[12:13], s[4:5]
	s_cbranch_execz .LBB1_137
; %bb.135:
	v_mov_b32_e32 v8, 0
	global_load_dwordx2 v[4:5], v8, s[6:7] offset:40
	global_load_dwordx2 v[9:10], v8, s[6:7] offset:24 glc
	global_load_dwordx2 v[6:7], v8, s[6:7]
	v_mov_b32_e32 v3, s11
	s_mov_b64 s[4:5], 0
	s_waitcnt vmcnt(2)
	v_add_co_u32_e32 v11, vcc, 1, v4
	v_addc_co_u32_e32 v12, vcc, 0, v5, vcc
	v_add_co_u32_e32 v2, vcc, s10, v11
	v_addc_co_u32_e32 v3, vcc, v12, v3, vcc
	v_cmp_eq_u64_e32 vcc, 0, v[2:3]
	v_cndmask_b32_e32 v3, v3, v12, vcc
	v_cndmask_b32_e32 v2, v2, v11, vcc
	v_and_b32_e32 v5, v3, v5
	v_and_b32_e32 v4, v2, v4
	v_mul_lo_u32 v5, v5, 24
	v_mul_hi_u32 v11, v4, 24
	v_mul_lo_u32 v12, v4, 24
	s_waitcnt vmcnt(1)
	v_mov_b32_e32 v4, v9
	v_add_u32_e32 v5, v11, v5
	s_waitcnt vmcnt(0)
	v_add_co_u32_e32 v6, vcc, v6, v12
	v_addc_co_u32_e32 v7, vcc, v7, v5, vcc
	global_store_dwordx2 v[6:7], v[9:10], off
	v_mov_b32_e32 v5, v10
	s_waitcnt vmcnt(0)
	global_atomic_cmpswap_x2 v[4:5], v8, v[2:5], s[6:7] offset:24 glc
	s_waitcnt vmcnt(0)
	v_cmp_ne_u64_e32 vcc, v[4:5], v[9:10]
	s_and_b64 exec, exec, vcc
	s_cbranch_execz .LBB1_137
.LBB1_136:                              ; =>This Inner Loop Header: Depth=1
	s_sleep 1
	global_store_dwordx2 v[6:7], v[4:5], off
	s_waitcnt vmcnt(0)
	global_atomic_cmpswap_x2 v[9:10], v8, v[2:5], s[6:7] offset:24 glc
	s_waitcnt vmcnt(0)
	v_cmp_eq_u64_e32 vcc, v[9:10], v[4:5]
	v_mov_b32_e32 v4, v9
	s_or_b64 s[4:5], vcc, s[4:5]
	v_mov_b32_e32 v5, v10
	s_andn2_b64 exec, exec, s[4:5]
	s_cbranch_execnz .LBB1_136
.LBB1_137:
	s_or_b64 exec, exec, s[12:13]
	s_getpc_b64 s[10:11]
	s_add_u32 s10, s10, .str.12@rel32@lo+4
	s_addc_u32 s11, s11, .str.12@rel32@hi+12
	s_cmp_lg_u64 s[10:11], 0
	s_cbranch_scc0 .LBB1_249
; %bb.138:
	s_waitcnt vmcnt(0)
	v_and_b32_e32 v6, -3, v0
	v_mov_b32_e32 v7, v1
	s_mov_b64 s[12:13], 5
	v_mov_b32_e32 v26, 0
	v_mov_b32_e32 v4, 2
	;; [unrolled: 1-line block ×3, first 2 shown]
	s_branch .LBB1_140
.LBB1_139:                              ;   in Loop: Header=BB1_140 Depth=1
	s_or_b64 exec, exec, s[18:19]
	s_sub_u32 s12, s12, s14
	s_subb_u32 s13, s13, s15
	s_add_u32 s10, s10, s14
	s_addc_u32 s11, s11, s15
	s_cmp_eq_u64 s[12:13], 0
	s_cbranch_scc1 .LBB1_221
.LBB1_140:                              ; =>This Loop Header: Depth=1
                                        ;     Child Loop BB1_143 Depth 2
                                        ;     Child Loop BB1_150 Depth 2
                                        ;     Child Loop BB1_158 Depth 2
                                        ;     Child Loop BB1_166 Depth 2
                                        ;     Child Loop BB1_174 Depth 2
                                        ;     Child Loop BB1_182 Depth 2
                                        ;     Child Loop BB1_190 Depth 2
                                        ;     Child Loop BB1_198 Depth 2
                                        ;     Child Loop BB1_206 Depth 2
                                        ;     Child Loop BB1_215 Depth 2
                                        ;     Child Loop BB1_220 Depth 2
	v_cmp_lt_u64_e64 s[4:5], s[12:13], 56
	v_cmp_gt_u64_e64 s[16:17], s[12:13], 7
	s_and_b64 s[4:5], s[4:5], exec
	s_cselect_b32 s15, s13, 0
	s_cselect_b32 s14, s12, 56
	s_and_b64 vcc, exec, s[16:17]
	s_cbranch_vccnz .LBB1_145
; %bb.141:                              ;   in Loop: Header=BB1_140 Depth=1
	s_waitcnt vmcnt(0)
	v_mov_b32_e32 v8, 0
	s_cmp_eq_u64 s[12:13], 0
	v_mov_b32_e32 v9, 0
	s_mov_b64 s[4:5], 0
	s_cbranch_scc1 .LBB1_144
; %bb.142:                              ;   in Loop: Header=BB1_140 Depth=1
	v_mov_b32_e32 v8, 0
	s_lshl_b64 s[16:17], s[14:15], 3
	s_mov_b64 s[18:19], 0
	v_mov_b32_e32 v9, 0
	s_mov_b64 s[20:21], s[10:11]
.LBB1_143:                              ;   Parent Loop BB1_140 Depth=1
                                        ; =>  This Inner Loop Header: Depth=2
	global_load_ubyte v2, v26, s[20:21]
	s_waitcnt vmcnt(0)
	v_and_b32_e32 v25, 0xffff, v2
	v_lshlrev_b64 v[2:3], s18, v[25:26]
	s_add_u32 s18, s18, 8
	s_addc_u32 s19, s19, 0
	s_add_u32 s20, s20, 1
	s_addc_u32 s21, s21, 0
	v_or_b32_e32 v8, v2, v8
	s_cmp_lg_u32 s16, s18
	v_or_b32_e32 v9, v3, v9
	s_cbranch_scc1 .LBB1_143
.LBB1_144:                              ;   in Loop: Header=BB1_140 Depth=1
	s_mov_b32 s20, 0
	s_andn2_b64 vcc, exec, s[4:5]
	s_mov_b64 s[4:5], s[10:11]
	s_cbranch_vccz .LBB1_146
	s_branch .LBB1_147
.LBB1_145:                              ;   in Loop: Header=BB1_140 Depth=1
                                        ; implicit-def: $sgpr20
	s_mov_b64 s[4:5], s[10:11]
.LBB1_146:                              ;   in Loop: Header=BB1_140 Depth=1
	global_load_dwordx2 v[8:9], v26, s[10:11]
	s_add_i32 s20, s14, -8
	s_add_u32 s4, s10, 8
	s_addc_u32 s5, s11, 0
.LBB1_147:                              ;   in Loop: Header=BB1_140 Depth=1
	s_cmp_gt_u32 s20, 7
	s_cbranch_scc1 .LBB1_151
; %bb.148:                              ;   in Loop: Header=BB1_140 Depth=1
	s_cmp_eq_u32 s20, 0
	s_cbranch_scc1 .LBB1_152
; %bb.149:                              ;   in Loop: Header=BB1_140 Depth=1
	v_mov_b32_e32 v10, 0
	s_mov_b64 s[16:17], 0
	v_mov_b32_e32 v11, 0
	s_mov_b64 s[18:19], 0
.LBB1_150:                              ;   Parent Loop BB1_140 Depth=1
                                        ; =>  This Inner Loop Header: Depth=2
	s_add_u32 s22, s4, s18
	s_addc_u32 s23, s5, s19
	global_load_ubyte v2, v26, s[22:23]
	s_add_u32 s18, s18, 1
	s_addc_u32 s19, s19, 0
	s_waitcnt vmcnt(0)
	v_and_b32_e32 v25, 0xffff, v2
	v_lshlrev_b64 v[2:3], s16, v[25:26]
	s_add_u32 s16, s16, 8
	s_addc_u32 s17, s17, 0
	v_or_b32_e32 v10, v2, v10
	s_cmp_lg_u32 s20, s18
	v_or_b32_e32 v11, v3, v11
	s_cbranch_scc1 .LBB1_150
	s_branch .LBB1_153
.LBB1_151:                              ;   in Loop: Header=BB1_140 Depth=1
                                        ; implicit-def: $vgpr10_vgpr11
                                        ; implicit-def: $sgpr21
	s_branch .LBB1_154
.LBB1_152:                              ;   in Loop: Header=BB1_140 Depth=1
	v_mov_b32_e32 v10, 0
	v_mov_b32_e32 v11, 0
.LBB1_153:                              ;   in Loop: Header=BB1_140 Depth=1
	s_mov_b32 s21, 0
	s_cbranch_execnz .LBB1_155
.LBB1_154:                              ;   in Loop: Header=BB1_140 Depth=1
	global_load_dwordx2 v[10:11], v26, s[4:5]
	s_add_i32 s21, s20, -8
	s_add_u32 s4, s4, 8
	s_addc_u32 s5, s5, 0
.LBB1_155:                              ;   in Loop: Header=BB1_140 Depth=1
	s_cmp_gt_u32 s21, 7
	s_cbranch_scc1 .LBB1_159
; %bb.156:                              ;   in Loop: Header=BB1_140 Depth=1
	s_cmp_eq_u32 s21, 0
	s_cbranch_scc1 .LBB1_160
; %bb.157:                              ;   in Loop: Header=BB1_140 Depth=1
	v_mov_b32_e32 v12, 0
	s_mov_b64 s[16:17], 0
	v_mov_b32_e32 v13, 0
	s_mov_b64 s[18:19], 0
.LBB1_158:                              ;   Parent Loop BB1_140 Depth=1
                                        ; =>  This Inner Loop Header: Depth=2
	s_add_u32 s22, s4, s18
	s_addc_u32 s23, s5, s19
	global_load_ubyte v2, v26, s[22:23]
	s_add_u32 s18, s18, 1
	s_addc_u32 s19, s19, 0
	s_waitcnt vmcnt(0)
	v_and_b32_e32 v25, 0xffff, v2
	v_lshlrev_b64 v[2:3], s16, v[25:26]
	s_add_u32 s16, s16, 8
	s_addc_u32 s17, s17, 0
	v_or_b32_e32 v12, v2, v12
	s_cmp_lg_u32 s21, s18
	v_or_b32_e32 v13, v3, v13
	s_cbranch_scc1 .LBB1_158
	s_branch .LBB1_161
.LBB1_159:                              ;   in Loop: Header=BB1_140 Depth=1
                                        ; implicit-def: $sgpr20
	s_branch .LBB1_162
.LBB1_160:                              ;   in Loop: Header=BB1_140 Depth=1
	v_mov_b32_e32 v12, 0
	v_mov_b32_e32 v13, 0
.LBB1_161:                              ;   in Loop: Header=BB1_140 Depth=1
	s_mov_b32 s20, 0
	s_cbranch_execnz .LBB1_163
.LBB1_162:                              ;   in Loop: Header=BB1_140 Depth=1
	global_load_dwordx2 v[12:13], v26, s[4:5]
	s_add_i32 s20, s21, -8
	s_add_u32 s4, s4, 8
	s_addc_u32 s5, s5, 0
.LBB1_163:                              ;   in Loop: Header=BB1_140 Depth=1
	s_cmp_gt_u32 s20, 7
	s_cbranch_scc1 .LBB1_167
; %bb.164:                              ;   in Loop: Header=BB1_140 Depth=1
	s_cmp_eq_u32 s20, 0
	s_cbranch_scc1 .LBB1_168
; %bb.165:                              ;   in Loop: Header=BB1_140 Depth=1
	v_mov_b32_e32 v14, 0
	s_mov_b64 s[16:17], 0
	v_mov_b32_e32 v15, 0
	s_mov_b64 s[18:19], 0
.LBB1_166:                              ;   Parent Loop BB1_140 Depth=1
                                        ; =>  This Inner Loop Header: Depth=2
	s_add_u32 s22, s4, s18
	s_addc_u32 s23, s5, s19
	global_load_ubyte v2, v26, s[22:23]
	s_add_u32 s18, s18, 1
	s_addc_u32 s19, s19, 0
	s_waitcnt vmcnt(0)
	v_and_b32_e32 v25, 0xffff, v2
	v_lshlrev_b64 v[2:3], s16, v[25:26]
	s_add_u32 s16, s16, 8
	s_addc_u32 s17, s17, 0
	v_or_b32_e32 v14, v2, v14
	s_cmp_lg_u32 s20, s18
	v_or_b32_e32 v15, v3, v15
	s_cbranch_scc1 .LBB1_166
	s_branch .LBB1_169
.LBB1_167:                              ;   in Loop: Header=BB1_140 Depth=1
                                        ; implicit-def: $vgpr14_vgpr15
                                        ; implicit-def: $sgpr21
	s_branch .LBB1_170
.LBB1_168:                              ;   in Loop: Header=BB1_140 Depth=1
	v_mov_b32_e32 v14, 0
	v_mov_b32_e32 v15, 0
.LBB1_169:                              ;   in Loop: Header=BB1_140 Depth=1
	s_mov_b32 s21, 0
	s_cbranch_execnz .LBB1_171
.LBB1_170:                              ;   in Loop: Header=BB1_140 Depth=1
	global_load_dwordx2 v[14:15], v26, s[4:5]
	s_add_i32 s21, s20, -8
	s_add_u32 s4, s4, 8
	s_addc_u32 s5, s5, 0
.LBB1_171:                              ;   in Loop: Header=BB1_140 Depth=1
	s_cmp_gt_u32 s21, 7
	s_cbranch_scc1 .LBB1_175
; %bb.172:                              ;   in Loop: Header=BB1_140 Depth=1
	s_cmp_eq_u32 s21, 0
	s_cbranch_scc1 .LBB1_176
; %bb.173:                              ;   in Loop: Header=BB1_140 Depth=1
	v_mov_b32_e32 v16, 0
	s_mov_b64 s[16:17], 0
	v_mov_b32_e32 v17, 0
	s_mov_b64 s[18:19], 0
.LBB1_174:                              ;   Parent Loop BB1_140 Depth=1
                                        ; =>  This Inner Loop Header: Depth=2
	s_add_u32 s22, s4, s18
	s_addc_u32 s23, s5, s19
	global_load_ubyte v2, v26, s[22:23]
	s_add_u32 s18, s18, 1
	s_addc_u32 s19, s19, 0
	s_waitcnt vmcnt(0)
	v_and_b32_e32 v25, 0xffff, v2
	v_lshlrev_b64 v[2:3], s16, v[25:26]
	s_add_u32 s16, s16, 8
	s_addc_u32 s17, s17, 0
	v_or_b32_e32 v16, v2, v16
	s_cmp_lg_u32 s21, s18
	v_or_b32_e32 v17, v3, v17
	s_cbranch_scc1 .LBB1_174
	s_branch .LBB1_177
.LBB1_175:                              ;   in Loop: Header=BB1_140 Depth=1
                                        ; implicit-def: $sgpr20
	s_branch .LBB1_178
.LBB1_176:                              ;   in Loop: Header=BB1_140 Depth=1
	v_mov_b32_e32 v16, 0
	v_mov_b32_e32 v17, 0
.LBB1_177:                              ;   in Loop: Header=BB1_140 Depth=1
	s_mov_b32 s20, 0
	s_cbranch_execnz .LBB1_179
.LBB1_178:                              ;   in Loop: Header=BB1_140 Depth=1
	global_load_dwordx2 v[16:17], v26, s[4:5]
	s_add_i32 s20, s21, -8
	s_add_u32 s4, s4, 8
	s_addc_u32 s5, s5, 0
.LBB1_179:                              ;   in Loop: Header=BB1_140 Depth=1
	s_cmp_gt_u32 s20, 7
	s_cbranch_scc1 .LBB1_183
; %bb.180:                              ;   in Loop: Header=BB1_140 Depth=1
	s_cmp_eq_u32 s20, 0
	s_cbranch_scc1 .LBB1_184
; %bb.181:                              ;   in Loop: Header=BB1_140 Depth=1
	v_mov_b32_e32 v18, 0
	s_mov_b64 s[16:17], 0
	v_mov_b32_e32 v19, 0
	s_mov_b64 s[18:19], 0
.LBB1_182:                              ;   Parent Loop BB1_140 Depth=1
                                        ; =>  This Inner Loop Header: Depth=2
	s_add_u32 s22, s4, s18
	s_addc_u32 s23, s5, s19
	global_load_ubyte v2, v26, s[22:23]
	s_add_u32 s18, s18, 1
	s_addc_u32 s19, s19, 0
	s_waitcnt vmcnt(0)
	v_and_b32_e32 v25, 0xffff, v2
	v_lshlrev_b64 v[2:3], s16, v[25:26]
	s_add_u32 s16, s16, 8
	s_addc_u32 s17, s17, 0
	v_or_b32_e32 v18, v2, v18
	s_cmp_lg_u32 s20, s18
	v_or_b32_e32 v19, v3, v19
	s_cbranch_scc1 .LBB1_182
	s_branch .LBB1_185
.LBB1_183:                              ;   in Loop: Header=BB1_140 Depth=1
                                        ; implicit-def: $vgpr18_vgpr19
                                        ; implicit-def: $sgpr21
	s_branch .LBB1_186
.LBB1_184:                              ;   in Loop: Header=BB1_140 Depth=1
	v_mov_b32_e32 v18, 0
	v_mov_b32_e32 v19, 0
.LBB1_185:                              ;   in Loop: Header=BB1_140 Depth=1
	s_mov_b32 s21, 0
	s_cbranch_execnz .LBB1_187
.LBB1_186:                              ;   in Loop: Header=BB1_140 Depth=1
	global_load_dwordx2 v[18:19], v26, s[4:5]
	s_add_i32 s21, s20, -8
	s_add_u32 s4, s4, 8
	s_addc_u32 s5, s5, 0
.LBB1_187:                              ;   in Loop: Header=BB1_140 Depth=1
	s_cmp_gt_u32 s21, 7
	s_cbranch_scc1 .LBB1_191
; %bb.188:                              ;   in Loop: Header=BB1_140 Depth=1
	s_cmp_eq_u32 s21, 0
	s_cbranch_scc1 .LBB1_192
; %bb.189:                              ;   in Loop: Header=BB1_140 Depth=1
	v_mov_b32_e32 v20, 0
	s_mov_b64 s[16:17], 0
	v_mov_b32_e32 v21, 0
	s_mov_b64 s[18:19], s[4:5]
.LBB1_190:                              ;   Parent Loop BB1_140 Depth=1
                                        ; =>  This Inner Loop Header: Depth=2
	global_load_ubyte v2, v26, s[18:19]
	s_add_i32 s21, s21, -1
	s_waitcnt vmcnt(0)
	v_and_b32_e32 v25, 0xffff, v2
	v_lshlrev_b64 v[2:3], s16, v[25:26]
	s_add_u32 s16, s16, 8
	s_addc_u32 s17, s17, 0
	s_add_u32 s18, s18, 1
	s_addc_u32 s19, s19, 0
	v_or_b32_e32 v20, v2, v20
	s_cmp_lg_u32 s21, 0
	v_or_b32_e32 v21, v3, v21
	s_cbranch_scc1 .LBB1_190
	s_branch .LBB1_193
.LBB1_191:                              ;   in Loop: Header=BB1_140 Depth=1
	s_branch .LBB1_194
.LBB1_192:                              ;   in Loop: Header=BB1_140 Depth=1
	v_mov_b32_e32 v20, 0
	v_mov_b32_e32 v21, 0
.LBB1_193:                              ;   in Loop: Header=BB1_140 Depth=1
	s_cbranch_execnz .LBB1_195
.LBB1_194:                              ;   in Loop: Header=BB1_140 Depth=1
	global_load_dwordx2 v[20:21], v26, s[4:5]
.LBB1_195:                              ;   in Loop: Header=BB1_140 Depth=1
	v_readfirstlane_b32 s4, v29
	v_mov_b32_e32 v2, 0
	v_mov_b32_e32 v3, 0
	v_cmp_eq_u32_e64 s[4:5], s4, v29
	s_and_saveexec_b64 s[16:17], s[4:5]
	s_cbranch_execz .LBB1_201
; %bb.196:                              ;   in Loop: Header=BB1_140 Depth=1
	global_load_dwordx2 v[24:25], v26, s[6:7] offset:24 glc
	s_waitcnt vmcnt(0)
	buffer_wbinvl1_vol
	global_load_dwordx2 v[2:3], v26, s[6:7] offset:40
	global_load_dwordx2 v[22:23], v26, s[6:7]
	s_waitcnt vmcnt(1)
	v_and_b32_e32 v2, v2, v24
	v_and_b32_e32 v3, v3, v25
	v_mul_lo_u32 v3, v3, 24
	v_mul_hi_u32 v27, v2, 24
	v_mul_lo_u32 v2, v2, 24
	v_add_u32_e32 v3, v27, v3
	s_waitcnt vmcnt(0)
	v_add_co_u32_e32 v2, vcc, v22, v2
	v_addc_co_u32_e32 v3, vcc, v23, v3, vcc
	global_load_dwordx2 v[22:23], v[2:3], off glc
	s_waitcnt vmcnt(0)
	global_atomic_cmpswap_x2 v[2:3], v26, v[22:25], s[6:7] offset:24 glc
	s_waitcnt vmcnt(0)
	buffer_wbinvl1_vol
	v_cmp_ne_u64_e32 vcc, v[2:3], v[24:25]
	s_and_saveexec_b64 s[18:19], vcc
	s_cbranch_execz .LBB1_200
; %bb.197:                              ;   in Loop: Header=BB1_140 Depth=1
	s_mov_b64 s[20:21], 0
.LBB1_198:                              ;   Parent Loop BB1_140 Depth=1
                                        ; =>  This Inner Loop Header: Depth=2
	s_sleep 1
	global_load_dwordx2 v[22:23], v26, s[6:7] offset:40
	global_load_dwordx2 v[27:28], v26, s[6:7]
	v_mov_b32_e32 v25, v3
	v_mov_b32_e32 v24, v2
	s_waitcnt vmcnt(1)
	v_and_b32_e32 v2, v22, v24
	s_waitcnt vmcnt(0)
	v_mad_u64_u32 v[2:3], s[22:23], v2, 24, v[27:28]
	v_and_b32_e32 v22, v23, v25
	v_mad_u64_u32 v[22:23], s[22:23], v22, 24, v[3:4]
	v_mov_b32_e32 v3, v22
	global_load_dwordx2 v[22:23], v[2:3], off glc
	s_waitcnt vmcnt(0)
	global_atomic_cmpswap_x2 v[2:3], v26, v[22:25], s[6:7] offset:24 glc
	s_waitcnt vmcnt(0)
	buffer_wbinvl1_vol
	v_cmp_eq_u64_e32 vcc, v[2:3], v[24:25]
	s_or_b64 s[20:21], vcc, s[20:21]
	s_andn2_b64 exec, exec, s[20:21]
	s_cbranch_execnz .LBB1_198
; %bb.199:                              ;   in Loop: Header=BB1_140 Depth=1
	s_or_b64 exec, exec, s[20:21]
.LBB1_200:                              ;   in Loop: Header=BB1_140 Depth=1
	s_or_b64 exec, exec, s[18:19]
.LBB1_201:                              ;   in Loop: Header=BB1_140 Depth=1
	s_or_b64 exec, exec, s[16:17]
	global_load_dwordx2 v[27:28], v26, s[6:7] offset:40
	global_load_dwordx4 v[22:25], v26, s[6:7]
	v_readfirstlane_b32 s16, v2
	v_readfirstlane_b32 s17, v3
	s_mov_b64 s[18:19], exec
	s_waitcnt vmcnt(1)
	v_readfirstlane_b32 s20, v27
	v_readfirstlane_b32 s21, v28
	s_and_b64 s[20:21], s[16:17], s[20:21]
	s_mul_i32 s22, s21, 24
	s_mul_hi_u32 s23, s20, 24
	s_mul_i32 s24, s20, 24
	s_add_i32 s22, s23, s22
	v_mov_b32_e32 v2, s22
	s_waitcnt vmcnt(0)
	v_add_co_u32_e32 v27, vcc, s24, v22
	v_addc_co_u32_e32 v28, vcc, v23, v2, vcc
	s_and_saveexec_b64 s[22:23], s[4:5]
	s_cbranch_execz .LBB1_203
; %bb.202:                              ;   in Loop: Header=BB1_140 Depth=1
	v_mov_b32_e32 v2, s18
	v_mov_b32_e32 v3, s19
	global_store_dwordx4 v[27:28], v[2:5], off offset:8
.LBB1_203:                              ;   in Loop: Header=BB1_140 Depth=1
	s_or_b64 exec, exec, s[22:23]
	s_lshl_b64 s[18:19], s[20:21], 12
	v_mov_b32_e32 v2, s19
	v_add_co_u32_e32 v24, vcc, s18, v24
	v_addc_co_u32_e32 v31, vcc, v25, v2, vcc
	v_cmp_gt_u64_e64 vcc, s[12:13], 56
	v_or_b32_e32 v2, 2, v6
	s_lshl_b32 s18, s14, 2
	v_cndmask_b32_e32 v2, v2, v6, vcc
	s_add_i32 s18, s18, 28
	s_and_b32 s18, s18, 0x1e0
	v_and_b32_e32 v2, 0xffffff1f, v2
	v_or_b32_e32 v6, s18, v2
	v_readfirstlane_b32 s18, v24
	v_readfirstlane_b32 s19, v31
	s_nop 4
	global_store_dwordx4 v30, v[6:9], s[18:19]
	global_store_dwordx4 v30, v[10:13], s[18:19] offset:16
	global_store_dwordx4 v30, v[14:17], s[18:19] offset:32
	;; [unrolled: 1-line block ×3, first 2 shown]
	s_and_saveexec_b64 s[18:19], s[4:5]
	s_cbranch_execz .LBB1_211
; %bb.204:                              ;   in Loop: Header=BB1_140 Depth=1
	global_load_dwordx2 v[10:11], v26, s[6:7] offset:32 glc
	global_load_dwordx2 v[2:3], v26, s[6:7] offset:40
	v_mov_b32_e32 v8, s16
	v_mov_b32_e32 v9, s17
	s_waitcnt vmcnt(0)
	v_readfirstlane_b32 s20, v2
	v_readfirstlane_b32 s21, v3
	s_and_b64 s[20:21], s[20:21], s[16:17]
	s_mul_i32 s21, s21, 24
	s_mul_hi_u32 s22, s20, 24
	s_mul_i32 s20, s20, 24
	s_add_i32 s21, s22, s21
	v_mov_b32_e32 v3, s21
	v_add_co_u32_e32 v2, vcc, s20, v22
	v_addc_co_u32_e32 v3, vcc, v23, v3, vcc
	global_store_dwordx2 v[2:3], v[10:11], off
	s_waitcnt vmcnt(0)
	global_atomic_cmpswap_x2 v[8:9], v26, v[8:11], s[6:7] offset:32 glc
	s_waitcnt vmcnt(0)
	v_cmp_ne_u64_e32 vcc, v[8:9], v[10:11]
	s_and_saveexec_b64 s[20:21], vcc
	s_cbranch_execz .LBB1_207
; %bb.205:                              ;   in Loop: Header=BB1_140 Depth=1
	s_mov_b64 s[22:23], 0
.LBB1_206:                              ;   Parent Loop BB1_140 Depth=1
                                        ; =>  This Inner Loop Header: Depth=2
	s_sleep 1
	global_store_dwordx2 v[2:3], v[8:9], off
	v_mov_b32_e32 v6, s16
	v_mov_b32_e32 v7, s17
	s_waitcnt vmcnt(0)
	global_atomic_cmpswap_x2 v[6:7], v26, v[6:9], s[6:7] offset:32 glc
	s_waitcnt vmcnt(0)
	v_cmp_eq_u64_e32 vcc, v[6:7], v[8:9]
	v_mov_b32_e32 v9, v7
	s_or_b64 s[22:23], vcc, s[22:23]
	v_mov_b32_e32 v8, v6
	s_andn2_b64 exec, exec, s[22:23]
	s_cbranch_execnz .LBB1_206
.LBB1_207:                              ;   in Loop: Header=BB1_140 Depth=1
	s_or_b64 exec, exec, s[20:21]
	global_load_dwordx2 v[2:3], v26, s[6:7] offset:16
	s_mov_b64 s[22:23], exec
	v_mbcnt_lo_u32_b32 v6, s22, 0
	v_mbcnt_hi_u32_b32 v6, s23, v6
	v_cmp_eq_u32_e32 vcc, 0, v6
	s_and_saveexec_b64 s[20:21], vcc
	s_cbranch_execz .LBB1_209
; %bb.208:                              ;   in Loop: Header=BB1_140 Depth=1
	s_bcnt1_i32_b64 s22, s[22:23]
	v_mov_b32_e32 v25, s22
	s_waitcnt vmcnt(0)
	global_atomic_add_x2 v[2:3], v[25:26], off offset:8
.LBB1_209:                              ;   in Loop: Header=BB1_140 Depth=1
	s_or_b64 exec, exec, s[20:21]
	s_waitcnt vmcnt(0)
	global_load_dwordx2 v[6:7], v[2:3], off offset:16
	s_waitcnt vmcnt(0)
	v_cmp_eq_u64_e32 vcc, 0, v[6:7]
	s_cbranch_vccnz .LBB1_211
; %bb.210:                              ;   in Loop: Header=BB1_140 Depth=1
	global_load_dword v25, v[2:3], off offset:24
	s_waitcnt vmcnt(0)
	v_and_b32_e32 v2, 0xffffff, v25
	v_readfirstlane_b32 m0, v2
	global_store_dwordx2 v[6:7], v[25:26], off
	s_sendmsg sendmsg(MSG_INTERRUPT)
.LBB1_211:                              ;   in Loop: Header=BB1_140 Depth=1
	s_or_b64 exec, exec, s[18:19]
	v_add_co_u32_e32 v2, vcc, v24, v30
	v_addc_co_u32_e32 v3, vcc, 0, v31, vcc
	s_branch .LBB1_215
.LBB1_212:                              ;   in Loop: Header=BB1_215 Depth=2
	s_or_b64 exec, exec, s[18:19]
	v_readfirstlane_b32 s18, v6
	s_cmp_eq_u32 s18, 0
	s_cbranch_scc1 .LBB1_214
; %bb.213:                              ;   in Loop: Header=BB1_215 Depth=2
	s_sleep 1
	s_cbranch_execnz .LBB1_215
	s_branch .LBB1_217
.LBB1_214:                              ;   in Loop: Header=BB1_140 Depth=1
	s_branch .LBB1_217
.LBB1_215:                              ;   Parent Loop BB1_140 Depth=1
                                        ; =>  This Inner Loop Header: Depth=2
	v_mov_b32_e32 v6, 1
	s_and_saveexec_b64 s[18:19], s[4:5]
	s_cbranch_execz .LBB1_212
; %bb.216:                              ;   in Loop: Header=BB1_215 Depth=2
	global_load_dword v6, v[27:28], off offset:20 glc
	s_waitcnt vmcnt(0)
	buffer_wbinvl1_vol
	v_and_b32_e32 v6, 1, v6
	s_branch .LBB1_212
.LBB1_217:                              ;   in Loop: Header=BB1_140 Depth=1
	global_load_dwordx4 v[6:9], v[2:3], off
	s_and_saveexec_b64 s[18:19], s[4:5]
	s_cbranch_execz .LBB1_139
; %bb.218:                              ;   in Loop: Header=BB1_140 Depth=1
	global_load_dwordx2 v[2:3], v26, s[6:7] offset:40
	global_load_dwordx2 v[12:13], v26, s[6:7] offset:24 glc
	global_load_dwordx2 v[14:15], v26, s[6:7]
	s_waitcnt vmcnt(3)
	v_mov_b32_e32 v9, s17
	s_waitcnt vmcnt(2)
	v_add_co_u32_e32 v10, vcc, 1, v2
	v_addc_co_u32_e32 v11, vcc, 0, v3, vcc
	v_add_co_u32_e32 v8, vcc, s16, v10
	v_addc_co_u32_e32 v9, vcc, v11, v9, vcc
	v_cmp_eq_u64_e32 vcc, 0, v[8:9]
	v_cndmask_b32_e32 v9, v9, v11, vcc
	v_cndmask_b32_e32 v8, v8, v10, vcc
	v_and_b32_e32 v3, v9, v3
	v_and_b32_e32 v2, v8, v2
	v_mul_lo_u32 v3, v3, 24
	v_mul_hi_u32 v11, v2, 24
	v_mul_lo_u32 v2, v2, 24
	s_waitcnt vmcnt(1)
	v_mov_b32_e32 v10, v12
	v_add_u32_e32 v3, v11, v3
	s_waitcnt vmcnt(0)
	v_add_co_u32_e32 v2, vcc, v14, v2
	v_addc_co_u32_e32 v3, vcc, v15, v3, vcc
	global_store_dwordx2 v[2:3], v[12:13], off
	v_mov_b32_e32 v11, v13
	s_waitcnt vmcnt(0)
	global_atomic_cmpswap_x2 v[10:11], v26, v[8:11], s[6:7] offset:24 glc
	s_waitcnt vmcnt(0)
	v_cmp_ne_u64_e32 vcc, v[10:11], v[12:13]
	s_and_b64 exec, exec, vcc
	s_cbranch_execz .LBB1_139
; %bb.219:                              ;   in Loop: Header=BB1_140 Depth=1
	s_mov_b64 s[4:5], 0
.LBB1_220:                              ;   Parent Loop BB1_140 Depth=1
                                        ; =>  This Inner Loop Header: Depth=2
	s_sleep 1
	global_store_dwordx2 v[2:3], v[10:11], off
	s_waitcnt vmcnt(0)
	global_atomic_cmpswap_x2 v[12:13], v26, v[8:11], s[6:7] offset:24 glc
	s_waitcnt vmcnt(0)
	v_cmp_eq_u64_e32 vcc, v[12:13], v[10:11]
	v_mov_b32_e32 v10, v12
	s_or_b64 s[4:5], vcc, s[4:5]
	v_mov_b32_e32 v11, v13
	s_andn2_b64 exec, exec, s[4:5]
	s_cbranch_execnz .LBB1_220
	s_branch .LBB1_139
.LBB1_221:
	s_branch .LBB1_272
.LBB1_222:
	s_cbranch_execz .LBB1_111
; %bb.223:
	v_readfirstlane_b32 s4, v29
	s_waitcnt vmcnt(0)
	v_mov_b32_e32 v8, 0
	v_mov_b32_e32 v9, 0
	v_cmp_eq_u32_e64 s[4:5], s4, v29
	s_and_saveexec_b64 s[10:11], s[4:5]
	s_cbranch_execz .LBB1_229
; %bb.224:
	v_mov_b32_e32 v2, 0
	global_load_dwordx2 v[5:6], v2, s[6:7] offset:24 glc
	s_waitcnt vmcnt(0)
	buffer_wbinvl1_vol
	global_load_dwordx2 v[3:4], v2, s[6:7] offset:40
	global_load_dwordx2 v[7:8], v2, s[6:7]
	s_waitcnt vmcnt(1)
	v_and_b32_e32 v3, v3, v5
	v_and_b32_e32 v4, v4, v6
	v_mul_lo_u32 v4, v4, 24
	v_mul_hi_u32 v9, v3, 24
	v_mul_lo_u32 v3, v3, 24
	v_add_u32_e32 v4, v9, v4
	s_waitcnt vmcnt(0)
	v_add_co_u32_e32 v3, vcc, v7, v3
	v_addc_co_u32_e32 v4, vcc, v8, v4, vcc
	global_load_dwordx2 v[3:4], v[3:4], off glc
	s_waitcnt vmcnt(0)
	global_atomic_cmpswap_x2 v[8:9], v2, v[3:6], s[6:7] offset:24 glc
	s_waitcnt vmcnt(0)
	buffer_wbinvl1_vol
	v_cmp_ne_u64_e32 vcc, v[8:9], v[5:6]
	s_and_saveexec_b64 s[12:13], vcc
	s_cbranch_execz .LBB1_228
; %bb.225:
	s_mov_b64 s[14:15], 0
.LBB1_226:                              ; =>This Inner Loop Header: Depth=1
	s_sleep 1
	global_load_dwordx2 v[3:4], v2, s[6:7] offset:40
	global_load_dwordx2 v[10:11], v2, s[6:7]
	v_mov_b32_e32 v5, v8
	v_mov_b32_e32 v6, v9
	s_waitcnt vmcnt(1)
	v_and_b32_e32 v3, v3, v5
	s_waitcnt vmcnt(0)
	v_mad_u64_u32 v[7:8], s[16:17], v3, 24, v[10:11]
	v_and_b32_e32 v4, v4, v6
	v_mov_b32_e32 v3, v8
	v_mad_u64_u32 v[3:4], s[16:17], v4, 24, v[3:4]
	v_mov_b32_e32 v8, v3
	global_load_dwordx2 v[3:4], v[7:8], off glc
	s_waitcnt vmcnt(0)
	global_atomic_cmpswap_x2 v[8:9], v2, v[3:6], s[6:7] offset:24 glc
	s_waitcnt vmcnt(0)
	buffer_wbinvl1_vol
	v_cmp_eq_u64_e32 vcc, v[8:9], v[5:6]
	s_or_b64 s[14:15], vcc, s[14:15]
	s_andn2_b64 exec, exec, s[14:15]
	s_cbranch_execnz .LBB1_226
; %bb.227:
	s_or_b64 exec, exec, s[14:15]
.LBB1_228:
	s_or_b64 exec, exec, s[12:13]
.LBB1_229:
	s_or_b64 exec, exec, s[10:11]
	v_mov_b32_e32 v2, 0
	global_load_dwordx2 v[10:11], v2, s[6:7] offset:40
	global_load_dwordx4 v[4:7], v2, s[6:7]
	v_readfirstlane_b32 s10, v8
	v_readfirstlane_b32 s11, v9
	s_mov_b64 s[12:13], exec
	s_waitcnt vmcnt(1)
	v_readfirstlane_b32 s14, v10
	v_readfirstlane_b32 s15, v11
	s_and_b64 s[14:15], s[10:11], s[14:15]
	s_mul_i32 s16, s15, 24
	s_mul_hi_u32 s17, s14, 24
	s_mul_i32 s18, s14, 24
	s_add_i32 s16, s17, s16
	v_mov_b32_e32 v3, s16
	s_waitcnt vmcnt(0)
	v_add_co_u32_e32 v8, vcc, s18, v4
	v_addc_co_u32_e32 v9, vcc, v5, v3, vcc
	s_and_saveexec_b64 s[16:17], s[4:5]
	s_cbranch_execz .LBB1_231
; %bb.230:
	v_mov_b32_e32 v10, s12
	v_mov_b32_e32 v11, s13
	;; [unrolled: 1-line block ×4, first 2 shown]
	global_store_dwordx4 v[8:9], v[10:13], off offset:8
.LBB1_231:
	s_or_b64 exec, exec, s[16:17]
	s_lshl_b64 s[12:13], s[14:15], 12
	v_mov_b32_e32 v3, s13
	v_add_co_u32_e32 v6, vcc, s12, v6
	v_addc_co_u32_e32 v7, vcc, v7, v3, vcc
	s_movk_i32 s12, 0xff1d
	v_and_or_b32 v0, v0, s12, 34
	s_mov_b32 s12, 0
	v_mov_b32_e32 v3, v2
	v_readfirstlane_b32 s16, v6
	v_readfirstlane_b32 s17, v7
	s_mov_b32 s13, s12
	s_mov_b32 s14, s12
	s_mov_b32 s15, s12
	s_nop 1
	global_store_dwordx4 v30, v[0:3], s[16:17]
	s_nop 0
	v_mov_b32_e32 v0, s12
	v_mov_b32_e32 v1, s13
	;; [unrolled: 1-line block ×4, first 2 shown]
	global_store_dwordx4 v30, v[0:3], s[16:17] offset:16
	global_store_dwordx4 v30, v[0:3], s[16:17] offset:32
	global_store_dwordx4 v30, v[0:3], s[16:17] offset:48
	s_and_saveexec_b64 s[12:13], s[4:5]
	s_cbranch_execz .LBB1_239
; %bb.232:
	v_mov_b32_e32 v6, 0
	global_load_dwordx2 v[12:13], v6, s[6:7] offset:32 glc
	global_load_dwordx2 v[0:1], v6, s[6:7] offset:40
	v_mov_b32_e32 v10, s10
	v_mov_b32_e32 v11, s11
	s_waitcnt vmcnt(0)
	v_readfirstlane_b32 s14, v0
	v_readfirstlane_b32 s15, v1
	s_and_b64 s[14:15], s[14:15], s[10:11]
	s_mul_i32 s15, s15, 24
	s_mul_hi_u32 s16, s14, 24
	s_mul_i32 s14, s14, 24
	s_add_i32 s15, s16, s15
	v_mov_b32_e32 v0, s15
	v_add_co_u32_e32 v4, vcc, s14, v4
	v_addc_co_u32_e32 v5, vcc, v5, v0, vcc
	global_store_dwordx2 v[4:5], v[12:13], off
	s_waitcnt vmcnt(0)
	global_atomic_cmpswap_x2 v[2:3], v6, v[10:13], s[6:7] offset:32 glc
	s_waitcnt vmcnt(0)
	v_cmp_ne_u64_e32 vcc, v[2:3], v[12:13]
	s_and_saveexec_b64 s[14:15], vcc
	s_cbranch_execz .LBB1_235
; %bb.233:
	s_mov_b64 s[16:17], 0
.LBB1_234:                              ; =>This Inner Loop Header: Depth=1
	s_sleep 1
	global_store_dwordx2 v[4:5], v[2:3], off
	v_mov_b32_e32 v0, s10
	v_mov_b32_e32 v1, s11
	s_waitcnt vmcnt(0)
	global_atomic_cmpswap_x2 v[0:1], v6, v[0:3], s[6:7] offset:32 glc
	s_waitcnt vmcnt(0)
	v_cmp_eq_u64_e32 vcc, v[0:1], v[2:3]
	v_mov_b32_e32 v3, v1
	s_or_b64 s[16:17], vcc, s[16:17]
	v_mov_b32_e32 v2, v0
	s_andn2_b64 exec, exec, s[16:17]
	s_cbranch_execnz .LBB1_234
.LBB1_235:
	s_or_b64 exec, exec, s[14:15]
	v_mov_b32_e32 v3, 0
	global_load_dwordx2 v[0:1], v3, s[6:7] offset:16
	s_mov_b64 s[14:15], exec
	v_mbcnt_lo_u32_b32 v2, s14, 0
	v_mbcnt_hi_u32_b32 v2, s15, v2
	v_cmp_eq_u32_e32 vcc, 0, v2
	s_and_saveexec_b64 s[16:17], vcc
	s_cbranch_execz .LBB1_237
; %bb.236:
	s_bcnt1_i32_b64 s14, s[14:15]
	v_mov_b32_e32 v2, s14
	s_waitcnt vmcnt(0)
	global_atomic_add_x2 v[0:1], v[2:3], off offset:8
.LBB1_237:
	s_or_b64 exec, exec, s[16:17]
	s_waitcnt vmcnt(0)
	global_load_dwordx2 v[2:3], v[0:1], off offset:16
	s_waitcnt vmcnt(0)
	v_cmp_eq_u64_e32 vcc, 0, v[2:3]
	s_cbranch_vccnz .LBB1_239
; %bb.238:
	global_load_dword v0, v[0:1], off offset:24
	v_mov_b32_e32 v1, 0
	s_waitcnt vmcnt(0)
	global_store_dwordx2 v[2:3], v[0:1], off
	v_and_b32_e32 v0, 0xffffff, v0
	v_readfirstlane_b32 m0, v0
	s_sendmsg sendmsg(MSG_INTERRUPT)
.LBB1_239:
	s_or_b64 exec, exec, s[12:13]
	s_branch .LBB1_243
.LBB1_240:                              ;   in Loop: Header=BB1_243 Depth=1
	s_or_b64 exec, exec, s[12:13]
	v_readfirstlane_b32 s12, v0
	s_cmp_eq_u32 s12, 0
	s_cbranch_scc1 .LBB1_242
; %bb.241:                              ;   in Loop: Header=BB1_243 Depth=1
	s_sleep 1
	s_cbranch_execnz .LBB1_243
	s_branch .LBB1_245
.LBB1_242:
	s_branch .LBB1_245
.LBB1_243:                              ; =>This Inner Loop Header: Depth=1
	v_mov_b32_e32 v0, 1
	s_and_saveexec_b64 s[12:13], s[4:5]
	s_cbranch_execz .LBB1_240
; %bb.244:                              ;   in Loop: Header=BB1_243 Depth=1
	global_load_dword v0, v[8:9], off offset:20 glc
	s_waitcnt vmcnt(0)
	buffer_wbinvl1_vol
	v_and_b32_e32 v0, 1, v0
	s_branch .LBB1_240
.LBB1_245:
	s_and_saveexec_b64 s[12:13], s[4:5]
	s_cbranch_execz .LBB1_248
; %bb.246:
	v_mov_b32_e32 v6, 0
	global_load_dwordx2 v[2:3], v6, s[6:7] offset:40
	global_load_dwordx2 v[7:8], v6, s[6:7] offset:24 glc
	global_load_dwordx2 v[4:5], v6, s[6:7]
	v_mov_b32_e32 v1, s11
	s_mov_b64 s[4:5], 0
	s_waitcnt vmcnt(2)
	v_add_co_u32_e32 v9, vcc, 1, v2
	v_addc_co_u32_e32 v10, vcc, 0, v3, vcc
	v_add_co_u32_e32 v0, vcc, s10, v9
	v_addc_co_u32_e32 v1, vcc, v10, v1, vcc
	v_cmp_eq_u64_e32 vcc, 0, v[0:1]
	v_cndmask_b32_e32 v1, v1, v10, vcc
	v_cndmask_b32_e32 v0, v0, v9, vcc
	v_and_b32_e32 v3, v1, v3
	v_and_b32_e32 v2, v0, v2
	v_mul_lo_u32 v3, v3, 24
	v_mul_hi_u32 v9, v2, 24
	v_mul_lo_u32 v10, v2, 24
	s_waitcnt vmcnt(1)
	v_mov_b32_e32 v2, v7
	v_add_u32_e32 v3, v9, v3
	s_waitcnt vmcnt(0)
	v_add_co_u32_e32 v4, vcc, v4, v10
	v_addc_co_u32_e32 v5, vcc, v5, v3, vcc
	global_store_dwordx2 v[4:5], v[7:8], off
	v_mov_b32_e32 v3, v8
	s_waitcnt vmcnt(0)
	global_atomic_cmpswap_x2 v[2:3], v6, v[0:3], s[6:7] offset:24 glc
	s_waitcnt vmcnt(0)
	v_cmp_ne_u64_e32 vcc, v[2:3], v[7:8]
	s_and_b64 exec, exec, vcc
	s_cbranch_execz .LBB1_248
.LBB1_247:                              ; =>This Inner Loop Header: Depth=1
	s_sleep 1
	global_store_dwordx2 v[4:5], v[2:3], off
	s_waitcnt vmcnt(0)
	global_atomic_cmpswap_x2 v[7:8], v6, v[0:3], s[6:7] offset:24 glc
	s_waitcnt vmcnt(0)
	v_cmp_eq_u64_e32 vcc, v[7:8], v[2:3]
	v_mov_b32_e32 v2, v7
	s_or_b64 s[4:5], vcc, s[4:5]
	v_mov_b32_e32 v3, v8
	s_andn2_b64 exec, exec, s[4:5]
	s_cbranch_execnz .LBB1_247
.LBB1_248:
	s_or_b64 exec, exec, s[12:13]
                                        ; implicit-def: $vgpr29
	s_andn2_saveexec_b64 s[8:9], s[8:9]
	s_cbranch_execnz .LBB1_112
	s_branch .LBB1_272
.LBB1_249:
	s_cbranch_execz .LBB1_272
; %bb.250:
	v_readfirstlane_b32 s4, v29
	s_waitcnt vmcnt(0)
	v_mov_b32_e32 v8, 0
	v_mov_b32_e32 v9, 0
	v_cmp_eq_u32_e64 s[4:5], s4, v29
	s_and_saveexec_b64 s[10:11], s[4:5]
	s_cbranch_execz .LBB1_256
; %bb.251:
	v_mov_b32_e32 v2, 0
	global_load_dwordx2 v[5:6], v2, s[6:7] offset:24 glc
	s_waitcnt vmcnt(0)
	buffer_wbinvl1_vol
	global_load_dwordx2 v[3:4], v2, s[6:7] offset:40
	global_load_dwordx2 v[7:8], v2, s[6:7]
	s_waitcnt vmcnt(1)
	v_and_b32_e32 v3, v3, v5
	v_and_b32_e32 v4, v4, v6
	v_mul_lo_u32 v4, v4, 24
	v_mul_hi_u32 v9, v3, 24
	v_mul_lo_u32 v3, v3, 24
	v_add_u32_e32 v4, v9, v4
	s_waitcnt vmcnt(0)
	v_add_co_u32_e32 v3, vcc, v7, v3
	v_addc_co_u32_e32 v4, vcc, v8, v4, vcc
	global_load_dwordx2 v[3:4], v[3:4], off glc
	s_waitcnt vmcnt(0)
	global_atomic_cmpswap_x2 v[8:9], v2, v[3:6], s[6:7] offset:24 glc
	s_waitcnt vmcnt(0)
	buffer_wbinvl1_vol
	v_cmp_ne_u64_e32 vcc, v[8:9], v[5:6]
	s_and_saveexec_b64 s[12:13], vcc
	s_cbranch_execz .LBB1_255
; %bb.252:
	s_mov_b64 s[14:15], 0
.LBB1_253:                              ; =>This Inner Loop Header: Depth=1
	s_sleep 1
	global_load_dwordx2 v[3:4], v2, s[6:7] offset:40
	global_load_dwordx2 v[10:11], v2, s[6:7]
	v_mov_b32_e32 v5, v8
	v_mov_b32_e32 v6, v9
	s_waitcnt vmcnt(1)
	v_and_b32_e32 v3, v3, v5
	s_waitcnt vmcnt(0)
	v_mad_u64_u32 v[7:8], s[16:17], v3, 24, v[10:11]
	v_and_b32_e32 v4, v4, v6
	v_mov_b32_e32 v3, v8
	v_mad_u64_u32 v[3:4], s[16:17], v4, 24, v[3:4]
	v_mov_b32_e32 v8, v3
	global_load_dwordx2 v[3:4], v[7:8], off glc
	s_waitcnt vmcnt(0)
	global_atomic_cmpswap_x2 v[8:9], v2, v[3:6], s[6:7] offset:24 glc
	s_waitcnt vmcnt(0)
	buffer_wbinvl1_vol
	v_cmp_eq_u64_e32 vcc, v[8:9], v[5:6]
	s_or_b64 s[14:15], vcc, s[14:15]
	s_andn2_b64 exec, exec, s[14:15]
	s_cbranch_execnz .LBB1_253
; %bb.254:
	s_or_b64 exec, exec, s[14:15]
.LBB1_255:
	s_or_b64 exec, exec, s[12:13]
.LBB1_256:
	s_or_b64 exec, exec, s[10:11]
	v_mov_b32_e32 v2, 0
	global_load_dwordx2 v[10:11], v2, s[6:7] offset:40
	global_load_dwordx4 v[4:7], v2, s[6:7]
	v_readfirstlane_b32 s10, v8
	v_readfirstlane_b32 s11, v9
	s_mov_b64 s[12:13], exec
	s_waitcnt vmcnt(1)
	v_readfirstlane_b32 s14, v10
	v_readfirstlane_b32 s15, v11
	s_and_b64 s[14:15], s[10:11], s[14:15]
	s_mul_i32 s16, s15, 24
	s_mul_hi_u32 s17, s14, 24
	s_mul_i32 s18, s14, 24
	s_add_i32 s16, s17, s16
	v_mov_b32_e32 v3, s16
	s_waitcnt vmcnt(0)
	v_add_co_u32_e32 v8, vcc, s18, v4
	v_addc_co_u32_e32 v9, vcc, v5, v3, vcc
	s_and_saveexec_b64 s[16:17], s[4:5]
	s_cbranch_execz .LBB1_258
; %bb.257:
	v_mov_b32_e32 v10, s12
	v_mov_b32_e32 v11, s13
	;; [unrolled: 1-line block ×4, first 2 shown]
	global_store_dwordx4 v[8:9], v[10:13], off offset:8
.LBB1_258:
	s_or_b64 exec, exec, s[16:17]
	s_lshl_b64 s[12:13], s[14:15], 12
	v_mov_b32_e32 v3, s13
	v_add_co_u32_e32 v6, vcc, s12, v6
	v_addc_co_u32_e32 v7, vcc, v7, v3, vcc
	s_movk_i32 s12, 0xff1d
	v_and_or_b32 v0, v0, s12, 34
	s_mov_b32 s12, 0
	v_mov_b32_e32 v3, v2
	v_readfirstlane_b32 s16, v6
	v_readfirstlane_b32 s17, v7
	s_mov_b32 s13, s12
	s_mov_b32 s14, s12
	;; [unrolled: 1-line block ×3, first 2 shown]
	s_nop 1
	global_store_dwordx4 v30, v[0:3], s[16:17]
	s_nop 0
	v_mov_b32_e32 v0, s12
	v_mov_b32_e32 v1, s13
	v_mov_b32_e32 v2, s14
	v_mov_b32_e32 v3, s15
	global_store_dwordx4 v30, v[0:3], s[16:17] offset:16
	global_store_dwordx4 v30, v[0:3], s[16:17] offset:32
	;; [unrolled: 1-line block ×3, first 2 shown]
	s_and_saveexec_b64 s[12:13], s[4:5]
	s_cbranch_execz .LBB1_266
; %bb.259:
	v_mov_b32_e32 v6, 0
	global_load_dwordx2 v[12:13], v6, s[6:7] offset:32 glc
	global_load_dwordx2 v[0:1], v6, s[6:7] offset:40
	v_mov_b32_e32 v10, s10
	v_mov_b32_e32 v11, s11
	s_waitcnt vmcnt(0)
	v_readfirstlane_b32 s14, v0
	v_readfirstlane_b32 s15, v1
	s_and_b64 s[14:15], s[14:15], s[10:11]
	s_mul_i32 s15, s15, 24
	s_mul_hi_u32 s16, s14, 24
	s_mul_i32 s14, s14, 24
	s_add_i32 s15, s16, s15
	v_mov_b32_e32 v0, s15
	v_add_co_u32_e32 v4, vcc, s14, v4
	v_addc_co_u32_e32 v5, vcc, v5, v0, vcc
	global_store_dwordx2 v[4:5], v[12:13], off
	s_waitcnt vmcnt(0)
	global_atomic_cmpswap_x2 v[2:3], v6, v[10:13], s[6:7] offset:32 glc
	s_waitcnt vmcnt(0)
	v_cmp_ne_u64_e32 vcc, v[2:3], v[12:13]
	s_and_saveexec_b64 s[14:15], vcc
	s_cbranch_execz .LBB1_262
; %bb.260:
	s_mov_b64 s[16:17], 0
.LBB1_261:                              ; =>This Inner Loop Header: Depth=1
	s_sleep 1
	global_store_dwordx2 v[4:5], v[2:3], off
	v_mov_b32_e32 v0, s10
	v_mov_b32_e32 v1, s11
	s_waitcnt vmcnt(0)
	global_atomic_cmpswap_x2 v[0:1], v6, v[0:3], s[6:7] offset:32 glc
	s_waitcnt vmcnt(0)
	v_cmp_eq_u64_e32 vcc, v[0:1], v[2:3]
	v_mov_b32_e32 v3, v1
	s_or_b64 s[16:17], vcc, s[16:17]
	v_mov_b32_e32 v2, v0
	s_andn2_b64 exec, exec, s[16:17]
	s_cbranch_execnz .LBB1_261
.LBB1_262:
	s_or_b64 exec, exec, s[14:15]
	v_mov_b32_e32 v3, 0
	global_load_dwordx2 v[0:1], v3, s[6:7] offset:16
	s_mov_b64 s[14:15], exec
	v_mbcnt_lo_u32_b32 v2, s14, 0
	v_mbcnt_hi_u32_b32 v2, s15, v2
	v_cmp_eq_u32_e32 vcc, 0, v2
	s_and_saveexec_b64 s[16:17], vcc
	s_cbranch_execz .LBB1_264
; %bb.263:
	s_bcnt1_i32_b64 s14, s[14:15]
	v_mov_b32_e32 v2, s14
	s_waitcnt vmcnt(0)
	global_atomic_add_x2 v[0:1], v[2:3], off offset:8
.LBB1_264:
	s_or_b64 exec, exec, s[16:17]
	s_waitcnt vmcnt(0)
	global_load_dwordx2 v[2:3], v[0:1], off offset:16
	s_waitcnt vmcnt(0)
	v_cmp_eq_u64_e32 vcc, 0, v[2:3]
	s_cbranch_vccnz .LBB1_266
; %bb.265:
	global_load_dword v0, v[0:1], off offset:24
	v_mov_b32_e32 v1, 0
	s_waitcnt vmcnt(0)
	global_store_dwordx2 v[2:3], v[0:1], off
	v_and_b32_e32 v0, 0xffffff, v0
	v_readfirstlane_b32 m0, v0
	s_sendmsg sendmsg(MSG_INTERRUPT)
.LBB1_266:
	s_or_b64 exec, exec, s[12:13]
	s_branch .LBB1_270
.LBB1_267:                              ;   in Loop: Header=BB1_270 Depth=1
	s_or_b64 exec, exec, s[12:13]
	v_readfirstlane_b32 s12, v0
	s_cmp_eq_u32 s12, 0
	s_cbranch_scc1 .LBB1_269
; %bb.268:                              ;   in Loop: Header=BB1_270 Depth=1
	s_sleep 1
	s_cbranch_execnz .LBB1_270
	s_branch .LBB1_273
.LBB1_269:
	s_branch .LBB1_273
.LBB1_270:                              ; =>This Inner Loop Header: Depth=1
	v_mov_b32_e32 v0, 1
	s_and_saveexec_b64 s[12:13], s[4:5]
	s_cbranch_execz .LBB1_267
; %bb.271:                              ;   in Loop: Header=BB1_270 Depth=1
	global_load_dword v0, v[8:9], off offset:20 glc
	s_waitcnt vmcnt(0)
	buffer_wbinvl1_vol
	v_and_b32_e32 v0, 1, v0
	s_branch .LBB1_267
.LBB1_272:
	s_or_b64 exec, exec, s[8:9]
	s_waitcnt vmcnt(0) lgkmcnt(0)
	s_setpc_b64 s[30:31]
.LBB1_273:
	s_and_saveexec_b64 s[12:13], s[4:5]
	s_cbranch_execz .LBB1_276
; %bb.274:
	v_mov_b32_e32 v6, 0
	global_load_dwordx2 v[2:3], v6, s[6:7] offset:40
	global_load_dwordx2 v[7:8], v6, s[6:7] offset:24 glc
	global_load_dwordx2 v[4:5], v6, s[6:7]
	v_mov_b32_e32 v1, s11
	s_mov_b64 s[4:5], 0
	s_waitcnt vmcnt(2)
	v_add_co_u32_e32 v9, vcc, 1, v2
	v_addc_co_u32_e32 v10, vcc, 0, v3, vcc
	v_add_co_u32_e32 v0, vcc, s10, v9
	v_addc_co_u32_e32 v1, vcc, v10, v1, vcc
	v_cmp_eq_u64_e32 vcc, 0, v[0:1]
	v_cndmask_b32_e32 v1, v1, v10, vcc
	v_cndmask_b32_e32 v0, v0, v9, vcc
	v_and_b32_e32 v3, v1, v3
	v_and_b32_e32 v2, v0, v2
	v_mul_lo_u32 v3, v3, 24
	v_mul_hi_u32 v9, v2, 24
	v_mul_lo_u32 v10, v2, 24
	s_waitcnt vmcnt(1)
	v_mov_b32_e32 v2, v7
	v_add_u32_e32 v3, v9, v3
	s_waitcnt vmcnt(0)
	v_add_co_u32_e32 v4, vcc, v4, v10
	v_addc_co_u32_e32 v5, vcc, v5, v3, vcc
	global_store_dwordx2 v[4:5], v[7:8], off
	v_mov_b32_e32 v3, v8
	s_waitcnt vmcnt(0)
	global_atomic_cmpswap_x2 v[2:3], v6, v[0:3], s[6:7] offset:24 glc
	s_waitcnt vmcnt(0)
	v_cmp_ne_u64_e32 vcc, v[2:3], v[7:8]
	s_and_b64 exec, exec, vcc
	s_cbranch_execz .LBB1_276
.LBB1_275:                              ; =>This Inner Loop Header: Depth=1
	s_sleep 1
	global_store_dwordx2 v[4:5], v[2:3], off
	s_waitcnt vmcnt(0)
	global_atomic_cmpswap_x2 v[7:8], v6, v[0:3], s[6:7] offset:24 glc
	s_waitcnt vmcnt(0)
	v_cmp_eq_u64_e32 vcc, v[7:8], v[2:3]
	v_mov_b32_e32 v2, v7
	s_or_b64 s[4:5], vcc, s[4:5]
	v_mov_b32_e32 v3, v8
	s_andn2_b64 exec, exec, s[4:5]
	s_cbranch_execnz .LBB1_275
.LBB1_276:
	s_or_b64 exec, exec, s[12:13]
	s_or_b64 exec, exec, s[8:9]
	s_waitcnt vmcnt(0) lgkmcnt(0)
	s_setpc_b64 s[30:31]
.Lfunc_end1:
	.size	_ZN8migraphx4testlsIKNS_13basic_printerIZNS_4coutEvEUlT_E_EEEERS3_S7_RKNS0_14lhs_expressionIbNS0_3nopEEE, .Lfunc_end1-_ZN8migraphx4testlsIKNS_13basic_printerIZNS_4coutEvEUlT_E_EEEERS3_S7_RKNS0_14lhs_expressionIbNS0_3nopEEE
                                        ; -- End function
	.section	.AMDGPU.csdata,"",@progbits
; Function info:
; codeLenInByte = 9240
; NumSgprs: 36
; NumVgprs: 32
; ScratchSize: 0
; MemoryBound: 0
	.text
	.p2align	2                               ; -- Begin function _ZN8migraphx4test4failEv
	.type	_ZN8migraphx4test4failEv,@function
_ZN8migraphx4test4failEv:               ; @_ZN8migraphx4test4failEv
; %bb.0:
	s_waitcnt vmcnt(0) expcnt(0) lgkmcnt(0)
	v_mov_b32_e32 v0, 0
	global_load_dword v1, v0, s[8:9] offset:18
	global_load_ushort v2, v0, s[8:9] offset:22
	s_load_dwordx2 s[6:7], s[8:9], 0x0
	s_load_dword s10, s[8:9], 0x8
	s_waitcnt vmcnt(1)
	v_cmp_ne_u16_e32 vcc, 0, v1
	s_cmp_lg_u64 vcc, 0
	v_cmp_ne_u16_sdwa s[16:17], v1, v0 src0_sel:WORD_1 src1_sel:DWORD
	s_waitcnt lgkmcnt(0)
	s_addc_u32 s11, s6, 0
	s_cmp_lg_u64 s[16:17], 0
	s_waitcnt vmcnt(0)
	v_cmp_ne_u16_e64 s[4:5], 0, v2
	s_addc_u32 s15, s7, 0
	s_cmp_lg_u64 s[4:5], 0
	s_mul_i32 s11, s15, s11
	s_addc_u32 s4, s10, 0
	s_mul_i32 s11, s11, s4
	s_cmp_lg_u32 s11, 1
	s_cbranch_scc1 .LBB2_3
; %bb.1:
	s_cmp_lt_u32 s14, s10
	s_cselect_b32 s4, 16, 22
	s_add_u32 s4, s8, s4
	s_addc_u32 s5, s9, 0
	s_cmp_lt_u32 s13, s7
	s_cselect_b32 s7, 14, 20
	s_add_u32 s10, s8, s7
	s_addc_u32 s11, s9, 0
	s_cmp_lt_u32 s12, s6
	global_load_ushort v1, v0, s[4:5]
	global_load_ushort v2, v0, s[10:11]
	s_cselect_b32 s4, 12, 18
	s_add_u32 s4, s8, s4
	s_addc_u32 s5, s9, 0
	global_load_ushort v0, v0, s[4:5]
	s_waitcnt vmcnt(1)
	v_mul_lo_u32 v1, v2, v1
	s_waitcnt vmcnt(0)
	v_mul_lo_u32 v0, v1, v0
	v_cmp_lt_u32_e32 vcc, 64, v0
	s_cbranch_vccnz .LBB2_3
; %bb.2:
	s_endpgm
.LBB2_3:
	s_trap 2
.Lfunc_end2:
	.size	_ZN8migraphx4test4failEv, .Lfunc_end2-_ZN8migraphx4test4failEv
                                        ; -- End function
	.section	.AMDGPU.csdata,"",@progbits
; Function info:
; codeLenInByte = 224
; NumSgprs: 22
; NumVgprs: 3
; ScratchSize: 0
; MemoryBound: 0
	.text
	.p2align	2                               ; -- Begin function _ZN8migraphx4test12test_manager6failedINS0_14lhs_expressionIbNS0_3nopEEEPFvvEEEvRKT_PKcSC_SC_iT0_
	.type	_ZN8migraphx4test12test_manager6failedINS0_14lhs_expressionIbNS0_3nopEEEPFvvEEEvRKT_PKcSC_SC_iT0_,@function
_ZN8migraphx4test12test_manager6failedINS0_14lhs_expressionIbNS0_3nopEEEPFvvEEEvRKT_PKcSC_SC_iT0_: ; @_ZN8migraphx4test12test_manager6failedINS0_14lhs_expressionIbNS0_3nopEEEPFvvEEEvRKT_PKcSC_SC_iT0_
; %bb.0:
	s_waitcnt vmcnt(0) expcnt(0) lgkmcnt(0)
	s_mov_b32 s4, s33
	s_mov_b32 s33, s32
	s_or_saveexec_b64 s[6:7], -1
	buffer_store_dword v40, off, s[0:3], s33 ; 4-byte Folded Spill
	s_mov_b64 exec, s[6:7]
	v_writelane_b32 v40, s4, 2
	v_writelane_b32 v40, s30, 0
	s_addk_i32 s32, 0x400
	v_writelane_b32 v40, s31, 1
	v_mov_b32_e32 v39, v3
	v_mov_b32_e32 v38, v2
	;; [unrolled: 1-line block ×3, first 2 shown]
	flat_load_ubyte v0, v[38:39]
	v_mov_b32_e32 v37, v1
	s_waitcnt vmcnt(0) lgkmcnt(0)
	v_and_b32_e32 v0, 1, v0
	v_cmp_eq_u32_e32 vcc, 1, v0
	s_xor_b64 s[4:5], vcc, -1
	s_and_saveexec_b64 s[28:29], s[4:5]
	s_cbranch_execz .LBB3_1729
; %bb.1:
	v_and_b32_e32 v0, 0x3ff, v31
	v_cmp_eq_u32_e32 vcc, 0, v0
	s_and_saveexec_b64 s[34:35], vcc
	s_cbranch_execz .LBB3_1728
; %bb.2:
	s_load_dwordx2 s[36:37], s[8:9], 0x50
	v_mbcnt_lo_u32_b32 v0, -1, 0
	v_mbcnt_hi_u32_b32 v51, -1, v0
	v_readfirstlane_b32 s4, v51
	v_mov_b32_e32 v11, 0
	v_mov_b32_e32 v12, 0
	v_cmp_eq_u32_e64 s[4:5], s4, v51
	s_and_saveexec_b64 s[6:7], s[4:5]
	s_cbranch_execz .LBB3_8
; %bb.3:
	v_mov_b32_e32 v0, 0
	s_waitcnt lgkmcnt(0)
	global_load_dwordx2 v[13:14], v0, s[36:37] offset:24 glc
	s_waitcnt vmcnt(0)
	buffer_wbinvl1_vol
	global_load_dwordx2 v[1:2], v0, s[36:37] offset:40
	global_load_dwordx2 v[9:10], v0, s[36:37]
	s_waitcnt vmcnt(1)
	v_and_b32_e32 v1, v1, v13
	v_and_b32_e32 v2, v2, v14
	v_mul_lo_u32 v2, v2, 24
	v_mul_hi_u32 v3, v1, 24
	v_mul_lo_u32 v1, v1, 24
	v_add_u32_e32 v2, v3, v2
	s_waitcnt vmcnt(0)
	v_add_co_u32_e32 v1, vcc, v9, v1
	v_addc_co_u32_e32 v2, vcc, v10, v2, vcc
	global_load_dwordx2 v[11:12], v[1:2], off glc
	s_waitcnt vmcnt(0)
	global_atomic_cmpswap_x2 v[11:12], v0, v[11:14], s[36:37] offset:24 glc
	s_waitcnt vmcnt(0)
	buffer_wbinvl1_vol
	v_cmp_ne_u64_e32 vcc, v[11:12], v[13:14]
	s_and_saveexec_b64 s[10:11], vcc
	s_cbranch_execz .LBB3_7
; %bb.4:
	s_mov_b64 s[16:17], 0
.LBB3_5:                                ; =>This Inner Loop Header: Depth=1
	s_sleep 1
	global_load_dwordx2 v[1:2], v0, s[36:37] offset:40
	global_load_dwordx2 v[9:10], v0, s[36:37]
	v_mov_b32_e32 v14, v12
	v_mov_b32_e32 v13, v11
	s_waitcnt vmcnt(1)
	v_and_b32_e32 v1, v1, v13
	s_waitcnt vmcnt(0)
	v_mad_u64_u32 v[9:10], s[18:19], v1, 24, v[9:10]
	v_and_b32_e32 v2, v2, v14
	v_mov_b32_e32 v1, v10
	v_mad_u64_u32 v[1:2], s[18:19], v2, 24, v[1:2]
	v_mov_b32_e32 v10, v1
	global_load_dwordx2 v[11:12], v[9:10], off glc
	s_waitcnt vmcnt(0)
	global_atomic_cmpswap_x2 v[11:12], v0, v[11:14], s[36:37] offset:24 glc
	s_waitcnt vmcnt(0)
	buffer_wbinvl1_vol
	v_cmp_eq_u64_e32 vcc, v[11:12], v[13:14]
	s_or_b64 s[16:17], vcc, s[16:17]
	s_andn2_b64 exec, exec, s[16:17]
	s_cbranch_execnz .LBB3_5
; %bb.6:
	s_or_b64 exec, exec, s[16:17]
.LBB3_7:
	s_or_b64 exec, exec, s[10:11]
.LBB3_8:
	s_or_b64 exec, exec, s[6:7]
	v_mov_b32_e32 v10, 0
	s_waitcnt lgkmcnt(0)
	global_load_dwordx2 v[13:14], v10, s[36:37] offset:40
	global_load_dwordx4 v[0:3], v10, s[36:37]
	v_readfirstlane_b32 s6, v11
	v_readfirstlane_b32 s7, v12
	s_mov_b64 s[10:11], exec
	s_waitcnt vmcnt(1)
	v_readfirstlane_b32 s16, v13
	v_readfirstlane_b32 s17, v14
	s_and_b64 s[16:17], s[6:7], s[16:17]
	s_mul_i32 s15, s17, 24
	s_mul_hi_u32 s18, s16, 24
	s_mul_i32 s19, s16, 24
	s_add_i32 s15, s18, s15
	v_mov_b32_e32 v9, s15
	s_waitcnt vmcnt(0)
	v_add_co_u32_e32 v13, vcc, s19, v0
	v_addc_co_u32_e32 v14, vcc, v1, v9, vcc
	s_and_saveexec_b64 s[18:19], s[4:5]
	s_cbranch_execz .LBB3_10
; %bb.9:
	v_mov_b32_e32 v16, s11
	v_mov_b32_e32 v15, s10
	;; [unrolled: 1-line block ×4, first 2 shown]
	global_store_dwordx4 v[13:14], v[15:18], off offset:8
.LBB3_10:
	s_or_b64 exec, exec, s[18:19]
	s_lshl_b64 s[10:11], s[16:17], 12
	v_mov_b32_e32 v9, s11
	v_add_co_u32_e32 v2, vcc, s10, v2
	v_addc_co_u32_e32 v3, vcc, v3, v9, vcc
	s_mov_b32 s16, 0
	v_lshlrev_b32_e32 v50, 6, v51
	v_mov_b32_e32 v9, 33
	v_mov_b32_e32 v11, v10
	;; [unrolled: 1-line block ×3, first 2 shown]
	v_readfirstlane_b32 s10, v2
	v_readfirstlane_b32 s11, v3
	v_add_co_u32_e32 v15, vcc, v2, v50
	s_mov_b32 s17, s16
	s_mov_b32 s18, s16
	;; [unrolled: 1-line block ×3, first 2 shown]
	s_nop 0
	global_store_dwordx4 v50, v[9:12], s[10:11]
	v_addc_co_u32_e32 v16, vcc, 0, v3, vcc
	v_mov_b32_e32 v9, s16
	v_mov_b32_e32 v10, s17
	;; [unrolled: 1-line block ×4, first 2 shown]
	global_store_dwordx4 v50, v[9:12], s[10:11] offset:16
	global_store_dwordx4 v50, v[9:12], s[10:11] offset:32
	;; [unrolled: 1-line block ×3, first 2 shown]
	s_and_saveexec_b64 s[10:11], s[4:5]
	s_cbranch_execz .LBB3_18
; %bb.11:
	v_mov_b32_e32 v11, 0
	global_load_dwordx2 v[19:20], v11, s[36:37] offset:32 glc
	global_load_dwordx2 v[2:3], v11, s[36:37] offset:40
	v_mov_b32_e32 v17, s6
	v_mov_b32_e32 v18, s7
	s_waitcnt vmcnt(0)
	v_and_b32_e32 v2, s6, v2
	v_and_b32_e32 v3, s7, v3
	v_mul_lo_u32 v3, v3, 24
	v_mul_hi_u32 v9, v2, 24
	v_mul_lo_u32 v2, v2, 24
	v_add_u32_e32 v3, v9, v3
	v_add_co_u32_e32 v9, vcc, v0, v2
	v_addc_co_u32_e32 v10, vcc, v1, v3, vcc
	global_store_dwordx2 v[9:10], v[19:20], off
	s_waitcnt vmcnt(0)
	global_atomic_cmpswap_x2 v[2:3], v11, v[17:20], s[36:37] offset:32 glc
	s_waitcnt vmcnt(0)
	v_cmp_ne_u64_e32 vcc, v[2:3], v[19:20]
	s_and_saveexec_b64 s[16:17], vcc
	s_cbranch_execz .LBB3_14
; %bb.12:
	s_mov_b64 s[18:19], 0
.LBB3_13:                               ; =>This Inner Loop Header: Depth=1
	s_sleep 1
	global_store_dwordx2 v[9:10], v[2:3], off
	v_mov_b32_e32 v0, s6
	v_mov_b32_e32 v1, s7
	s_waitcnt vmcnt(0)
	global_atomic_cmpswap_x2 v[0:1], v11, v[0:3], s[36:37] offset:32 glc
	s_waitcnt vmcnt(0)
	v_cmp_eq_u64_e32 vcc, v[0:1], v[2:3]
	v_mov_b32_e32 v3, v1
	s_or_b64 s[18:19], vcc, s[18:19]
	v_mov_b32_e32 v2, v0
	s_andn2_b64 exec, exec, s[18:19]
	s_cbranch_execnz .LBB3_13
.LBB3_14:
	s_or_b64 exec, exec, s[16:17]
	v_mov_b32_e32 v3, 0
	global_load_dwordx2 v[0:1], v3, s[36:37] offset:16
	s_mov_b64 s[16:17], exec
	v_mbcnt_lo_u32_b32 v2, s16, 0
	v_mbcnt_hi_u32_b32 v2, s17, v2
	v_cmp_eq_u32_e32 vcc, 0, v2
	s_and_saveexec_b64 s[18:19], vcc
	s_cbranch_execz .LBB3_16
; %bb.15:
	s_bcnt1_i32_b64 s15, s[16:17]
	v_mov_b32_e32 v2, s15
	s_waitcnt vmcnt(0)
	global_atomic_add_x2 v[0:1], v[2:3], off offset:8
.LBB3_16:
	s_or_b64 exec, exec, s[18:19]
	s_waitcnt vmcnt(0)
	global_load_dwordx2 v[2:3], v[0:1], off offset:16
	s_waitcnt vmcnt(0)
	v_cmp_eq_u64_e32 vcc, 0, v[2:3]
	s_cbranch_vccnz .LBB3_18
; %bb.17:
	global_load_dword v0, v[0:1], off offset:24
	v_mov_b32_e32 v1, 0
	s_waitcnt vmcnt(0)
	global_store_dwordx2 v[2:3], v[0:1], off
	v_and_b32_e32 v0, 0xffffff, v0
	v_readfirstlane_b32 m0, v0
	s_sendmsg sendmsg(MSG_INTERRUPT)
.LBB3_18:
	s_or_b64 exec, exec, s[10:11]
	s_branch .LBB3_22
.LBB3_19:                               ;   in Loop: Header=BB3_22 Depth=1
	s_or_b64 exec, exec, s[10:11]
	v_readfirstlane_b32 s10, v0
	s_cmp_eq_u32 s10, 0
	s_cbranch_scc1 .LBB3_21
; %bb.20:                               ;   in Loop: Header=BB3_22 Depth=1
	s_sleep 1
	s_cbranch_execnz .LBB3_22
	s_branch .LBB3_24
.LBB3_21:
	s_branch .LBB3_24
.LBB3_22:                               ; =>This Inner Loop Header: Depth=1
	v_mov_b32_e32 v0, 1
	s_and_saveexec_b64 s[10:11], s[4:5]
	s_cbranch_execz .LBB3_19
; %bb.23:                               ;   in Loop: Header=BB3_22 Depth=1
	global_load_dword v0, v[13:14], off offset:20 glc
	s_waitcnt vmcnt(0)
	buffer_wbinvl1_vol
	v_and_b32_e32 v0, 1, v0
	s_branch .LBB3_19
.LBB3_24:
	global_load_dwordx2 v[9:10], v[15:16], off
	s_and_saveexec_b64 s[10:11], s[4:5]
	s_cbranch_execz .LBB3_27
; %bb.25:
	v_mov_b32_e32 v13, 0
	global_load_dwordx2 v[2:3], v13, s[36:37] offset:40
	global_load_dwordx2 v[14:15], v13, s[36:37] offset:24 glc
	global_load_dwordx2 v[11:12], v13, s[36:37]
	v_mov_b32_e32 v1, s7
	s_mov_b64 s[4:5], 0
	s_waitcnt vmcnt(2)
	v_add_co_u32_e32 v16, vcc, 1, v2
	v_addc_co_u32_e32 v17, vcc, 0, v3, vcc
	v_add_co_u32_e32 v0, vcc, s6, v16
	v_addc_co_u32_e32 v1, vcc, v17, v1, vcc
	v_cmp_eq_u64_e32 vcc, 0, v[0:1]
	v_cndmask_b32_e32 v1, v1, v17, vcc
	v_cndmask_b32_e32 v0, v0, v16, vcc
	v_and_b32_e32 v3, v1, v3
	v_and_b32_e32 v2, v0, v2
	v_mul_lo_u32 v3, v3, 24
	v_mul_hi_u32 v16, v2, 24
	v_mul_lo_u32 v17, v2, 24
	s_waitcnt vmcnt(1)
	v_mov_b32_e32 v2, v14
	v_add_u32_e32 v3, v16, v3
	s_waitcnt vmcnt(0)
	v_add_co_u32_e32 v11, vcc, v11, v17
	v_addc_co_u32_e32 v12, vcc, v12, v3, vcc
	global_store_dwordx2 v[11:12], v[14:15], off
	v_mov_b32_e32 v3, v15
	s_waitcnt vmcnt(0)
	global_atomic_cmpswap_x2 v[2:3], v13, v[0:3], s[36:37] offset:24 glc
	s_waitcnt vmcnt(0)
	v_cmp_ne_u64_e32 vcc, v[2:3], v[14:15]
	s_and_b64 exec, exec, vcc
	s_cbranch_execz .LBB3_27
.LBB3_26:                               ; =>This Inner Loop Header: Depth=1
	s_sleep 1
	global_store_dwordx2 v[11:12], v[2:3], off
	s_waitcnt vmcnt(0)
	global_atomic_cmpswap_x2 v[14:15], v13, v[0:3], s[36:37] offset:24 glc
	s_waitcnt vmcnt(0)
	v_cmp_eq_u64_e32 vcc, v[14:15], v[2:3]
	v_mov_b32_e32 v2, v14
	s_or_b64 s[4:5], vcc, s[4:5]
	v_mov_b32_e32 v3, v15
	s_andn2_b64 exec, exec, s[4:5]
	s_cbranch_execnz .LBB3_26
.LBB3_27:
	s_or_b64 exec, exec, s[10:11]
	s_getpc_b64 s[10:11]
	s_add_u32 s10, s10, .str.7@rel32@lo+4
	s_addc_u32 s11, s11, .str.7@rel32@hi+12
	s_cmp_lg_u64 s[10:11], 0
	s_cselect_b64 s[6:7], -1, 0
	s_and_b64 vcc, exec, s[6:7]
	s_cbranch_vccz .LBB3_112
; %bb.28:
	s_waitcnt vmcnt(0)
	v_and_b32_e32 v34, 2, v9
	v_mov_b32_e32 v31, 0
	v_and_b32_e32 v0, -3, v9
	v_mov_b32_e32 v1, v10
	s_mov_b64 s[16:17], 3
	v_mov_b32_e32 v13, 2
	v_mov_b32_e32 v14, 1
	s_branch .LBB3_30
.LBB3_29:                               ;   in Loop: Header=BB3_30 Depth=1
	s_or_b64 exec, exec, s[22:23]
	s_sub_u32 s16, s16, s18
	s_subb_u32 s17, s17, s19
	s_add_u32 s10, s10, s18
	s_addc_u32 s11, s11, s19
	s_cmp_lg_u64 s[16:17], 0
	s_cbranch_scc0 .LBB3_111
.LBB3_30:                               ; =>This Loop Header: Depth=1
                                        ;     Child Loop BB3_33 Depth 2
                                        ;     Child Loop BB3_40 Depth 2
	;; [unrolled: 1-line block ×11, first 2 shown]
	v_cmp_lt_u64_e64 s[4:5], s[16:17], 56
	v_cmp_gt_u64_e64 s[20:21], s[16:17], 7
	s_and_b64 s[4:5], s[4:5], exec
	s_cselect_b32 s19, s17, 0
	s_cselect_b32 s18, s16, 56
	s_and_b64 vcc, exec, s[20:21]
	s_cbranch_vccnz .LBB3_35
; %bb.31:                               ;   in Loop: Header=BB3_30 Depth=1
	s_waitcnt vmcnt(0)
	v_mov_b32_e32 v2, 0
	s_cmp_eq_u64 s[16:17], 0
	v_mov_b32_e32 v3, 0
	s_mov_b64 s[4:5], 0
	s_cbranch_scc1 .LBB3_34
; %bb.32:                               ;   in Loop: Header=BB3_30 Depth=1
	v_mov_b32_e32 v2, 0
	s_lshl_b64 s[20:21], s[18:19], 3
	s_mov_b64 s[22:23], 0
	v_mov_b32_e32 v3, 0
	s_mov_b64 s[24:25], s[10:11]
.LBB3_33:                               ;   Parent Loop BB3_30 Depth=1
                                        ; =>  This Inner Loop Header: Depth=2
	global_load_ubyte v11, v31, s[24:25]
	s_waitcnt vmcnt(0)
	v_and_b32_e32 v30, 0xffff, v11
	v_lshlrev_b64 v[11:12], s22, v[30:31]
	s_add_u32 s22, s22, 8
	s_addc_u32 s23, s23, 0
	s_add_u32 s24, s24, 1
	s_addc_u32 s25, s25, 0
	v_or_b32_e32 v2, v11, v2
	s_cmp_lg_u32 s20, s22
	v_or_b32_e32 v3, v12, v3
	s_cbranch_scc1 .LBB3_33
.LBB3_34:                               ;   in Loop: Header=BB3_30 Depth=1
	s_mov_b32 s15, 0
	s_andn2_b64 vcc, exec, s[4:5]
	s_mov_b64 s[4:5], s[10:11]
	s_cbranch_vccz .LBB3_36
	s_branch .LBB3_37
.LBB3_35:                               ;   in Loop: Header=BB3_30 Depth=1
                                        ; implicit-def: $vgpr2_vgpr3
                                        ; implicit-def: $sgpr15
	s_mov_b64 s[4:5], s[10:11]
.LBB3_36:                               ;   in Loop: Header=BB3_30 Depth=1
	global_load_dwordx2 v[2:3], v31, s[10:11]
	s_add_i32 s15, s18, -8
	s_add_u32 s4, s10, 8
	s_addc_u32 s5, s11, 0
.LBB3_37:                               ;   in Loop: Header=BB3_30 Depth=1
	s_cmp_gt_u32 s15, 7
	s_cbranch_scc1 .LBB3_41
; %bb.38:                               ;   in Loop: Header=BB3_30 Depth=1
	s_cmp_eq_u32 s15, 0
	s_cbranch_scc1 .LBB3_42
; %bb.39:                               ;   in Loop: Header=BB3_30 Depth=1
	v_mov_b32_e32 v15, 0
	s_mov_b64 s[20:21], 0
	v_mov_b32_e32 v16, 0
	s_mov_b64 s[22:23], 0
.LBB3_40:                               ;   Parent Loop BB3_30 Depth=1
                                        ; =>  This Inner Loop Header: Depth=2
	s_add_u32 s24, s4, s22
	s_addc_u32 s25, s5, s23
	global_load_ubyte v11, v31, s[24:25]
	s_add_u32 s22, s22, 1
	s_addc_u32 s23, s23, 0
	s_waitcnt vmcnt(0)
	v_and_b32_e32 v30, 0xffff, v11
	v_lshlrev_b64 v[11:12], s20, v[30:31]
	s_add_u32 s20, s20, 8
	s_addc_u32 s21, s21, 0
	v_or_b32_e32 v15, v11, v15
	s_cmp_lg_u32 s15, s22
	v_or_b32_e32 v16, v12, v16
	s_cbranch_scc1 .LBB3_40
	s_branch .LBB3_43
.LBB3_41:                               ;   in Loop: Header=BB3_30 Depth=1
                                        ; implicit-def: $vgpr15_vgpr16
                                        ; implicit-def: $sgpr24
	s_branch .LBB3_44
.LBB3_42:                               ;   in Loop: Header=BB3_30 Depth=1
	v_mov_b32_e32 v15, 0
	v_mov_b32_e32 v16, 0
.LBB3_43:                               ;   in Loop: Header=BB3_30 Depth=1
	s_mov_b32 s24, 0
	s_cbranch_execnz .LBB3_45
.LBB3_44:                               ;   in Loop: Header=BB3_30 Depth=1
	global_load_dwordx2 v[15:16], v31, s[4:5]
	s_add_i32 s24, s15, -8
	s_add_u32 s4, s4, 8
	s_addc_u32 s5, s5, 0
.LBB3_45:                               ;   in Loop: Header=BB3_30 Depth=1
	s_cmp_gt_u32 s24, 7
	s_cbranch_scc1 .LBB3_49
; %bb.46:                               ;   in Loop: Header=BB3_30 Depth=1
	s_cmp_eq_u32 s24, 0
	s_cbranch_scc1 .LBB3_50
; %bb.47:                               ;   in Loop: Header=BB3_30 Depth=1
	v_mov_b32_e32 v17, 0
	s_mov_b64 s[20:21], 0
	v_mov_b32_e32 v18, 0
	s_mov_b64 s[22:23], 0
.LBB3_48:                               ;   Parent Loop BB3_30 Depth=1
                                        ; =>  This Inner Loop Header: Depth=2
	s_add_u32 s26, s4, s22
	s_addc_u32 s27, s5, s23
	global_load_ubyte v11, v31, s[26:27]
	s_add_u32 s22, s22, 1
	s_addc_u32 s23, s23, 0
	s_waitcnt vmcnt(0)
	v_and_b32_e32 v30, 0xffff, v11
	v_lshlrev_b64 v[11:12], s20, v[30:31]
	s_add_u32 s20, s20, 8
	s_addc_u32 s21, s21, 0
	v_or_b32_e32 v17, v11, v17
	s_cmp_lg_u32 s24, s22
	v_or_b32_e32 v18, v12, v18
	s_cbranch_scc1 .LBB3_48
	s_branch .LBB3_51
.LBB3_49:                               ;   in Loop: Header=BB3_30 Depth=1
                                        ; implicit-def: $sgpr15
	s_branch .LBB3_52
.LBB3_50:                               ;   in Loop: Header=BB3_30 Depth=1
	v_mov_b32_e32 v17, 0
	v_mov_b32_e32 v18, 0
.LBB3_51:                               ;   in Loop: Header=BB3_30 Depth=1
	s_mov_b32 s15, 0
	s_cbranch_execnz .LBB3_53
.LBB3_52:                               ;   in Loop: Header=BB3_30 Depth=1
	global_load_dwordx2 v[17:18], v31, s[4:5]
	s_add_i32 s15, s24, -8
	s_add_u32 s4, s4, 8
	s_addc_u32 s5, s5, 0
.LBB3_53:                               ;   in Loop: Header=BB3_30 Depth=1
	s_cmp_gt_u32 s15, 7
	s_cbranch_scc1 .LBB3_57
; %bb.54:                               ;   in Loop: Header=BB3_30 Depth=1
	s_cmp_eq_u32 s15, 0
	s_cbranch_scc1 .LBB3_58
; %bb.55:                               ;   in Loop: Header=BB3_30 Depth=1
	v_mov_b32_e32 v19, 0
	s_mov_b64 s[20:21], 0
	v_mov_b32_e32 v20, 0
	s_mov_b64 s[22:23], 0
.LBB3_56:                               ;   Parent Loop BB3_30 Depth=1
                                        ; =>  This Inner Loop Header: Depth=2
	s_add_u32 s24, s4, s22
	s_addc_u32 s25, s5, s23
	global_load_ubyte v11, v31, s[24:25]
	s_add_u32 s22, s22, 1
	s_addc_u32 s23, s23, 0
	s_waitcnt vmcnt(0)
	v_and_b32_e32 v30, 0xffff, v11
	v_lshlrev_b64 v[11:12], s20, v[30:31]
	s_add_u32 s20, s20, 8
	s_addc_u32 s21, s21, 0
	v_or_b32_e32 v19, v11, v19
	s_cmp_lg_u32 s15, s22
	v_or_b32_e32 v20, v12, v20
	s_cbranch_scc1 .LBB3_56
	s_branch .LBB3_59
.LBB3_57:                               ;   in Loop: Header=BB3_30 Depth=1
                                        ; implicit-def: $vgpr19_vgpr20
                                        ; implicit-def: $sgpr24
	s_branch .LBB3_60
.LBB3_58:                               ;   in Loop: Header=BB3_30 Depth=1
	v_mov_b32_e32 v19, 0
	v_mov_b32_e32 v20, 0
.LBB3_59:                               ;   in Loop: Header=BB3_30 Depth=1
	s_mov_b32 s24, 0
	s_cbranch_execnz .LBB3_61
.LBB3_60:                               ;   in Loop: Header=BB3_30 Depth=1
	global_load_dwordx2 v[19:20], v31, s[4:5]
	s_add_i32 s24, s15, -8
	s_add_u32 s4, s4, 8
	s_addc_u32 s5, s5, 0
.LBB3_61:                               ;   in Loop: Header=BB3_30 Depth=1
	s_cmp_gt_u32 s24, 7
	s_cbranch_scc1 .LBB3_65
; %bb.62:                               ;   in Loop: Header=BB3_30 Depth=1
	s_cmp_eq_u32 s24, 0
	s_cbranch_scc1 .LBB3_66
; %bb.63:                               ;   in Loop: Header=BB3_30 Depth=1
	v_mov_b32_e32 v21, 0
	s_mov_b64 s[20:21], 0
	v_mov_b32_e32 v22, 0
	s_mov_b64 s[22:23], 0
.LBB3_64:                               ;   Parent Loop BB3_30 Depth=1
                                        ; =>  This Inner Loop Header: Depth=2
	s_add_u32 s26, s4, s22
	s_addc_u32 s27, s5, s23
	global_load_ubyte v11, v31, s[26:27]
	s_add_u32 s22, s22, 1
	s_addc_u32 s23, s23, 0
	s_waitcnt vmcnt(0)
	v_and_b32_e32 v30, 0xffff, v11
	v_lshlrev_b64 v[11:12], s20, v[30:31]
	s_add_u32 s20, s20, 8
	s_addc_u32 s21, s21, 0
	v_or_b32_e32 v21, v11, v21
	s_cmp_lg_u32 s24, s22
	v_or_b32_e32 v22, v12, v22
	s_cbranch_scc1 .LBB3_64
	s_branch .LBB3_67
.LBB3_65:                               ;   in Loop: Header=BB3_30 Depth=1
                                        ; implicit-def: $sgpr15
	s_branch .LBB3_68
.LBB3_66:                               ;   in Loop: Header=BB3_30 Depth=1
	v_mov_b32_e32 v21, 0
	v_mov_b32_e32 v22, 0
.LBB3_67:                               ;   in Loop: Header=BB3_30 Depth=1
	s_mov_b32 s15, 0
	s_cbranch_execnz .LBB3_69
.LBB3_68:                               ;   in Loop: Header=BB3_30 Depth=1
	global_load_dwordx2 v[21:22], v31, s[4:5]
	s_add_i32 s15, s24, -8
	s_add_u32 s4, s4, 8
	s_addc_u32 s5, s5, 0
.LBB3_69:                               ;   in Loop: Header=BB3_30 Depth=1
	s_cmp_gt_u32 s15, 7
	s_cbranch_scc1 .LBB3_73
; %bb.70:                               ;   in Loop: Header=BB3_30 Depth=1
	s_cmp_eq_u32 s15, 0
	s_cbranch_scc1 .LBB3_74
; %bb.71:                               ;   in Loop: Header=BB3_30 Depth=1
	v_mov_b32_e32 v23, 0
	s_mov_b64 s[20:21], 0
	v_mov_b32_e32 v24, 0
	s_mov_b64 s[22:23], 0
.LBB3_72:                               ;   Parent Loop BB3_30 Depth=1
                                        ; =>  This Inner Loop Header: Depth=2
	s_add_u32 s24, s4, s22
	s_addc_u32 s25, s5, s23
	global_load_ubyte v11, v31, s[24:25]
	s_add_u32 s22, s22, 1
	s_addc_u32 s23, s23, 0
	s_waitcnt vmcnt(0)
	v_and_b32_e32 v30, 0xffff, v11
	v_lshlrev_b64 v[11:12], s20, v[30:31]
	s_add_u32 s20, s20, 8
	s_addc_u32 s21, s21, 0
	v_or_b32_e32 v23, v11, v23
	s_cmp_lg_u32 s15, s22
	v_or_b32_e32 v24, v12, v24
	s_cbranch_scc1 .LBB3_72
	s_branch .LBB3_75
.LBB3_73:                               ;   in Loop: Header=BB3_30 Depth=1
                                        ; implicit-def: $vgpr23_vgpr24
                                        ; implicit-def: $sgpr24
	s_branch .LBB3_76
.LBB3_74:                               ;   in Loop: Header=BB3_30 Depth=1
	v_mov_b32_e32 v23, 0
	v_mov_b32_e32 v24, 0
.LBB3_75:                               ;   in Loop: Header=BB3_30 Depth=1
	s_mov_b32 s24, 0
	s_cbranch_execnz .LBB3_77
.LBB3_76:                               ;   in Loop: Header=BB3_30 Depth=1
	global_load_dwordx2 v[23:24], v31, s[4:5]
	s_add_i32 s24, s15, -8
	s_add_u32 s4, s4, 8
	s_addc_u32 s5, s5, 0
.LBB3_77:                               ;   in Loop: Header=BB3_30 Depth=1
	s_cmp_gt_u32 s24, 7
	s_cbranch_scc1 .LBB3_81
; %bb.78:                               ;   in Loop: Header=BB3_30 Depth=1
	s_cmp_eq_u32 s24, 0
	s_cbranch_scc1 .LBB3_82
; %bb.79:                               ;   in Loop: Header=BB3_30 Depth=1
	v_mov_b32_e32 v25, 0
	s_mov_b64 s[20:21], 0
	v_mov_b32_e32 v26, 0
	s_mov_b64 s[22:23], s[4:5]
.LBB3_80:                               ;   Parent Loop BB3_30 Depth=1
                                        ; =>  This Inner Loop Header: Depth=2
	global_load_ubyte v11, v31, s[22:23]
	s_add_i32 s24, s24, -1
	s_waitcnt vmcnt(0)
	v_and_b32_e32 v30, 0xffff, v11
	v_lshlrev_b64 v[11:12], s20, v[30:31]
	s_add_u32 s20, s20, 8
	s_addc_u32 s21, s21, 0
	s_add_u32 s22, s22, 1
	s_addc_u32 s23, s23, 0
	v_or_b32_e32 v25, v11, v25
	s_cmp_lg_u32 s24, 0
	v_or_b32_e32 v26, v12, v26
	s_cbranch_scc1 .LBB3_80
	s_branch .LBB3_83
.LBB3_81:                               ;   in Loop: Header=BB3_30 Depth=1
	s_branch .LBB3_84
.LBB3_82:                               ;   in Loop: Header=BB3_30 Depth=1
	v_mov_b32_e32 v25, 0
	v_mov_b32_e32 v26, 0
.LBB3_83:                               ;   in Loop: Header=BB3_30 Depth=1
	s_cbranch_execnz .LBB3_85
.LBB3_84:                               ;   in Loop: Header=BB3_30 Depth=1
	global_load_dwordx2 v[25:26], v31, s[4:5]
.LBB3_85:                               ;   in Loop: Header=BB3_30 Depth=1
	v_readfirstlane_b32 s4, v51
	v_mov_b32_e32 v11, 0
	v_mov_b32_e32 v12, 0
	v_cmp_eq_u32_e64 s[4:5], s4, v51
	s_and_saveexec_b64 s[20:21], s[4:5]
	s_cbranch_execz .LBB3_91
; %bb.86:                               ;   in Loop: Header=BB3_30 Depth=1
	global_load_dwordx2 v[29:30], v31, s[36:37] offset:24 glc
	s_waitcnt vmcnt(0)
	buffer_wbinvl1_vol
	global_load_dwordx2 v[11:12], v31, s[36:37] offset:40
	global_load_dwordx2 v[27:28], v31, s[36:37]
	s_waitcnt vmcnt(1)
	v_and_b32_e32 v11, v11, v29
	v_and_b32_e32 v12, v12, v30
	v_mul_lo_u32 v12, v12, 24
	v_mul_hi_u32 v32, v11, 24
	v_mul_lo_u32 v11, v11, 24
	v_add_u32_e32 v12, v32, v12
	s_waitcnt vmcnt(0)
	v_add_co_u32_e32 v11, vcc, v27, v11
	v_addc_co_u32_e32 v12, vcc, v28, v12, vcc
	global_load_dwordx2 v[27:28], v[11:12], off glc
	s_waitcnt vmcnt(0)
	global_atomic_cmpswap_x2 v[11:12], v31, v[27:30], s[36:37] offset:24 glc
	s_waitcnt vmcnt(0)
	buffer_wbinvl1_vol
	v_cmp_ne_u64_e32 vcc, v[11:12], v[29:30]
	s_and_saveexec_b64 s[22:23], vcc
	s_cbranch_execz .LBB3_90
; %bb.87:                               ;   in Loop: Header=BB3_30 Depth=1
	s_mov_b64 s[24:25], 0
.LBB3_88:                               ;   Parent Loop BB3_30 Depth=1
                                        ; =>  This Inner Loop Header: Depth=2
	s_sleep 1
	global_load_dwordx2 v[27:28], v31, s[36:37] offset:40
	global_load_dwordx2 v[32:33], v31, s[36:37]
	v_mov_b32_e32 v30, v12
	v_mov_b32_e32 v29, v11
	s_waitcnt vmcnt(1)
	v_and_b32_e32 v11, v27, v29
	s_waitcnt vmcnt(0)
	v_mad_u64_u32 v[11:12], s[26:27], v11, 24, v[32:33]
	v_and_b32_e32 v27, v28, v30
	v_mad_u64_u32 v[27:28], s[26:27], v27, 24, v[12:13]
	v_mov_b32_e32 v12, v27
	global_load_dwordx2 v[27:28], v[11:12], off glc
	s_waitcnt vmcnt(0)
	global_atomic_cmpswap_x2 v[11:12], v31, v[27:30], s[36:37] offset:24 glc
	s_waitcnt vmcnt(0)
	buffer_wbinvl1_vol
	v_cmp_eq_u64_e32 vcc, v[11:12], v[29:30]
	s_or_b64 s[24:25], vcc, s[24:25]
	s_andn2_b64 exec, exec, s[24:25]
	s_cbranch_execnz .LBB3_88
; %bb.89:                               ;   in Loop: Header=BB3_30 Depth=1
	s_or_b64 exec, exec, s[24:25]
.LBB3_90:                               ;   in Loop: Header=BB3_30 Depth=1
	s_or_b64 exec, exec, s[22:23]
.LBB3_91:                               ;   in Loop: Header=BB3_30 Depth=1
	s_or_b64 exec, exec, s[20:21]
	global_load_dwordx2 v[32:33], v31, s[36:37] offset:40
	global_load_dwordx4 v[27:30], v31, s[36:37]
	v_readfirstlane_b32 s20, v11
	v_readfirstlane_b32 s21, v12
	s_mov_b64 s[22:23], exec
	s_waitcnt vmcnt(1)
	v_readfirstlane_b32 s24, v32
	v_readfirstlane_b32 s25, v33
	s_and_b64 s[24:25], s[20:21], s[24:25]
	s_mul_i32 s15, s25, 24
	s_mul_hi_u32 s26, s24, 24
	s_mul_i32 s27, s24, 24
	s_add_i32 s15, s26, s15
	v_mov_b32_e32 v11, s15
	s_waitcnt vmcnt(0)
	v_add_co_u32_e32 v32, vcc, s27, v27
	v_addc_co_u32_e32 v33, vcc, v28, v11, vcc
	s_and_saveexec_b64 s[26:27], s[4:5]
	s_cbranch_execz .LBB3_93
; %bb.92:                               ;   in Loop: Header=BB3_30 Depth=1
	v_mov_b32_e32 v11, s22
	v_mov_b32_e32 v12, s23
	global_store_dwordx4 v[32:33], v[11:14], off offset:8
.LBB3_93:                               ;   in Loop: Header=BB3_30 Depth=1
	s_or_b64 exec, exec, s[26:27]
	s_lshl_b64 s[22:23], s[24:25], 12
	v_mov_b32_e32 v11, s23
	v_add_co_u32_e32 v29, vcc, s22, v29
	v_addc_co_u32_e32 v35, vcc, v30, v11, vcc
	v_cmp_gt_u64_e64 vcc, s[16:17], 56
	v_or_b32_e32 v12, v0, v34
	s_lshl_b32 s15, s18, 2
	v_cndmask_b32_e32 v0, v12, v0, vcc
	s_add_i32 s15, s15, 28
	v_or_b32_e32 v11, 0, v1
	s_and_b32 s15, s15, 0x1e0
	v_and_b32_e32 v0, 0xffffff1f, v0
	v_cndmask_b32_e32 v1, v11, v1, vcc
	v_or_b32_e32 v0, s15, v0
	v_readfirstlane_b32 s22, v29
	v_readfirstlane_b32 s23, v35
	s_nop 4
	global_store_dwordx4 v50, v[0:3], s[22:23]
	global_store_dwordx4 v50, v[15:18], s[22:23] offset:16
	global_store_dwordx4 v50, v[19:22], s[22:23] offset:32
	;; [unrolled: 1-line block ×3, first 2 shown]
	s_and_saveexec_b64 s[22:23], s[4:5]
	s_cbranch_execz .LBB3_101
; %bb.94:                               ;   in Loop: Header=BB3_30 Depth=1
	global_load_dwordx2 v[17:18], v31, s[36:37] offset:32 glc
	global_load_dwordx2 v[0:1], v31, s[36:37] offset:40
	v_mov_b32_e32 v15, s20
	v_mov_b32_e32 v16, s21
	s_waitcnt vmcnt(0)
	v_readfirstlane_b32 s24, v0
	v_readfirstlane_b32 s25, v1
	s_and_b64 s[24:25], s[24:25], s[20:21]
	s_mul_i32 s15, s25, 24
	s_mul_hi_u32 s25, s24, 24
	s_mul_i32 s24, s24, 24
	s_add_i32 s15, s25, s15
	v_mov_b32_e32 v0, s15
	v_add_co_u32_e32 v11, vcc, s24, v27
	v_addc_co_u32_e32 v12, vcc, v28, v0, vcc
	global_store_dwordx2 v[11:12], v[17:18], off
	s_waitcnt vmcnt(0)
	global_atomic_cmpswap_x2 v[2:3], v31, v[15:18], s[36:37] offset:32 glc
	s_waitcnt vmcnt(0)
	v_cmp_ne_u64_e32 vcc, v[2:3], v[17:18]
	s_and_saveexec_b64 s[24:25], vcc
	s_cbranch_execz .LBB3_97
; %bb.95:                               ;   in Loop: Header=BB3_30 Depth=1
	s_mov_b64 s[26:27], 0
.LBB3_96:                               ;   Parent Loop BB3_30 Depth=1
                                        ; =>  This Inner Loop Header: Depth=2
	s_sleep 1
	global_store_dwordx2 v[11:12], v[2:3], off
	v_mov_b32_e32 v0, s20
	v_mov_b32_e32 v1, s21
	s_waitcnt vmcnt(0)
	global_atomic_cmpswap_x2 v[0:1], v31, v[0:3], s[36:37] offset:32 glc
	s_waitcnt vmcnt(0)
	v_cmp_eq_u64_e32 vcc, v[0:1], v[2:3]
	v_mov_b32_e32 v3, v1
	s_or_b64 s[26:27], vcc, s[26:27]
	v_mov_b32_e32 v2, v0
	s_andn2_b64 exec, exec, s[26:27]
	s_cbranch_execnz .LBB3_96
.LBB3_97:                               ;   in Loop: Header=BB3_30 Depth=1
	s_or_b64 exec, exec, s[24:25]
	global_load_dwordx2 v[0:1], v31, s[36:37] offset:16
	s_mov_b64 s[26:27], exec
	v_mbcnt_lo_u32_b32 v2, s26, 0
	v_mbcnt_hi_u32_b32 v2, s27, v2
	v_cmp_eq_u32_e32 vcc, 0, v2
	s_and_saveexec_b64 s[24:25], vcc
	s_cbranch_execz .LBB3_99
; %bb.98:                               ;   in Loop: Header=BB3_30 Depth=1
	s_bcnt1_i32_b64 s15, s[26:27]
	v_mov_b32_e32 v30, s15
	s_waitcnt vmcnt(0)
	global_atomic_add_x2 v[0:1], v[30:31], off offset:8
.LBB3_99:                               ;   in Loop: Header=BB3_30 Depth=1
	s_or_b64 exec, exec, s[24:25]
	s_waitcnt vmcnt(0)
	global_load_dwordx2 v[2:3], v[0:1], off offset:16
	s_waitcnt vmcnt(0)
	v_cmp_eq_u64_e32 vcc, 0, v[2:3]
	s_cbranch_vccnz .LBB3_101
; %bb.100:                              ;   in Loop: Header=BB3_30 Depth=1
	global_load_dword v30, v[0:1], off offset:24
	s_waitcnt vmcnt(0)
	v_and_b32_e32 v0, 0xffffff, v30
	v_readfirstlane_b32 m0, v0
	global_store_dwordx2 v[2:3], v[30:31], off
	s_sendmsg sendmsg(MSG_INTERRUPT)
.LBB3_101:                              ;   in Loop: Header=BB3_30 Depth=1
	s_or_b64 exec, exec, s[22:23]
	v_add_co_u32_e32 v0, vcc, v29, v50
	v_addc_co_u32_e32 v1, vcc, 0, v35, vcc
	s_branch .LBB3_105
.LBB3_102:                              ;   in Loop: Header=BB3_105 Depth=2
	s_or_b64 exec, exec, s[22:23]
	v_readfirstlane_b32 s15, v2
	s_cmp_eq_u32 s15, 0
	s_cbranch_scc1 .LBB3_104
; %bb.103:                              ;   in Loop: Header=BB3_105 Depth=2
	s_sleep 1
	s_cbranch_execnz .LBB3_105
	s_branch .LBB3_107
.LBB3_104:                              ;   in Loop: Header=BB3_30 Depth=1
	s_branch .LBB3_107
.LBB3_105:                              ;   Parent Loop BB3_30 Depth=1
                                        ; =>  This Inner Loop Header: Depth=2
	v_mov_b32_e32 v2, 1
	s_and_saveexec_b64 s[22:23], s[4:5]
	s_cbranch_execz .LBB3_102
; %bb.106:                              ;   in Loop: Header=BB3_105 Depth=2
	global_load_dword v2, v[32:33], off offset:20 glc
	s_waitcnt vmcnt(0)
	buffer_wbinvl1_vol
	v_and_b32_e32 v2, 1, v2
	s_branch .LBB3_102
.LBB3_107:                              ;   in Loop: Header=BB3_30 Depth=1
	global_load_dwordx4 v[0:3], v[0:1], off
	s_and_saveexec_b64 s[22:23], s[4:5]
	s_cbranch_execz .LBB3_29
; %bb.108:                              ;   in Loop: Header=BB3_30 Depth=1
	global_load_dwordx2 v[2:3], v31, s[36:37] offset:40
	global_load_dwordx2 v[11:12], v31, s[36:37] offset:24 glc
	global_load_dwordx2 v[18:19], v31, s[36:37]
	v_mov_b32_e32 v16, s21
	s_waitcnt vmcnt(2)
	v_add_co_u32_e32 v17, vcc, 1, v2
	v_addc_co_u32_e32 v20, vcc, 0, v3, vcc
	v_add_co_u32_e32 v15, vcc, s20, v17
	v_addc_co_u32_e32 v16, vcc, v20, v16, vcc
	v_cmp_eq_u64_e32 vcc, 0, v[15:16]
	v_cndmask_b32_e32 v16, v16, v20, vcc
	v_cndmask_b32_e32 v15, v15, v17, vcc
	v_and_b32_e32 v3, v16, v3
	v_and_b32_e32 v2, v15, v2
	v_mul_lo_u32 v3, v3, 24
	v_mul_hi_u32 v20, v2, 24
	v_mul_lo_u32 v2, v2, 24
	s_waitcnt vmcnt(1)
	v_mov_b32_e32 v17, v11
	v_add_u32_e32 v3, v20, v3
	s_waitcnt vmcnt(0)
	v_add_co_u32_e32 v2, vcc, v18, v2
	v_addc_co_u32_e32 v3, vcc, v19, v3, vcc
	global_store_dwordx2 v[2:3], v[11:12], off
	v_mov_b32_e32 v18, v12
	s_waitcnt vmcnt(0)
	global_atomic_cmpswap_x2 v[17:18], v31, v[15:18], s[36:37] offset:24 glc
	s_waitcnt vmcnt(0)
	v_cmp_ne_u64_e32 vcc, v[17:18], v[11:12]
	s_and_b64 exec, exec, vcc
	s_cbranch_execz .LBB3_29
; %bb.109:                              ;   in Loop: Header=BB3_30 Depth=1
	s_mov_b64 s[4:5], 0
.LBB3_110:                              ;   Parent Loop BB3_30 Depth=1
                                        ; =>  This Inner Loop Header: Depth=2
	s_sleep 1
	global_store_dwordx2 v[2:3], v[17:18], off
	s_waitcnt vmcnt(0)
	global_atomic_cmpswap_x2 v[11:12], v31, v[15:18], s[36:37] offset:24 glc
	s_waitcnt vmcnt(0)
	v_cmp_eq_u64_e32 vcc, v[11:12], v[17:18]
	v_mov_b32_e32 v18, v12
	s_or_b64 s[4:5], vcc, s[4:5]
	v_mov_b32_e32 v17, v11
	s_andn2_b64 exec, exec, s[4:5]
	s_cbranch_execnz .LBB3_110
	s_branch .LBB3_29
.LBB3_111:
	s_branch .LBB3_139
.LBB3_112:
                                        ; implicit-def: $vgpr0_vgpr1
	s_cbranch_execz .LBB3_139
; %bb.113:
	v_readfirstlane_b32 s4, v51
	v_mov_b32_e32 v12, 0
	v_mov_b32_e32 v13, 0
	v_cmp_eq_u32_e64 s[4:5], s4, v51
	s_and_saveexec_b64 s[10:11], s[4:5]
	s_cbranch_execz .LBB3_119
; %bb.114:
	s_waitcnt vmcnt(0)
	v_mov_b32_e32 v0, 0
	global_load_dwordx2 v[14:15], v0, s[36:37] offset:24 glc
	s_waitcnt vmcnt(0)
	buffer_wbinvl1_vol
	global_load_dwordx2 v[1:2], v0, s[36:37] offset:40
	global_load_dwordx2 v[11:12], v0, s[36:37]
	s_waitcnt vmcnt(1)
	v_and_b32_e32 v1, v1, v14
	v_and_b32_e32 v2, v2, v15
	v_mul_lo_u32 v2, v2, 24
	v_mul_hi_u32 v3, v1, 24
	v_mul_lo_u32 v1, v1, 24
	v_add_u32_e32 v2, v3, v2
	s_waitcnt vmcnt(0)
	v_add_co_u32_e32 v1, vcc, v11, v1
	v_addc_co_u32_e32 v2, vcc, v12, v2, vcc
	global_load_dwordx2 v[12:13], v[1:2], off glc
	s_waitcnt vmcnt(0)
	global_atomic_cmpswap_x2 v[12:13], v0, v[12:15], s[36:37] offset:24 glc
	s_waitcnt vmcnt(0)
	buffer_wbinvl1_vol
	v_cmp_ne_u64_e32 vcc, v[12:13], v[14:15]
	s_and_saveexec_b64 s[16:17], vcc
	s_cbranch_execz .LBB3_118
; %bb.115:
	s_mov_b64 s[18:19], 0
.LBB3_116:                              ; =>This Inner Loop Header: Depth=1
	s_sleep 1
	global_load_dwordx2 v[1:2], v0, s[36:37] offset:40
	global_load_dwordx2 v[16:17], v0, s[36:37]
	v_mov_b32_e32 v15, v13
	v_mov_b32_e32 v14, v12
	s_waitcnt vmcnt(1)
	v_and_b32_e32 v1, v1, v14
	s_waitcnt vmcnt(0)
	v_mad_u64_u32 v[11:12], s[20:21], v1, 24, v[16:17]
	v_and_b32_e32 v2, v2, v15
	v_mov_b32_e32 v1, v12
	v_mad_u64_u32 v[1:2], s[20:21], v2, 24, v[1:2]
	v_mov_b32_e32 v12, v1
	global_load_dwordx2 v[12:13], v[11:12], off glc
	s_waitcnt vmcnt(0)
	global_atomic_cmpswap_x2 v[12:13], v0, v[12:15], s[36:37] offset:24 glc
	s_waitcnt vmcnt(0)
	buffer_wbinvl1_vol
	v_cmp_eq_u64_e32 vcc, v[12:13], v[14:15]
	s_or_b64 s[18:19], vcc, s[18:19]
	s_andn2_b64 exec, exec, s[18:19]
	s_cbranch_execnz .LBB3_116
; %bb.117:
	s_or_b64 exec, exec, s[18:19]
.LBB3_118:
	s_or_b64 exec, exec, s[16:17]
.LBB3_119:
	s_or_b64 exec, exec, s[10:11]
	v_mov_b32_e32 v11, 0
	global_load_dwordx2 v[14:15], v11, s[36:37] offset:40
	global_load_dwordx4 v[0:3], v11, s[36:37]
	v_readfirstlane_b32 s10, v12
	v_readfirstlane_b32 s11, v13
	s_mov_b64 s[16:17], exec
	s_waitcnt vmcnt(1)
	v_readfirstlane_b32 s18, v14
	v_readfirstlane_b32 s19, v15
	s_and_b64 s[18:19], s[10:11], s[18:19]
	s_mul_i32 s15, s19, 24
	s_mul_hi_u32 s20, s18, 24
	s_mul_i32 s21, s18, 24
	s_add_i32 s15, s20, s15
	v_mov_b32_e32 v12, s15
	s_waitcnt vmcnt(0)
	v_add_co_u32_e32 v13, vcc, s21, v0
	v_addc_co_u32_e32 v14, vcc, v1, v12, vcc
	s_and_saveexec_b64 s[20:21], s[4:5]
	s_cbranch_execz .LBB3_121
; %bb.120:
	v_mov_b32_e32 v15, s16
	v_mov_b32_e32 v16, s17
	v_mov_b32_e32 v17, 2
	v_mov_b32_e32 v18, 1
	global_store_dwordx4 v[13:14], v[15:18], off offset:8
.LBB3_121:
	s_or_b64 exec, exec, s[20:21]
	s_lshl_b64 s[16:17], s[18:19], 12
	v_mov_b32_e32 v12, s17
	v_add_co_u32_e32 v2, vcc, s16, v2
	v_addc_co_u32_e32 v3, vcc, v3, v12, vcc
	s_movk_i32 s15, 0xff1f
	v_and_or_b32 v9, v9, s15, 32
	s_mov_b32 s16, 0
	v_mov_b32_e32 v12, v11
	v_readfirstlane_b32 s20, v2
	v_readfirstlane_b32 s21, v3
	v_add_co_u32_e32 v15, vcc, v2, v50
	s_mov_b32 s17, s16
	s_mov_b32 s18, s16
	s_mov_b32 s19, s16
	s_nop 0
	global_store_dwordx4 v50, v[9:12], s[20:21]
	v_addc_co_u32_e32 v16, vcc, 0, v3, vcc
	v_mov_b32_e32 v9, s16
	v_mov_b32_e32 v10, s17
	;; [unrolled: 1-line block ×4, first 2 shown]
	global_store_dwordx4 v50, v[9:12], s[20:21] offset:16
	global_store_dwordx4 v50, v[9:12], s[20:21] offset:32
	;; [unrolled: 1-line block ×3, first 2 shown]
	s_and_saveexec_b64 s[16:17], s[4:5]
	s_cbranch_execz .LBB3_129
; %bb.122:
	v_mov_b32_e32 v11, 0
	global_load_dwordx2 v[19:20], v11, s[36:37] offset:32 glc
	global_load_dwordx2 v[2:3], v11, s[36:37] offset:40
	v_mov_b32_e32 v17, s10
	v_mov_b32_e32 v18, s11
	s_waitcnt vmcnt(0)
	v_readfirstlane_b32 s18, v2
	v_readfirstlane_b32 s19, v3
	s_and_b64 s[18:19], s[18:19], s[10:11]
	s_mul_i32 s15, s19, 24
	s_mul_hi_u32 s19, s18, 24
	s_mul_i32 s18, s18, 24
	s_add_i32 s15, s19, s15
	v_mov_b32_e32 v2, s15
	v_add_co_u32_e32 v9, vcc, s18, v0
	v_addc_co_u32_e32 v10, vcc, v1, v2, vcc
	global_store_dwordx2 v[9:10], v[19:20], off
	s_waitcnt vmcnt(0)
	global_atomic_cmpswap_x2 v[2:3], v11, v[17:20], s[36:37] offset:32 glc
	s_waitcnt vmcnt(0)
	v_cmp_ne_u64_e32 vcc, v[2:3], v[19:20]
	s_and_saveexec_b64 s[18:19], vcc
	s_cbranch_execz .LBB3_125
; %bb.123:
	s_mov_b64 s[20:21], 0
.LBB3_124:                              ; =>This Inner Loop Header: Depth=1
	s_sleep 1
	global_store_dwordx2 v[9:10], v[2:3], off
	v_mov_b32_e32 v0, s10
	v_mov_b32_e32 v1, s11
	s_waitcnt vmcnt(0)
	global_atomic_cmpswap_x2 v[0:1], v11, v[0:3], s[36:37] offset:32 glc
	s_waitcnt vmcnt(0)
	v_cmp_eq_u64_e32 vcc, v[0:1], v[2:3]
	v_mov_b32_e32 v3, v1
	s_or_b64 s[20:21], vcc, s[20:21]
	v_mov_b32_e32 v2, v0
	s_andn2_b64 exec, exec, s[20:21]
	s_cbranch_execnz .LBB3_124
.LBB3_125:
	s_or_b64 exec, exec, s[18:19]
	v_mov_b32_e32 v3, 0
	global_load_dwordx2 v[0:1], v3, s[36:37] offset:16
	s_mov_b64 s[18:19], exec
	v_mbcnt_lo_u32_b32 v2, s18, 0
	v_mbcnt_hi_u32_b32 v2, s19, v2
	v_cmp_eq_u32_e32 vcc, 0, v2
	s_and_saveexec_b64 s[20:21], vcc
	s_cbranch_execz .LBB3_127
; %bb.126:
	s_bcnt1_i32_b64 s15, s[18:19]
	v_mov_b32_e32 v2, s15
	s_waitcnt vmcnt(0)
	global_atomic_add_x2 v[0:1], v[2:3], off offset:8
.LBB3_127:
	s_or_b64 exec, exec, s[20:21]
	s_waitcnt vmcnt(0)
	global_load_dwordx2 v[2:3], v[0:1], off offset:16
	s_waitcnt vmcnt(0)
	v_cmp_eq_u64_e32 vcc, 0, v[2:3]
	s_cbranch_vccnz .LBB3_129
; %bb.128:
	global_load_dword v0, v[0:1], off offset:24
	v_mov_b32_e32 v1, 0
	s_waitcnt vmcnt(0)
	global_store_dwordx2 v[2:3], v[0:1], off
	v_and_b32_e32 v0, 0xffffff, v0
	v_readfirstlane_b32 m0, v0
	s_sendmsg sendmsg(MSG_INTERRUPT)
.LBB3_129:
	s_or_b64 exec, exec, s[16:17]
	s_branch .LBB3_133
.LBB3_130:                              ;   in Loop: Header=BB3_133 Depth=1
	s_or_b64 exec, exec, s[16:17]
	v_readfirstlane_b32 s15, v0
	s_cmp_eq_u32 s15, 0
	s_cbranch_scc1 .LBB3_132
; %bb.131:                              ;   in Loop: Header=BB3_133 Depth=1
	s_sleep 1
	s_cbranch_execnz .LBB3_133
	s_branch .LBB3_135
.LBB3_132:
	s_branch .LBB3_135
.LBB3_133:                              ; =>This Inner Loop Header: Depth=1
	v_mov_b32_e32 v0, 1
	s_and_saveexec_b64 s[16:17], s[4:5]
	s_cbranch_execz .LBB3_130
; %bb.134:                              ;   in Loop: Header=BB3_133 Depth=1
	global_load_dword v0, v[13:14], off offset:20 glc
	s_waitcnt vmcnt(0)
	buffer_wbinvl1_vol
	v_and_b32_e32 v0, 1, v0
	s_branch .LBB3_130
.LBB3_135:
	global_load_dwordx2 v[0:1], v[15:16], off
	s_and_saveexec_b64 s[16:17], s[4:5]
	s_cbranch_execz .LBB3_138
; %bb.136:
	v_mov_b32_e32 v13, 0
	global_load_dwordx2 v[2:3], v13, s[36:37] offset:40
	global_load_dwordx2 v[14:15], v13, s[36:37] offset:24 glc
	global_load_dwordx2 v[16:17], v13, s[36:37]
	v_mov_b32_e32 v10, s11
	s_mov_b64 s[4:5], 0
	s_waitcnt vmcnt(2)
	v_add_co_u32_e32 v11, vcc, 1, v2
	v_addc_co_u32_e32 v12, vcc, 0, v3, vcc
	v_add_co_u32_e32 v9, vcc, s10, v11
	v_addc_co_u32_e32 v10, vcc, v12, v10, vcc
	v_cmp_eq_u64_e32 vcc, 0, v[9:10]
	v_cndmask_b32_e32 v10, v10, v12, vcc
	v_cndmask_b32_e32 v9, v9, v11, vcc
	v_and_b32_e32 v3, v10, v3
	v_and_b32_e32 v2, v9, v2
	v_mul_lo_u32 v3, v3, 24
	v_mul_hi_u32 v12, v2, 24
	v_mul_lo_u32 v2, v2, 24
	s_waitcnt vmcnt(1)
	v_mov_b32_e32 v11, v14
	v_add_u32_e32 v3, v12, v3
	s_waitcnt vmcnt(0)
	v_add_co_u32_e32 v2, vcc, v16, v2
	v_addc_co_u32_e32 v3, vcc, v17, v3, vcc
	global_store_dwordx2 v[2:3], v[14:15], off
	v_mov_b32_e32 v12, v15
	s_waitcnt vmcnt(0)
	global_atomic_cmpswap_x2 v[11:12], v13, v[9:12], s[36:37] offset:24 glc
	s_waitcnt vmcnt(0)
	v_cmp_ne_u64_e32 vcc, v[11:12], v[14:15]
	s_and_b64 exec, exec, vcc
	s_cbranch_execz .LBB3_138
.LBB3_137:                              ; =>This Inner Loop Header: Depth=1
	s_sleep 1
	global_store_dwordx2 v[2:3], v[11:12], off
	s_waitcnt vmcnt(0)
	global_atomic_cmpswap_x2 v[14:15], v13, v[9:12], s[36:37] offset:24 glc
	s_waitcnt vmcnt(0)
	v_cmp_eq_u64_e32 vcc, v[14:15], v[11:12]
	v_mov_b32_e32 v11, v14
	s_or_b64 s[4:5], vcc, s[4:5]
	v_mov_b32_e32 v12, v15
	s_andn2_b64 exec, exec, s[4:5]
	s_cbranch_execnz .LBB3_137
.LBB3_138:
	s_or_b64 exec, exec, s[16:17]
.LBB3_139:
	v_cmp_ne_u64_e32 vcc, 0, v[6:7]
	v_mov_b32_e32 v29, 0
	v_mov_b32_e32 v30, 0
	s_mov_b64 s[16:17], 0
	s_and_saveexec_b64 s[10:11], vcc
	s_cbranch_execnz .LBB3_142
; %bb.140:
	s_or_b64 exec, exec, s[10:11]
	s_and_saveexec_b64 s[4:5], vcc
	s_xor_b64 s[10:11], exec, s[4:5]
	s_cbranch_execnz .LBB3_145
.LBB3_141:
	s_andn2_saveexec_b64 s[10:11], s[10:11]
	s_cbranch_execnz .LBB3_230
	s_branch .LBB3_256
.LBB3_142:
	s_waitcnt vmcnt(0)
	v_add_co_u32_e64 v2, s[4:5], -1, v6
	v_addc_co_u32_e64 v3, s[4:5], -1, v7, s[4:5]
.LBB3_143:                              ; =>This Inner Loop Header: Depth=1
	flat_load_ubyte v11, v[2:3] offset:1
	v_add_co_u32_e64 v9, s[4:5], 1, v2
	v_addc_co_u32_e64 v10, s[4:5], 0, v3, s[4:5]
	v_mov_b32_e32 v2, v9
	v_mov_b32_e32 v3, v10
	s_waitcnt vmcnt(0) lgkmcnt(0)
	v_cmp_eq_u16_e64 s[4:5], 0, v11
	s_or_b64 s[16:17], s[4:5], s[16:17]
	s_andn2_b64 exec, exec, s[16:17]
	s_cbranch_execnz .LBB3_143
; %bb.144:
	s_or_b64 exec, exec, s[16:17]
	v_sub_co_u32_e64 v2, s[4:5], v9, v6
	v_subb_co_u32_e64 v3, s[4:5], v10, v7, s[4:5]
	v_add_co_u32_e64 v29, s[4:5], 1, v2
	v_addc_co_u32_e64 v30, s[4:5], 0, v3, s[4:5]
	s_or_b64 exec, exec, s[10:11]
	s_and_saveexec_b64 s[4:5], vcc
	s_xor_b64 s[10:11], exec, s[4:5]
	s_cbranch_execz .LBB3_141
.LBB3_145:
	s_waitcnt vmcnt(0)
	v_and_b32_e32 v0, -3, v0
	s_mov_b64 s[16:17], 0
	s_mov_b32 s15, 0
	v_mov_b32_e32 v32, 0
	s_movk_i32 s26, 0xff1f
	v_mov_b32_e32 v11, 2
	v_mov_b32_e32 v12, 1
	s_branch .LBB3_147
.LBB3_146:                              ;   in Loop: Header=BB3_147 Depth=1
	s_or_b64 exec, exec, s[20:21]
	v_sub_co_u32_e32 v29, vcc, v29, v33
	v_subb_co_u32_e32 v30, vcc, v30, v34, vcc
	v_cmp_eq_u64_e32 vcc, 0, v[29:30]
	s_or_b64 s[16:17], vcc, s[16:17]
	v_add_co_u32_e32 v6, vcc, v6, v33
	v_addc_co_u32_e32 v7, vcc, v7, v34, vcc
	s_andn2_b64 exec, exec, s[16:17]
	s_cbranch_execz .LBB3_229
.LBB3_147:                              ; =>This Loop Header: Depth=1
                                        ;     Child Loop BB3_150 Depth 2
                                        ;     Child Loop BB3_158 Depth 2
                                        ;     Child Loop BB3_166 Depth 2
                                        ;     Child Loop BB3_174 Depth 2
                                        ;     Child Loop BB3_182 Depth 2
                                        ;     Child Loop BB3_190 Depth 2
                                        ;     Child Loop BB3_198 Depth 2
                                        ;     Child Loop BB3_206 Depth 2
                                        ;     Child Loop BB3_214 Depth 2
                                        ;     Child Loop BB3_223 Depth 2
                                        ;     Child Loop BB3_228 Depth 2
	v_cmp_gt_u64_e32 vcc, 56, v[29:30]
	v_cmp_gt_u64_e64 s[4:5], 8, v[29:30]
	v_cndmask_b32_e32 v34, 0, v30, vcc
	v_cndmask_b32_e32 v33, 56, v29, vcc
                                        ; implicit-def: $sgpr18
	s_and_saveexec_b64 s[20:21], s[4:5]
	s_xor_b64 s[4:5], exec, s[20:21]
	s_cbranch_execz .LBB3_153
; %bb.148:                              ;   in Loop: Header=BB3_147 Depth=1
	v_cmp_ne_u64_e32 vcc, 0, v[29:30]
	s_waitcnt vmcnt(0)
	v_mov_b32_e32 v2, 0
	v_mov_b32_e32 v3, 0
	s_mov_b64 s[20:21], 0
	s_and_saveexec_b64 s[18:19], vcc
	s_cbranch_execz .LBB3_152
; %bb.149:                              ;   in Loop: Header=BB3_147 Depth=1
	v_lshlrev_b64 v[9:10], 3, v[33:34]
	v_mov_b32_e32 v2, 0
	v_mov_b32_e32 v14, v7
	;; [unrolled: 1-line block ×4, first 2 shown]
	s_mov_b64 s[22:23], 0
.LBB3_150:                              ;   Parent Loop BB3_147 Depth=1
                                        ; =>  This Inner Loop Header: Depth=2
	flat_load_ubyte v10, v[13:14]
	v_mov_b32_e32 v16, s15
	v_add_co_u32_e32 v13, vcc, 1, v13
	v_addc_co_u32_e32 v14, vcc, 0, v14, vcc
	s_waitcnt vmcnt(0) lgkmcnt(0)
	v_and_b32_e32 v15, 0xffff, v10
	v_lshlrev_b64 v[15:16], s22, v[15:16]
	s_add_u32 s22, s22, 8
	s_addc_u32 s23, s23, 0
	v_cmp_eq_u32_e32 vcc, s22, v9
	v_or_b32_e32 v3, v16, v3
	s_or_b64 s[20:21], vcc, s[20:21]
	v_or_b32_e32 v2, v15, v2
	s_andn2_b64 exec, exec, s[20:21]
	s_cbranch_execnz .LBB3_150
; %bb.151:                              ;   in Loop: Header=BB3_147 Depth=1
	s_or_b64 exec, exec, s[20:21]
.LBB3_152:                              ;   in Loop: Header=BB3_147 Depth=1
	s_or_b64 exec, exec, s[18:19]
	s_mov_b32 s18, 0
.LBB3_153:                              ;   in Loop: Header=BB3_147 Depth=1
	s_or_saveexec_b64 s[4:5], s[4:5]
	v_mov_b32_e32 v10, v7
	v_mov_b32_e32 v15, s18
	v_mov_b32_e32 v9, v6
	s_xor_b64 exec, exec, s[4:5]
	s_cbranch_execz .LBB3_155
; %bb.154:                              ;   in Loop: Header=BB3_147 Depth=1
	s_waitcnt vmcnt(0)
	flat_load_dwordx2 v[2:3], v[6:7]
	v_add_u32_e32 v15, -8, v33
	s_waitcnt vmcnt(0) lgkmcnt(0)
	v_and_b32_e32 v9, 0xff, v3
	v_and_b32_e32 v10, 0xff00, v3
	;; [unrolled: 1-line block ×4, first 2 shown]
	v_or_b32_e32 v9, v9, v10
	v_or3_b32 v3, v9, v13, v3
	v_add_co_u32_e32 v9, vcc, 8, v6
	v_or3_b32 v2, v2, 0, 0
	v_addc_co_u32_e32 v10, vcc, 0, v7, vcc
.LBB3_155:                              ;   in Loop: Header=BB3_147 Depth=1
	s_or_b64 exec, exec, s[4:5]
	v_cmp_gt_u32_e32 vcc, 8, v15
                                        ; implicit-def: $vgpr13_vgpr14
                                        ; implicit-def: $sgpr18
	s_and_saveexec_b64 s[4:5], vcc
	s_xor_b64 s[4:5], exec, s[4:5]
	s_cbranch_execz .LBB3_161
; %bb.156:                              ;   in Loop: Header=BB3_147 Depth=1
	v_mov_b32_e32 v13, 0
	v_mov_b32_e32 v14, 0
	v_cmp_ne_u32_e32 vcc, 0, v15
	s_and_saveexec_b64 s[18:19], vcc
	s_cbranch_execz .LBB3_160
; %bb.157:                              ;   in Loop: Header=BB3_147 Depth=1
	v_mov_b32_e32 v13, 0
	s_mov_b64 s[20:21], 0
	v_mov_b32_e32 v14, 0
	s_mov_b64 s[22:23], 0
	s_mov_b64 s[24:25], 0
.LBB3_158:                              ;   Parent Loop BB3_147 Depth=1
                                        ; =>  This Inner Loop Header: Depth=2
	v_mov_b32_e32 v17, s25
	v_add_co_u32_e32 v16, vcc, s24, v9
	v_addc_co_u32_e32 v17, vcc, v10, v17, vcc
	flat_load_ubyte v16, v[16:17]
	s_add_u32 s24, s24, 1
	v_mov_b32_e32 v17, s15
	s_addc_u32 s25, s25, 0
	v_cmp_eq_u32_e32 vcc, s24, v15
	s_waitcnt vmcnt(0) lgkmcnt(0)
	v_and_b32_e32 v16, 0xffff, v16
	v_lshlrev_b64 v[16:17], s22, v[16:17]
	s_add_u32 s22, s22, 8
	s_addc_u32 s23, s23, 0
	v_or_b32_e32 v14, v17, v14
	s_or_b64 s[20:21], vcc, s[20:21]
	v_or_b32_e32 v13, v16, v13
	s_andn2_b64 exec, exec, s[20:21]
	s_cbranch_execnz .LBB3_158
; %bb.159:                              ;   in Loop: Header=BB3_147 Depth=1
	s_or_b64 exec, exec, s[20:21]
.LBB3_160:                              ;   in Loop: Header=BB3_147 Depth=1
	s_or_b64 exec, exec, s[18:19]
	s_mov_b32 s18, 0
                                        ; implicit-def: $vgpr15
.LBB3_161:                              ;   in Loop: Header=BB3_147 Depth=1
	s_or_saveexec_b64 s[4:5], s[4:5]
	v_mov_b32_e32 v17, s18
	s_xor_b64 exec, exec, s[4:5]
	s_cbranch_execz .LBB3_163
; %bb.162:                              ;   in Loop: Header=BB3_147 Depth=1
	flat_load_dwordx2 v[13:14], v[9:10]
	v_add_u32_e32 v17, -8, v15
	v_add_co_u32_e32 v9, vcc, 8, v9
	v_addc_co_u32_e32 v10, vcc, 0, v10, vcc
	s_waitcnt vmcnt(0) lgkmcnt(0)
	v_and_b32_e32 v15, 0xff, v14
	v_and_b32_e32 v16, 0xff00, v14
	v_and_b32_e32 v18, 0xff0000, v14
	v_and_b32_e32 v14, 0xff000000, v14
	v_or_b32_e32 v15, v15, v16
	v_or3_b32 v13, v13, 0, 0
	v_or3_b32 v14, v15, v18, v14
.LBB3_163:                              ;   in Loop: Header=BB3_147 Depth=1
	s_or_b64 exec, exec, s[4:5]
	v_cmp_gt_u32_e32 vcc, 8, v17
                                        ; implicit-def: $sgpr18
	s_and_saveexec_b64 s[4:5], vcc
	s_xor_b64 s[4:5], exec, s[4:5]
	s_cbranch_execz .LBB3_169
; %bb.164:                              ;   in Loop: Header=BB3_147 Depth=1
	v_mov_b32_e32 v15, 0
	v_mov_b32_e32 v16, 0
	v_cmp_ne_u32_e32 vcc, 0, v17
	s_and_saveexec_b64 s[18:19], vcc
	s_cbranch_execz .LBB3_168
; %bb.165:                              ;   in Loop: Header=BB3_147 Depth=1
	v_mov_b32_e32 v15, 0
	s_mov_b64 s[20:21], 0
	v_mov_b32_e32 v16, 0
	s_mov_b64 s[22:23], 0
	s_mov_b64 s[24:25], 0
.LBB3_166:                              ;   Parent Loop BB3_147 Depth=1
                                        ; =>  This Inner Loop Header: Depth=2
	v_mov_b32_e32 v19, s25
	v_add_co_u32_e32 v18, vcc, s24, v9
	v_addc_co_u32_e32 v19, vcc, v10, v19, vcc
	flat_load_ubyte v18, v[18:19]
	s_add_u32 s24, s24, 1
	v_mov_b32_e32 v19, s15
	s_addc_u32 s25, s25, 0
	v_cmp_eq_u32_e32 vcc, s24, v17
	s_waitcnt vmcnt(0) lgkmcnt(0)
	v_and_b32_e32 v18, 0xffff, v18
	v_lshlrev_b64 v[18:19], s22, v[18:19]
	s_add_u32 s22, s22, 8
	s_addc_u32 s23, s23, 0
	v_or_b32_e32 v16, v19, v16
	s_or_b64 s[20:21], vcc, s[20:21]
	v_or_b32_e32 v15, v18, v15
	s_andn2_b64 exec, exec, s[20:21]
	s_cbranch_execnz .LBB3_166
; %bb.167:                              ;   in Loop: Header=BB3_147 Depth=1
	s_or_b64 exec, exec, s[20:21]
.LBB3_168:                              ;   in Loop: Header=BB3_147 Depth=1
	s_or_b64 exec, exec, s[18:19]
	s_mov_b32 s18, 0
                                        ; implicit-def: $vgpr17
.LBB3_169:                              ;   in Loop: Header=BB3_147 Depth=1
	s_or_saveexec_b64 s[4:5], s[4:5]
	v_mov_b32_e32 v19, s18
	s_xor_b64 exec, exec, s[4:5]
	s_cbranch_execz .LBB3_171
; %bb.170:                              ;   in Loop: Header=BB3_147 Depth=1
	flat_load_dwordx2 v[15:16], v[9:10]
	v_add_u32_e32 v19, -8, v17
	v_add_co_u32_e32 v9, vcc, 8, v9
	v_addc_co_u32_e32 v10, vcc, 0, v10, vcc
	s_waitcnt vmcnt(0) lgkmcnt(0)
	v_and_b32_e32 v17, 0xff, v16
	v_and_b32_e32 v18, 0xff00, v16
	;; [unrolled: 1-line block ×4, first 2 shown]
	v_or_b32_e32 v17, v17, v18
	v_or3_b32 v15, v15, 0, 0
	v_or3_b32 v16, v17, v20, v16
.LBB3_171:                              ;   in Loop: Header=BB3_147 Depth=1
	s_or_b64 exec, exec, s[4:5]
	v_cmp_gt_u32_e32 vcc, 8, v19
                                        ; implicit-def: $vgpr17_vgpr18
                                        ; implicit-def: $sgpr18
	s_and_saveexec_b64 s[4:5], vcc
	s_xor_b64 s[4:5], exec, s[4:5]
	s_cbranch_execz .LBB3_177
; %bb.172:                              ;   in Loop: Header=BB3_147 Depth=1
	v_mov_b32_e32 v17, 0
	v_mov_b32_e32 v18, 0
	v_cmp_ne_u32_e32 vcc, 0, v19
	s_and_saveexec_b64 s[18:19], vcc
	s_cbranch_execz .LBB3_176
; %bb.173:                              ;   in Loop: Header=BB3_147 Depth=1
	v_mov_b32_e32 v17, 0
	s_mov_b64 s[20:21], 0
	v_mov_b32_e32 v18, 0
	s_mov_b64 s[22:23], 0
	s_mov_b64 s[24:25], 0
.LBB3_174:                              ;   Parent Loop BB3_147 Depth=1
                                        ; =>  This Inner Loop Header: Depth=2
	v_mov_b32_e32 v21, s25
	v_add_co_u32_e32 v20, vcc, s24, v9
	v_addc_co_u32_e32 v21, vcc, v10, v21, vcc
	flat_load_ubyte v20, v[20:21]
	s_add_u32 s24, s24, 1
	v_mov_b32_e32 v21, s15
	s_addc_u32 s25, s25, 0
	v_cmp_eq_u32_e32 vcc, s24, v19
	s_waitcnt vmcnt(0) lgkmcnt(0)
	v_and_b32_e32 v20, 0xffff, v20
	v_lshlrev_b64 v[20:21], s22, v[20:21]
	s_add_u32 s22, s22, 8
	s_addc_u32 s23, s23, 0
	v_or_b32_e32 v18, v21, v18
	s_or_b64 s[20:21], vcc, s[20:21]
	v_or_b32_e32 v17, v20, v17
	s_andn2_b64 exec, exec, s[20:21]
	s_cbranch_execnz .LBB3_174
; %bb.175:                              ;   in Loop: Header=BB3_147 Depth=1
	s_or_b64 exec, exec, s[20:21]
.LBB3_176:                              ;   in Loop: Header=BB3_147 Depth=1
	s_or_b64 exec, exec, s[18:19]
	s_mov_b32 s18, 0
                                        ; implicit-def: $vgpr19
.LBB3_177:                              ;   in Loop: Header=BB3_147 Depth=1
	s_or_saveexec_b64 s[4:5], s[4:5]
	v_mov_b32_e32 v21, s18
	s_xor_b64 exec, exec, s[4:5]
	s_cbranch_execz .LBB3_179
; %bb.178:                              ;   in Loop: Header=BB3_147 Depth=1
	flat_load_dwordx2 v[17:18], v[9:10]
	v_add_u32_e32 v21, -8, v19
	v_add_co_u32_e32 v9, vcc, 8, v9
	v_addc_co_u32_e32 v10, vcc, 0, v10, vcc
	s_waitcnt vmcnt(0) lgkmcnt(0)
	v_and_b32_e32 v19, 0xff, v18
	v_and_b32_e32 v20, 0xff00, v18
	;; [unrolled: 1-line block ×4, first 2 shown]
	v_or_b32_e32 v19, v19, v20
	v_or3_b32 v17, v17, 0, 0
	v_or3_b32 v18, v19, v22, v18
.LBB3_179:                              ;   in Loop: Header=BB3_147 Depth=1
	s_or_b64 exec, exec, s[4:5]
	v_cmp_gt_u32_e32 vcc, 8, v21
                                        ; implicit-def: $sgpr18
	s_and_saveexec_b64 s[4:5], vcc
	s_xor_b64 s[4:5], exec, s[4:5]
	s_cbranch_execz .LBB3_185
; %bb.180:                              ;   in Loop: Header=BB3_147 Depth=1
	v_mov_b32_e32 v19, 0
	v_mov_b32_e32 v20, 0
	v_cmp_ne_u32_e32 vcc, 0, v21
	s_and_saveexec_b64 s[18:19], vcc
	s_cbranch_execz .LBB3_184
; %bb.181:                              ;   in Loop: Header=BB3_147 Depth=1
	v_mov_b32_e32 v19, 0
	s_mov_b64 s[20:21], 0
	v_mov_b32_e32 v20, 0
	s_mov_b64 s[22:23], 0
	s_mov_b64 s[24:25], 0
.LBB3_182:                              ;   Parent Loop BB3_147 Depth=1
                                        ; =>  This Inner Loop Header: Depth=2
	v_mov_b32_e32 v23, s25
	v_add_co_u32_e32 v22, vcc, s24, v9
	v_addc_co_u32_e32 v23, vcc, v10, v23, vcc
	flat_load_ubyte v22, v[22:23]
	s_add_u32 s24, s24, 1
	v_mov_b32_e32 v23, s15
	s_addc_u32 s25, s25, 0
	v_cmp_eq_u32_e32 vcc, s24, v21
	s_waitcnt vmcnt(0) lgkmcnt(0)
	v_and_b32_e32 v22, 0xffff, v22
	v_lshlrev_b64 v[22:23], s22, v[22:23]
	s_add_u32 s22, s22, 8
	s_addc_u32 s23, s23, 0
	v_or_b32_e32 v20, v23, v20
	s_or_b64 s[20:21], vcc, s[20:21]
	v_or_b32_e32 v19, v22, v19
	s_andn2_b64 exec, exec, s[20:21]
	s_cbranch_execnz .LBB3_182
; %bb.183:                              ;   in Loop: Header=BB3_147 Depth=1
	s_or_b64 exec, exec, s[20:21]
.LBB3_184:                              ;   in Loop: Header=BB3_147 Depth=1
	s_or_b64 exec, exec, s[18:19]
	s_mov_b32 s18, 0
                                        ; implicit-def: $vgpr21
.LBB3_185:                              ;   in Loop: Header=BB3_147 Depth=1
	s_or_saveexec_b64 s[4:5], s[4:5]
	v_mov_b32_e32 v23, s18
	s_xor_b64 exec, exec, s[4:5]
	s_cbranch_execz .LBB3_187
; %bb.186:                              ;   in Loop: Header=BB3_147 Depth=1
	flat_load_dwordx2 v[19:20], v[9:10]
	v_add_u32_e32 v23, -8, v21
	v_add_co_u32_e32 v9, vcc, 8, v9
	v_addc_co_u32_e32 v10, vcc, 0, v10, vcc
	s_waitcnt vmcnt(0) lgkmcnt(0)
	v_and_b32_e32 v21, 0xff, v20
	v_and_b32_e32 v22, 0xff00, v20
	;; [unrolled: 1-line block ×4, first 2 shown]
	v_or_b32_e32 v21, v21, v22
	v_or3_b32 v19, v19, 0, 0
	v_or3_b32 v20, v21, v24, v20
.LBB3_187:                              ;   in Loop: Header=BB3_147 Depth=1
	s_or_b64 exec, exec, s[4:5]
	v_cmp_gt_u32_e32 vcc, 8, v23
                                        ; implicit-def: $vgpr21_vgpr22
                                        ; implicit-def: $sgpr18
	s_and_saveexec_b64 s[4:5], vcc
	s_xor_b64 s[4:5], exec, s[4:5]
	s_cbranch_execz .LBB3_193
; %bb.188:                              ;   in Loop: Header=BB3_147 Depth=1
	v_mov_b32_e32 v21, 0
	v_mov_b32_e32 v22, 0
	v_cmp_ne_u32_e32 vcc, 0, v23
	s_and_saveexec_b64 s[18:19], vcc
	s_cbranch_execz .LBB3_192
; %bb.189:                              ;   in Loop: Header=BB3_147 Depth=1
	v_mov_b32_e32 v21, 0
	s_mov_b64 s[20:21], 0
	v_mov_b32_e32 v22, 0
	s_mov_b64 s[22:23], 0
	s_mov_b64 s[24:25], 0
.LBB3_190:                              ;   Parent Loop BB3_147 Depth=1
                                        ; =>  This Inner Loop Header: Depth=2
	v_mov_b32_e32 v25, s25
	v_add_co_u32_e32 v24, vcc, s24, v9
	v_addc_co_u32_e32 v25, vcc, v10, v25, vcc
	flat_load_ubyte v24, v[24:25]
	s_add_u32 s24, s24, 1
	v_mov_b32_e32 v25, s15
	s_addc_u32 s25, s25, 0
	v_cmp_eq_u32_e32 vcc, s24, v23
	s_waitcnt vmcnt(0) lgkmcnt(0)
	v_and_b32_e32 v24, 0xffff, v24
	v_lshlrev_b64 v[24:25], s22, v[24:25]
	s_add_u32 s22, s22, 8
	s_addc_u32 s23, s23, 0
	v_or_b32_e32 v22, v25, v22
	s_or_b64 s[20:21], vcc, s[20:21]
	v_or_b32_e32 v21, v24, v21
	s_andn2_b64 exec, exec, s[20:21]
	s_cbranch_execnz .LBB3_190
; %bb.191:                              ;   in Loop: Header=BB3_147 Depth=1
	s_or_b64 exec, exec, s[20:21]
.LBB3_192:                              ;   in Loop: Header=BB3_147 Depth=1
	s_or_b64 exec, exec, s[18:19]
	s_mov_b32 s18, 0
                                        ; implicit-def: $vgpr23
.LBB3_193:                              ;   in Loop: Header=BB3_147 Depth=1
	s_or_saveexec_b64 s[4:5], s[4:5]
	v_mov_b32_e32 v25, s18
	s_xor_b64 exec, exec, s[4:5]
	s_cbranch_execz .LBB3_195
; %bb.194:                              ;   in Loop: Header=BB3_147 Depth=1
	flat_load_dwordx2 v[21:22], v[9:10]
	v_add_u32_e32 v25, -8, v23
	v_add_co_u32_e32 v9, vcc, 8, v9
	v_addc_co_u32_e32 v10, vcc, 0, v10, vcc
	s_waitcnt vmcnt(0) lgkmcnt(0)
	v_and_b32_e32 v23, 0xff, v22
	v_and_b32_e32 v24, 0xff00, v22
	v_and_b32_e32 v26, 0xff0000, v22
	v_and_b32_e32 v22, 0xff000000, v22
	v_or_b32_e32 v23, v23, v24
	v_or3_b32 v21, v21, 0, 0
	v_or3_b32 v22, v23, v26, v22
.LBB3_195:                              ;   in Loop: Header=BB3_147 Depth=1
	s_or_b64 exec, exec, s[4:5]
	v_cmp_gt_u32_e32 vcc, 8, v25
	s_and_saveexec_b64 s[4:5], vcc
	s_xor_b64 s[4:5], exec, s[4:5]
	s_cbranch_execz .LBB3_201
; %bb.196:                              ;   in Loop: Header=BB3_147 Depth=1
	v_mov_b32_e32 v23, 0
	v_mov_b32_e32 v24, 0
	v_cmp_ne_u32_e32 vcc, 0, v25
	s_and_saveexec_b64 s[18:19], vcc
	s_cbranch_execz .LBB3_200
; %bb.197:                              ;   in Loop: Header=BB3_147 Depth=1
	v_mov_b32_e32 v23, 0
	s_mov_b64 s[20:21], 0
	v_mov_b32_e32 v24, 0
	s_mov_b64 s[22:23], 0
.LBB3_198:                              ;   Parent Loop BB3_147 Depth=1
                                        ; =>  This Inner Loop Header: Depth=2
	flat_load_ubyte v26, v[9:10]
	v_mov_b32_e32 v27, s15
	v_add_co_u32_e32 v9, vcc, 1, v9
	v_add_u32_e32 v25, -1, v25
	v_addc_co_u32_e32 v10, vcc, 0, v10, vcc
	v_cmp_eq_u32_e32 vcc, 0, v25
	s_waitcnt vmcnt(0) lgkmcnt(0)
	v_and_b32_e32 v26, 0xffff, v26
	v_lshlrev_b64 v[26:27], s22, v[26:27]
	s_add_u32 s22, s22, 8
	s_addc_u32 s23, s23, 0
	v_or_b32_e32 v24, v27, v24
	s_or_b64 s[20:21], vcc, s[20:21]
	v_or_b32_e32 v23, v26, v23
	s_andn2_b64 exec, exec, s[20:21]
	s_cbranch_execnz .LBB3_198
; %bb.199:                              ;   in Loop: Header=BB3_147 Depth=1
	s_or_b64 exec, exec, s[20:21]
.LBB3_200:                              ;   in Loop: Header=BB3_147 Depth=1
	s_or_b64 exec, exec, s[18:19]
                                        ; implicit-def: $vgpr9_vgpr10
.LBB3_201:                              ;   in Loop: Header=BB3_147 Depth=1
	s_andn2_saveexec_b64 s[4:5], s[4:5]
	s_cbranch_execz .LBB3_203
; %bb.202:                              ;   in Loop: Header=BB3_147 Depth=1
	flat_load_dwordx2 v[9:10], v[9:10]
	s_waitcnt vmcnt(0) lgkmcnt(0)
	v_and_b32_e32 v23, 0xff, v10
	v_and_b32_e32 v24, 0xff00, v10
	v_and_b32_e32 v25, 0xff0000, v10
	v_and_b32_e32 v10, 0xff000000, v10
	v_or_b32_e32 v23, v23, v24
	v_or3_b32 v24, v23, v25, v10
	v_or3_b32 v23, v9, 0, 0
.LBB3_203:                              ;   in Loop: Header=BB3_147 Depth=1
	s_or_b64 exec, exec, s[4:5]
	v_readfirstlane_b32 s4, v51
	v_mov_b32_e32 v9, 0
	v_mov_b32_e32 v10, 0
	v_cmp_eq_u32_e64 s[4:5], s4, v51
	s_and_saveexec_b64 s[18:19], s[4:5]
	s_cbranch_execz .LBB3_209
; %bb.204:                              ;   in Loop: Header=BB3_147 Depth=1
	global_load_dwordx2 v[27:28], v32, s[36:37] offset:24 glc
	s_waitcnt vmcnt(0)
	buffer_wbinvl1_vol
	global_load_dwordx2 v[9:10], v32, s[36:37] offset:40
	global_load_dwordx2 v[25:26], v32, s[36:37]
	s_waitcnt vmcnt(1)
	v_and_b32_e32 v9, v9, v27
	v_and_b32_e32 v10, v10, v28
	v_mul_lo_u32 v10, v10, 24
	v_mul_hi_u32 v31, v9, 24
	v_mul_lo_u32 v9, v9, 24
	v_add_u32_e32 v10, v31, v10
	s_waitcnt vmcnt(0)
	v_add_co_u32_e32 v9, vcc, v25, v9
	v_addc_co_u32_e32 v10, vcc, v26, v10, vcc
	global_load_dwordx2 v[25:26], v[9:10], off glc
	s_waitcnt vmcnt(0)
	global_atomic_cmpswap_x2 v[9:10], v32, v[25:28], s[36:37] offset:24 glc
	s_waitcnt vmcnt(0)
	buffer_wbinvl1_vol
	v_cmp_ne_u64_e32 vcc, v[9:10], v[27:28]
	s_and_saveexec_b64 s[20:21], vcc
	s_cbranch_execz .LBB3_208
; %bb.205:                              ;   in Loop: Header=BB3_147 Depth=1
	s_mov_b64 s[22:23], 0
.LBB3_206:                              ;   Parent Loop BB3_147 Depth=1
                                        ; =>  This Inner Loop Header: Depth=2
	s_sleep 1
	global_load_dwordx2 v[25:26], v32, s[36:37] offset:40
	global_load_dwordx2 v[48:49], v32, s[36:37]
	v_mov_b32_e32 v28, v10
	v_mov_b32_e32 v27, v9
	s_waitcnt vmcnt(1)
	v_and_b32_e32 v9, v25, v27
	s_waitcnt vmcnt(0)
	v_mad_u64_u32 v[9:10], s[24:25], v9, 24, v[48:49]
	v_and_b32_e32 v25, v26, v28
	v_mad_u64_u32 v[25:26], s[24:25], v25, 24, v[10:11]
	v_mov_b32_e32 v10, v25
	global_load_dwordx2 v[25:26], v[9:10], off glc
	s_waitcnt vmcnt(0)
	global_atomic_cmpswap_x2 v[9:10], v32, v[25:28], s[36:37] offset:24 glc
	s_waitcnt vmcnt(0)
	buffer_wbinvl1_vol
	v_cmp_eq_u64_e32 vcc, v[9:10], v[27:28]
	s_or_b64 s[22:23], vcc, s[22:23]
	s_andn2_b64 exec, exec, s[22:23]
	s_cbranch_execnz .LBB3_206
; %bb.207:                              ;   in Loop: Header=BB3_147 Depth=1
	s_or_b64 exec, exec, s[22:23]
.LBB3_208:                              ;   in Loop: Header=BB3_147 Depth=1
	s_or_b64 exec, exec, s[20:21]
.LBB3_209:                              ;   in Loop: Header=BB3_147 Depth=1
	s_or_b64 exec, exec, s[18:19]
	global_load_dwordx2 v[48:49], v32, s[36:37] offset:40
	global_load_dwordx4 v[25:28], v32, s[36:37]
	v_readfirstlane_b32 s18, v9
	v_readfirstlane_b32 s19, v10
	s_mov_b64 s[20:21], exec
	s_waitcnt vmcnt(1)
	v_readfirstlane_b32 s22, v48
	v_readfirstlane_b32 s23, v49
	s_and_b64 s[22:23], s[18:19], s[22:23]
	s_mul_i32 s24, s23, 24
	s_mul_hi_u32 s25, s22, 24
	s_mul_i32 s27, s22, 24
	s_add_i32 s24, s25, s24
	v_mov_b32_e32 v9, s24
	s_waitcnt vmcnt(0)
	v_add_co_u32_e32 v48, vcc, s27, v25
	v_addc_co_u32_e32 v49, vcc, v26, v9, vcc
	s_and_saveexec_b64 s[24:25], s[4:5]
	s_cbranch_execz .LBB3_211
; %bb.210:                              ;   in Loop: Header=BB3_147 Depth=1
	v_mov_b32_e32 v9, s20
	v_mov_b32_e32 v10, s21
	global_store_dwordx4 v[48:49], v[9:12], off offset:8
.LBB3_211:                              ;   in Loop: Header=BB3_147 Depth=1
	s_or_b64 exec, exec, s[24:25]
	s_lshl_b64 s[20:21], s[22:23], 12
	v_mov_b32_e32 v9, s21
	v_add_co_u32_e32 v27, vcc, s20, v27
	v_addc_co_u32_e32 v28, vcc, v28, v9, vcc
	v_cmp_lt_u64_e32 vcc, 56, v[29:30]
	v_or_b32_e32 v9, 2, v0
	v_cndmask_b32_e32 v0, v9, v0, vcc
	v_lshl_add_u32 v9, v33, 2, 28
	v_and_b32_e32 v9, 0x1e0, v9
	v_and_or_b32 v0, v0, s26, v9
	v_readfirstlane_b32 s20, v27
	v_readfirstlane_b32 s21, v28
	s_nop 4
	global_store_dwordx4 v50, v[0:3], s[20:21]
	global_store_dwordx4 v50, v[13:16], s[20:21] offset:16
	global_store_dwordx4 v50, v[17:20], s[20:21] offset:32
	;; [unrolled: 1-line block ×3, first 2 shown]
	s_and_saveexec_b64 s[20:21], s[4:5]
	s_cbranch_execz .LBB3_219
; %bb.212:                              ;   in Loop: Header=BB3_147 Depth=1
	global_load_dwordx2 v[15:16], v32, s[36:37] offset:32 glc
	global_load_dwordx2 v[0:1], v32, s[36:37] offset:40
	v_mov_b32_e32 v13, s18
	v_mov_b32_e32 v14, s19
	s_waitcnt vmcnt(0)
	v_readfirstlane_b32 s22, v0
	v_readfirstlane_b32 s23, v1
	s_and_b64 s[22:23], s[22:23], s[18:19]
	s_mul_i32 s23, s23, 24
	s_mul_hi_u32 s24, s22, 24
	s_mul_i32 s22, s22, 24
	s_add_i32 s23, s24, s23
	v_mov_b32_e32 v0, s23
	v_add_co_u32_e32 v9, vcc, s22, v25
	v_addc_co_u32_e32 v10, vcc, v26, v0, vcc
	global_store_dwordx2 v[9:10], v[15:16], off
	s_waitcnt vmcnt(0)
	global_atomic_cmpswap_x2 v[2:3], v32, v[13:16], s[36:37] offset:32 glc
	s_waitcnt vmcnt(0)
	v_cmp_ne_u64_e32 vcc, v[2:3], v[15:16]
	s_and_saveexec_b64 s[22:23], vcc
	s_cbranch_execz .LBB3_215
; %bb.213:                              ;   in Loop: Header=BB3_147 Depth=1
	s_mov_b64 s[24:25], 0
.LBB3_214:                              ;   Parent Loop BB3_147 Depth=1
                                        ; =>  This Inner Loop Header: Depth=2
	s_sleep 1
	global_store_dwordx2 v[9:10], v[2:3], off
	v_mov_b32_e32 v0, s18
	v_mov_b32_e32 v1, s19
	s_waitcnt vmcnt(0)
	global_atomic_cmpswap_x2 v[0:1], v32, v[0:3], s[36:37] offset:32 glc
	s_waitcnt vmcnt(0)
	v_cmp_eq_u64_e32 vcc, v[0:1], v[2:3]
	v_mov_b32_e32 v3, v1
	s_or_b64 s[24:25], vcc, s[24:25]
	v_mov_b32_e32 v2, v0
	s_andn2_b64 exec, exec, s[24:25]
	s_cbranch_execnz .LBB3_214
.LBB3_215:                              ;   in Loop: Header=BB3_147 Depth=1
	s_or_b64 exec, exec, s[22:23]
	global_load_dwordx2 v[0:1], v32, s[36:37] offset:16
	s_mov_b64 s[24:25], exec
	v_mbcnt_lo_u32_b32 v2, s24, 0
	v_mbcnt_hi_u32_b32 v2, s25, v2
	v_cmp_eq_u32_e32 vcc, 0, v2
	s_and_saveexec_b64 s[22:23], vcc
	s_cbranch_execz .LBB3_217
; %bb.216:                              ;   in Loop: Header=BB3_147 Depth=1
	s_bcnt1_i32_b64 s24, s[24:25]
	v_mov_b32_e32 v31, s24
	s_waitcnt vmcnt(0)
	global_atomic_add_x2 v[0:1], v[31:32], off offset:8
.LBB3_217:                              ;   in Loop: Header=BB3_147 Depth=1
	s_or_b64 exec, exec, s[22:23]
	s_waitcnt vmcnt(0)
	global_load_dwordx2 v[2:3], v[0:1], off offset:16
	s_waitcnt vmcnt(0)
	v_cmp_eq_u64_e32 vcc, 0, v[2:3]
	s_cbranch_vccnz .LBB3_219
; %bb.218:                              ;   in Loop: Header=BB3_147 Depth=1
	global_load_dword v31, v[0:1], off offset:24
	s_waitcnt vmcnt(0)
	v_and_b32_e32 v0, 0xffffff, v31
	v_readfirstlane_b32 m0, v0
	global_store_dwordx2 v[2:3], v[31:32], off
	s_sendmsg sendmsg(MSG_INTERRUPT)
.LBB3_219:                              ;   in Loop: Header=BB3_147 Depth=1
	s_or_b64 exec, exec, s[20:21]
	v_add_co_u32_e32 v0, vcc, v27, v50
	v_addc_co_u32_e32 v1, vcc, 0, v28, vcc
	s_branch .LBB3_223
.LBB3_220:                              ;   in Loop: Header=BB3_223 Depth=2
	s_or_b64 exec, exec, s[20:21]
	v_readfirstlane_b32 s20, v2
	s_cmp_eq_u32 s20, 0
	s_cbranch_scc1 .LBB3_222
; %bb.221:                              ;   in Loop: Header=BB3_223 Depth=2
	s_sleep 1
	s_cbranch_execnz .LBB3_223
	s_branch .LBB3_225
.LBB3_222:                              ;   in Loop: Header=BB3_147 Depth=1
	s_branch .LBB3_225
.LBB3_223:                              ;   Parent Loop BB3_147 Depth=1
                                        ; =>  This Inner Loop Header: Depth=2
	v_mov_b32_e32 v2, 1
	s_and_saveexec_b64 s[20:21], s[4:5]
	s_cbranch_execz .LBB3_220
; %bb.224:                              ;   in Loop: Header=BB3_223 Depth=2
	global_load_dword v2, v[48:49], off offset:20 glc
	s_waitcnt vmcnt(0)
	buffer_wbinvl1_vol
	v_and_b32_e32 v2, 1, v2
	s_branch .LBB3_220
.LBB3_225:                              ;   in Loop: Header=BB3_147 Depth=1
	global_load_dwordx4 v[0:3], v[0:1], off
	s_and_saveexec_b64 s[20:21], s[4:5]
	s_cbranch_execz .LBB3_146
; %bb.226:                              ;   in Loop: Header=BB3_147 Depth=1
	global_load_dwordx2 v[2:3], v32, s[36:37] offset:40
	global_load_dwordx2 v[9:10], v32, s[36:37] offset:24 glc
	global_load_dwordx2 v[16:17], v32, s[36:37]
	v_mov_b32_e32 v14, s19
	s_waitcnt vmcnt(2)
	v_add_co_u32_e32 v15, vcc, 1, v2
	v_addc_co_u32_e32 v18, vcc, 0, v3, vcc
	v_add_co_u32_e32 v13, vcc, s18, v15
	v_addc_co_u32_e32 v14, vcc, v18, v14, vcc
	v_cmp_eq_u64_e32 vcc, 0, v[13:14]
	v_cndmask_b32_e32 v14, v14, v18, vcc
	v_cndmask_b32_e32 v13, v13, v15, vcc
	v_and_b32_e32 v3, v14, v3
	v_and_b32_e32 v2, v13, v2
	v_mul_lo_u32 v3, v3, 24
	v_mul_hi_u32 v18, v2, 24
	v_mul_lo_u32 v2, v2, 24
	s_waitcnt vmcnt(1)
	v_mov_b32_e32 v15, v9
	v_add_u32_e32 v3, v18, v3
	s_waitcnt vmcnt(0)
	v_add_co_u32_e32 v2, vcc, v16, v2
	v_addc_co_u32_e32 v3, vcc, v17, v3, vcc
	global_store_dwordx2 v[2:3], v[9:10], off
	v_mov_b32_e32 v16, v10
	s_waitcnt vmcnt(0)
	global_atomic_cmpswap_x2 v[15:16], v32, v[13:16], s[36:37] offset:24 glc
	s_waitcnt vmcnt(0)
	v_cmp_ne_u64_e32 vcc, v[15:16], v[9:10]
	s_and_b64 exec, exec, vcc
	s_cbranch_execz .LBB3_146
; %bb.227:                              ;   in Loop: Header=BB3_147 Depth=1
	s_mov_b64 s[4:5], 0
.LBB3_228:                              ;   Parent Loop BB3_147 Depth=1
                                        ; =>  This Inner Loop Header: Depth=2
	s_sleep 1
	global_store_dwordx2 v[2:3], v[15:16], off
	s_waitcnt vmcnt(0)
	global_atomic_cmpswap_x2 v[9:10], v32, v[13:16], s[36:37] offset:24 glc
	s_waitcnt vmcnt(0)
	v_cmp_eq_u64_e32 vcc, v[9:10], v[15:16]
	v_mov_b32_e32 v16, v10
	s_or_b64 s[4:5], vcc, s[4:5]
	v_mov_b32_e32 v15, v9
	s_andn2_b64 exec, exec, s[4:5]
	s_cbranch_execnz .LBB3_228
	s_branch .LBB3_146
.LBB3_229:
	s_or_b64 exec, exec, s[16:17]
                                        ; implicit-def: $vgpr0_vgpr1
	s_andn2_saveexec_b64 s[10:11], s[10:11]
	s_cbranch_execz .LBB3_256
.LBB3_230:
	v_readfirstlane_b32 s4, v51
	v_mov_b32_e32 v6, 0
	v_mov_b32_e32 v7, 0
	v_cmp_eq_u32_e64 s[4:5], s4, v51
	s_and_saveexec_b64 s[16:17], s[4:5]
	s_cbranch_execz .LBB3_236
; %bb.231:
	s_waitcnt vmcnt(0)
	v_mov_b32_e32 v2, 0
	global_load_dwordx2 v[11:12], v2, s[36:37] offset:24 glc
	s_waitcnt vmcnt(0)
	buffer_wbinvl1_vol
	global_load_dwordx2 v[6:7], v2, s[36:37] offset:40
	global_load_dwordx2 v[9:10], v2, s[36:37]
	s_waitcnt vmcnt(1)
	v_and_b32_e32 v3, v6, v11
	v_and_b32_e32 v6, v7, v12
	v_mul_lo_u32 v6, v6, 24
	v_mul_hi_u32 v7, v3, 24
	v_mul_lo_u32 v3, v3, 24
	v_add_u32_e32 v7, v7, v6
	s_waitcnt vmcnt(0)
	v_add_co_u32_e32 v6, vcc, v9, v3
	v_addc_co_u32_e32 v7, vcc, v10, v7, vcc
	global_load_dwordx2 v[9:10], v[6:7], off glc
	s_waitcnt vmcnt(0)
	global_atomic_cmpswap_x2 v[6:7], v2, v[9:12], s[36:37] offset:24 glc
	s_waitcnt vmcnt(0)
	buffer_wbinvl1_vol
	v_cmp_ne_u64_e32 vcc, v[6:7], v[11:12]
	s_and_saveexec_b64 s[18:19], vcc
	s_cbranch_execz .LBB3_235
; %bb.232:
	s_mov_b64 s[20:21], 0
.LBB3_233:                              ; =>This Inner Loop Header: Depth=1
	s_sleep 1
	global_load_dwordx2 v[9:10], v2, s[36:37] offset:40
	global_load_dwordx2 v[13:14], v2, s[36:37]
	v_mov_b32_e32 v12, v7
	v_mov_b32_e32 v11, v6
	s_waitcnt vmcnt(1)
	v_and_b32_e32 v3, v9, v11
	s_waitcnt vmcnt(0)
	v_mad_u64_u32 v[6:7], s[22:23], v3, 24, v[13:14]
	v_and_b32_e32 v9, v10, v12
	v_mov_b32_e32 v3, v7
	v_mad_u64_u32 v[9:10], s[22:23], v9, 24, v[3:4]
	v_mov_b32_e32 v7, v9
	global_load_dwordx2 v[9:10], v[6:7], off glc
	s_waitcnt vmcnt(0)
	global_atomic_cmpswap_x2 v[6:7], v2, v[9:12], s[36:37] offset:24 glc
	s_waitcnt vmcnt(0)
	buffer_wbinvl1_vol
	v_cmp_eq_u64_e32 vcc, v[6:7], v[11:12]
	s_or_b64 s[20:21], vcc, s[20:21]
	s_andn2_b64 exec, exec, s[20:21]
	s_cbranch_execnz .LBB3_233
; %bb.234:
	s_or_b64 exec, exec, s[20:21]
.LBB3_235:
	s_or_b64 exec, exec, s[18:19]
.LBB3_236:
	s_or_b64 exec, exec, s[16:17]
	s_waitcnt vmcnt(0)
	v_mov_b32_e32 v2, 0
	global_load_dwordx2 v[13:14], v2, s[36:37] offset:40
	global_load_dwordx4 v[9:12], v2, s[36:37]
	v_readfirstlane_b32 s16, v6
	v_readfirstlane_b32 s17, v7
	s_mov_b64 s[18:19], exec
	s_waitcnt vmcnt(1)
	v_readfirstlane_b32 s20, v13
	v_readfirstlane_b32 s21, v14
	s_and_b64 s[20:21], s[16:17], s[20:21]
	s_mul_i32 s15, s21, 24
	s_mul_hi_u32 s22, s20, 24
	s_mul_i32 s23, s20, 24
	s_add_i32 s15, s22, s15
	v_mov_b32_e32 v3, s15
	s_waitcnt vmcnt(0)
	v_add_co_u32_e32 v6, vcc, s23, v9
	v_addc_co_u32_e32 v7, vcc, v10, v3, vcc
	s_and_saveexec_b64 s[22:23], s[4:5]
	s_cbranch_execz .LBB3_238
; %bb.237:
	v_mov_b32_e32 v13, s18
	v_mov_b32_e32 v14, s19
	;; [unrolled: 1-line block ×4, first 2 shown]
	global_store_dwordx4 v[6:7], v[13:16], off offset:8
.LBB3_238:
	s_or_b64 exec, exec, s[22:23]
	s_lshl_b64 s[18:19], s[20:21], 12
	v_mov_b32_e32 v3, s19
	v_add_co_u32_e32 v11, vcc, s18, v11
	v_addc_co_u32_e32 v12, vcc, v12, v3, vcc
	s_movk_i32 s15, 0xff1d
	v_and_or_b32 v0, v0, s15, 34
	s_mov_b32 s20, 0
	v_mov_b32_e32 v3, v2
	v_readfirstlane_b32 s18, v11
	v_readfirstlane_b32 s19, v12
	s_mov_b32 s21, s20
	s_mov_b32 s22, s20
	;; [unrolled: 1-line block ×3, first 2 shown]
	s_nop 1
	global_store_dwordx4 v50, v[0:3], s[18:19]
	s_nop 0
	v_mov_b32_e32 v0, s20
	v_mov_b32_e32 v1, s21
	;; [unrolled: 1-line block ×4, first 2 shown]
	global_store_dwordx4 v50, v[0:3], s[18:19] offset:16
	global_store_dwordx4 v50, v[0:3], s[18:19] offset:32
	;; [unrolled: 1-line block ×3, first 2 shown]
	s_and_saveexec_b64 s[18:19], s[4:5]
	s_cbranch_execz .LBB3_246
; %bb.239:
	v_mov_b32_e32 v11, 0
	global_load_dwordx2 v[14:15], v11, s[36:37] offset:32 glc
	global_load_dwordx2 v[0:1], v11, s[36:37] offset:40
	v_mov_b32_e32 v12, s16
	v_mov_b32_e32 v13, s17
	s_waitcnt vmcnt(0)
	v_readfirstlane_b32 s20, v0
	v_readfirstlane_b32 s21, v1
	s_and_b64 s[20:21], s[20:21], s[16:17]
	s_mul_i32 s15, s21, 24
	s_mul_hi_u32 s21, s20, 24
	s_mul_i32 s20, s20, 24
	s_add_i32 s15, s21, s15
	v_mov_b32_e32 v0, s15
	v_add_co_u32_e32 v9, vcc, s20, v9
	v_addc_co_u32_e32 v10, vcc, v10, v0, vcc
	global_store_dwordx2 v[9:10], v[14:15], off
	s_waitcnt vmcnt(0)
	global_atomic_cmpswap_x2 v[2:3], v11, v[12:15], s[36:37] offset:32 glc
	s_waitcnt vmcnt(0)
	v_cmp_ne_u64_e32 vcc, v[2:3], v[14:15]
	s_and_saveexec_b64 s[20:21], vcc
	s_cbranch_execz .LBB3_242
; %bb.240:
	s_mov_b64 s[22:23], 0
.LBB3_241:                              ; =>This Inner Loop Header: Depth=1
	s_sleep 1
	global_store_dwordx2 v[9:10], v[2:3], off
	v_mov_b32_e32 v0, s16
	v_mov_b32_e32 v1, s17
	s_waitcnt vmcnt(0)
	global_atomic_cmpswap_x2 v[0:1], v11, v[0:3], s[36:37] offset:32 glc
	s_waitcnt vmcnt(0)
	v_cmp_eq_u64_e32 vcc, v[0:1], v[2:3]
	v_mov_b32_e32 v3, v1
	s_or_b64 s[22:23], vcc, s[22:23]
	v_mov_b32_e32 v2, v0
	s_andn2_b64 exec, exec, s[22:23]
	s_cbranch_execnz .LBB3_241
.LBB3_242:
	s_or_b64 exec, exec, s[20:21]
	v_mov_b32_e32 v3, 0
	global_load_dwordx2 v[0:1], v3, s[36:37] offset:16
	s_mov_b64 s[20:21], exec
	v_mbcnt_lo_u32_b32 v2, s20, 0
	v_mbcnt_hi_u32_b32 v2, s21, v2
	v_cmp_eq_u32_e32 vcc, 0, v2
	s_and_saveexec_b64 s[22:23], vcc
	s_cbranch_execz .LBB3_244
; %bb.243:
	s_bcnt1_i32_b64 s15, s[20:21]
	v_mov_b32_e32 v2, s15
	s_waitcnt vmcnt(0)
	global_atomic_add_x2 v[0:1], v[2:3], off offset:8
.LBB3_244:
	s_or_b64 exec, exec, s[22:23]
	s_waitcnt vmcnt(0)
	global_load_dwordx2 v[2:3], v[0:1], off offset:16
	s_waitcnt vmcnt(0)
	v_cmp_eq_u64_e32 vcc, 0, v[2:3]
	s_cbranch_vccnz .LBB3_246
; %bb.245:
	global_load_dword v0, v[0:1], off offset:24
	v_mov_b32_e32 v1, 0
	s_waitcnt vmcnt(0)
	global_store_dwordx2 v[2:3], v[0:1], off
	v_and_b32_e32 v0, 0xffffff, v0
	v_readfirstlane_b32 m0, v0
	s_sendmsg sendmsg(MSG_INTERRUPT)
.LBB3_246:
	s_or_b64 exec, exec, s[18:19]
	s_branch .LBB3_250
.LBB3_247:                              ;   in Loop: Header=BB3_250 Depth=1
	s_or_b64 exec, exec, s[18:19]
	v_readfirstlane_b32 s15, v0
	s_cmp_eq_u32 s15, 0
	s_cbranch_scc1 .LBB3_249
; %bb.248:                              ;   in Loop: Header=BB3_250 Depth=1
	s_sleep 1
	s_cbranch_execnz .LBB3_250
	s_branch .LBB3_252
.LBB3_249:
	s_branch .LBB3_252
.LBB3_250:                              ; =>This Inner Loop Header: Depth=1
	v_mov_b32_e32 v0, 1
	s_and_saveexec_b64 s[18:19], s[4:5]
	s_cbranch_execz .LBB3_247
; %bb.251:                              ;   in Loop: Header=BB3_250 Depth=1
	global_load_dword v0, v[6:7], off offset:20 glc
	s_waitcnt vmcnt(0)
	buffer_wbinvl1_vol
	v_and_b32_e32 v0, 1, v0
	s_branch .LBB3_247
.LBB3_252:
	s_and_saveexec_b64 s[18:19], s[4:5]
	s_cbranch_execz .LBB3_255
; %bb.253:
	v_mov_b32_e32 v9, 0
	global_load_dwordx2 v[2:3], v9, s[36:37] offset:40
	global_load_dwordx2 v[10:11], v9, s[36:37] offset:24 glc
	global_load_dwordx2 v[6:7], v9, s[36:37]
	v_mov_b32_e32 v1, s17
	s_mov_b64 s[4:5], 0
	s_waitcnt vmcnt(2)
	v_add_co_u32_e32 v12, vcc, 1, v2
	v_addc_co_u32_e32 v13, vcc, 0, v3, vcc
	v_add_co_u32_e32 v0, vcc, s16, v12
	v_addc_co_u32_e32 v1, vcc, v13, v1, vcc
	v_cmp_eq_u64_e32 vcc, 0, v[0:1]
	v_cndmask_b32_e32 v1, v1, v13, vcc
	v_cndmask_b32_e32 v0, v0, v12, vcc
	v_and_b32_e32 v3, v1, v3
	v_and_b32_e32 v2, v0, v2
	v_mul_lo_u32 v3, v3, 24
	v_mul_hi_u32 v12, v2, 24
	v_mul_lo_u32 v13, v2, 24
	s_waitcnt vmcnt(1)
	v_mov_b32_e32 v2, v10
	v_add_u32_e32 v3, v12, v3
	s_waitcnt vmcnt(0)
	v_add_co_u32_e32 v6, vcc, v6, v13
	v_addc_co_u32_e32 v7, vcc, v7, v3, vcc
	global_store_dwordx2 v[6:7], v[10:11], off
	v_mov_b32_e32 v3, v11
	s_waitcnt vmcnt(0)
	global_atomic_cmpswap_x2 v[2:3], v9, v[0:3], s[36:37] offset:24 glc
	s_waitcnt vmcnt(0)
	v_cmp_ne_u64_e32 vcc, v[2:3], v[10:11]
	s_and_b64 exec, exec, vcc
	s_cbranch_execz .LBB3_255
.LBB3_254:                              ; =>This Inner Loop Header: Depth=1
	s_sleep 1
	global_store_dwordx2 v[6:7], v[2:3], off
	s_waitcnt vmcnt(0)
	global_atomic_cmpswap_x2 v[10:11], v9, v[0:3], s[36:37] offset:24 glc
	s_waitcnt vmcnt(0)
	v_cmp_eq_u64_e32 vcc, v[10:11], v[2:3]
	v_mov_b32_e32 v2, v10
	s_or_b64 s[4:5], vcc, s[4:5]
	v_mov_b32_e32 v3, v11
	s_andn2_b64 exec, exec, s[4:5]
	s_cbranch_execnz .LBB3_254
.LBB3_255:
	s_or_b64 exec, exec, s[18:19]
.LBB3_256:
	s_or_b64 exec, exec, s[10:11]
	v_readfirstlane_b32 s4, v51
	v_mov_b32_e32 v6, 0
	v_mov_b32_e32 v7, 0
	v_cmp_eq_u32_e64 s[4:5], s4, v51
	s_and_saveexec_b64 s[10:11], s[4:5]
	s_cbranch_execz .LBB3_262
; %bb.257:
	s_waitcnt vmcnt(0)
	v_mov_b32_e32 v0, 0
	global_load_dwordx2 v[11:12], v0, s[36:37] offset:24 glc
	s_waitcnt vmcnt(0)
	buffer_wbinvl1_vol
	global_load_dwordx2 v[1:2], v0, s[36:37] offset:40
	global_load_dwordx2 v[6:7], v0, s[36:37]
	s_waitcnt vmcnt(1)
	v_and_b32_e32 v1, v1, v11
	v_and_b32_e32 v2, v2, v12
	v_mul_lo_u32 v2, v2, 24
	v_mul_hi_u32 v3, v1, 24
	v_mul_lo_u32 v1, v1, 24
	v_add_u32_e32 v2, v3, v2
	s_waitcnt vmcnt(0)
	v_add_co_u32_e32 v1, vcc, v6, v1
	v_addc_co_u32_e32 v2, vcc, v7, v2, vcc
	global_load_dwordx2 v[9:10], v[1:2], off glc
	s_waitcnt vmcnt(0)
	global_atomic_cmpswap_x2 v[6:7], v0, v[9:12], s[36:37] offset:24 glc
	s_waitcnt vmcnt(0)
	buffer_wbinvl1_vol
	v_cmp_ne_u64_e32 vcc, v[6:7], v[11:12]
	s_and_saveexec_b64 s[16:17], vcc
	s_cbranch_execz .LBB3_261
; %bb.258:
	s_mov_b64 s[18:19], 0
.LBB3_259:                              ; =>This Inner Loop Header: Depth=1
	s_sleep 1
	global_load_dwordx2 v[1:2], v0, s[36:37] offset:40
	global_load_dwordx2 v[9:10], v0, s[36:37]
	v_mov_b32_e32 v12, v7
	v_mov_b32_e32 v11, v6
	s_waitcnt vmcnt(1)
	v_and_b32_e32 v1, v1, v11
	s_waitcnt vmcnt(0)
	v_mad_u64_u32 v[6:7], s[20:21], v1, 24, v[9:10]
	v_and_b32_e32 v2, v2, v12
	v_mov_b32_e32 v1, v7
	v_mad_u64_u32 v[1:2], s[20:21], v2, 24, v[1:2]
	v_mov_b32_e32 v7, v1
	global_load_dwordx2 v[9:10], v[6:7], off glc
	s_waitcnt vmcnt(0)
	global_atomic_cmpswap_x2 v[6:7], v0, v[9:12], s[36:37] offset:24 glc
	s_waitcnt vmcnt(0)
	buffer_wbinvl1_vol
	v_cmp_eq_u64_e32 vcc, v[6:7], v[11:12]
	s_or_b64 s[18:19], vcc, s[18:19]
	s_andn2_b64 exec, exec, s[18:19]
	s_cbranch_execnz .LBB3_259
; %bb.260:
	s_or_b64 exec, exec, s[18:19]
.LBB3_261:
	s_or_b64 exec, exec, s[16:17]
.LBB3_262:
	s_or_b64 exec, exec, s[10:11]
	s_waitcnt vmcnt(0)
	v_mov_b32_e32 v10, 0
	global_load_dwordx2 v[11:12], v10, s[36:37] offset:40
	global_load_dwordx4 v[0:3], v10, s[36:37]
	v_readfirstlane_b32 s10, v6
	v_readfirstlane_b32 s11, v7
	s_mov_b64 s[16:17], exec
	s_waitcnt vmcnt(1)
	v_readfirstlane_b32 s18, v11
	v_readfirstlane_b32 s19, v12
	s_and_b64 s[18:19], s[10:11], s[18:19]
	s_mul_i32 s15, s19, 24
	s_mul_hi_u32 s20, s18, 24
	s_mul_i32 s21, s18, 24
	s_add_i32 s15, s20, s15
	v_mov_b32_e32 v7, s15
	s_waitcnt vmcnt(0)
	v_add_co_u32_e32 v6, vcc, s21, v0
	v_addc_co_u32_e32 v7, vcc, v1, v7, vcc
	s_and_saveexec_b64 s[20:21], s[4:5]
	s_cbranch_execz .LBB3_264
; %bb.263:
	v_mov_b32_e32 v11, s16
	v_mov_b32_e32 v12, s17
	;; [unrolled: 1-line block ×4, first 2 shown]
	global_store_dwordx4 v[6:7], v[11:14], off offset:8
.LBB3_264:
	s_or_b64 exec, exec, s[20:21]
	s_lshl_b64 s[16:17], s[18:19], 12
	v_mov_b32_e32 v9, s17
	v_add_co_u32_e32 v2, vcc, s16, v2
	v_addc_co_u32_e32 v3, vcc, v3, v9, vcc
	s_mov_b32 s16, 0
	v_mov_b32_e32 v9, 33
	v_mov_b32_e32 v11, v10
	;; [unrolled: 1-line block ×3, first 2 shown]
	v_readfirstlane_b32 s20, v2
	v_readfirstlane_b32 s21, v3
	v_add_co_u32_e32 v13, vcc, v2, v50
	s_mov_b32 s17, s16
	s_mov_b32 s18, s16
	;; [unrolled: 1-line block ×3, first 2 shown]
	s_nop 0
	global_store_dwordx4 v50, v[9:12], s[20:21]
	v_addc_co_u32_e32 v14, vcc, 0, v3, vcc
	v_mov_b32_e32 v9, s16
	v_mov_b32_e32 v10, s17
	;; [unrolled: 1-line block ×4, first 2 shown]
	global_store_dwordx4 v50, v[9:12], s[20:21] offset:16
	global_store_dwordx4 v50, v[9:12], s[20:21] offset:32
	;; [unrolled: 1-line block ×3, first 2 shown]
	s_and_saveexec_b64 s[16:17], s[4:5]
	s_cbranch_execz .LBB3_272
; %bb.265:
	v_mov_b32_e32 v11, 0
	global_load_dwordx2 v[17:18], v11, s[36:37] offset:32 glc
	global_load_dwordx2 v[2:3], v11, s[36:37] offset:40
	v_mov_b32_e32 v15, s10
	v_mov_b32_e32 v16, s11
	s_waitcnt vmcnt(0)
	v_readfirstlane_b32 s18, v2
	v_readfirstlane_b32 s19, v3
	s_and_b64 s[18:19], s[18:19], s[10:11]
	s_mul_i32 s15, s19, 24
	s_mul_hi_u32 s19, s18, 24
	s_mul_i32 s18, s18, 24
	s_add_i32 s15, s19, s15
	v_mov_b32_e32 v2, s15
	v_add_co_u32_e32 v9, vcc, s18, v0
	v_addc_co_u32_e32 v10, vcc, v1, v2, vcc
	global_store_dwordx2 v[9:10], v[17:18], off
	s_waitcnt vmcnt(0)
	global_atomic_cmpswap_x2 v[2:3], v11, v[15:18], s[36:37] offset:32 glc
	s_waitcnt vmcnt(0)
	v_cmp_ne_u64_e32 vcc, v[2:3], v[17:18]
	s_and_saveexec_b64 s[18:19], vcc
	s_cbranch_execz .LBB3_268
; %bb.266:
	s_mov_b64 s[20:21], 0
.LBB3_267:                              ; =>This Inner Loop Header: Depth=1
	s_sleep 1
	global_store_dwordx2 v[9:10], v[2:3], off
	v_mov_b32_e32 v0, s10
	v_mov_b32_e32 v1, s11
	s_waitcnt vmcnt(0)
	global_atomic_cmpswap_x2 v[0:1], v11, v[0:3], s[36:37] offset:32 glc
	s_waitcnt vmcnt(0)
	v_cmp_eq_u64_e32 vcc, v[0:1], v[2:3]
	v_mov_b32_e32 v3, v1
	s_or_b64 s[20:21], vcc, s[20:21]
	v_mov_b32_e32 v2, v0
	s_andn2_b64 exec, exec, s[20:21]
	s_cbranch_execnz .LBB3_267
.LBB3_268:
	s_or_b64 exec, exec, s[18:19]
	v_mov_b32_e32 v3, 0
	global_load_dwordx2 v[0:1], v3, s[36:37] offset:16
	s_mov_b64 s[18:19], exec
	v_mbcnt_lo_u32_b32 v2, s18, 0
	v_mbcnt_hi_u32_b32 v2, s19, v2
	v_cmp_eq_u32_e32 vcc, 0, v2
	s_and_saveexec_b64 s[20:21], vcc
	s_cbranch_execz .LBB3_270
; %bb.269:
	s_bcnt1_i32_b64 s15, s[18:19]
	v_mov_b32_e32 v2, s15
	s_waitcnt vmcnt(0)
	global_atomic_add_x2 v[0:1], v[2:3], off offset:8
.LBB3_270:
	s_or_b64 exec, exec, s[20:21]
	s_waitcnt vmcnt(0)
	global_load_dwordx2 v[2:3], v[0:1], off offset:16
	s_waitcnt vmcnt(0)
	v_cmp_eq_u64_e32 vcc, 0, v[2:3]
	s_cbranch_vccnz .LBB3_272
; %bb.271:
	global_load_dword v0, v[0:1], off offset:24
	v_mov_b32_e32 v1, 0
	s_waitcnt vmcnt(0)
	global_store_dwordx2 v[2:3], v[0:1], off
	v_and_b32_e32 v0, 0xffffff, v0
	v_readfirstlane_b32 m0, v0
	s_sendmsg sendmsg(MSG_INTERRUPT)
.LBB3_272:
	s_or_b64 exec, exec, s[16:17]
	s_branch .LBB3_276
.LBB3_273:                              ;   in Loop: Header=BB3_276 Depth=1
	s_or_b64 exec, exec, s[16:17]
	v_readfirstlane_b32 s15, v0
	s_cmp_eq_u32 s15, 0
	s_cbranch_scc1 .LBB3_275
; %bb.274:                              ;   in Loop: Header=BB3_276 Depth=1
	s_sleep 1
	s_cbranch_execnz .LBB3_276
	s_branch .LBB3_278
.LBB3_275:
	s_branch .LBB3_278
.LBB3_276:                              ; =>This Inner Loop Header: Depth=1
	v_mov_b32_e32 v0, 1
	s_and_saveexec_b64 s[16:17], s[4:5]
	s_cbranch_execz .LBB3_273
; %bb.277:                              ;   in Loop: Header=BB3_276 Depth=1
	global_load_dword v0, v[6:7], off offset:20 glc
	s_waitcnt vmcnt(0)
	buffer_wbinvl1_vol
	v_and_b32_e32 v0, 1, v0
	s_branch .LBB3_273
.LBB3_278:
	global_load_dwordx2 v[0:1], v[13:14], off
	s_and_saveexec_b64 s[16:17], s[4:5]
	s_cbranch_execz .LBB3_281
; %bb.279:
	v_mov_b32_e32 v6, 0
	global_load_dwordx2 v[2:3], v6, s[36:37] offset:40
	global_load_dwordx2 v[13:14], v6, s[36:37] offset:24 glc
	global_load_dwordx2 v[15:16], v6, s[36:37]
	v_mov_b32_e32 v7, s11
	s_mov_b64 s[4:5], 0
	s_waitcnt vmcnt(2)
	v_add_co_u32_e32 v11, vcc, 1, v2
	v_addc_co_u32_e32 v12, vcc, 0, v3, vcc
	v_add_co_u32_e32 v9, vcc, s10, v11
	v_addc_co_u32_e32 v10, vcc, v12, v7, vcc
	v_cmp_eq_u64_e32 vcc, 0, v[9:10]
	v_cndmask_b32_e32 v10, v10, v12, vcc
	v_cndmask_b32_e32 v9, v9, v11, vcc
	v_and_b32_e32 v3, v10, v3
	v_and_b32_e32 v2, v9, v2
	v_mul_lo_u32 v3, v3, 24
	v_mul_hi_u32 v7, v2, 24
	v_mul_lo_u32 v2, v2, 24
	s_waitcnt vmcnt(1)
	v_mov_b32_e32 v11, v13
	v_mov_b32_e32 v12, v14
	v_add_u32_e32 v3, v7, v3
	s_waitcnt vmcnt(0)
	v_add_co_u32_e32 v2, vcc, v15, v2
	v_addc_co_u32_e32 v3, vcc, v16, v3, vcc
	global_store_dwordx2 v[2:3], v[13:14], off
	s_waitcnt vmcnt(0)
	global_atomic_cmpswap_x2 v[11:12], v6, v[9:12], s[36:37] offset:24 glc
	s_waitcnt vmcnt(0)
	v_cmp_ne_u64_e32 vcc, v[11:12], v[13:14]
	s_and_b64 exec, exec, vcc
	s_cbranch_execz .LBB3_281
.LBB3_280:                              ; =>This Inner Loop Header: Depth=1
	s_sleep 1
	global_store_dwordx2 v[2:3], v[11:12], off
	s_waitcnt vmcnt(0)
	global_atomic_cmpswap_x2 v[13:14], v6, v[9:12], s[36:37] offset:24 glc
	s_waitcnt vmcnt(0)
	v_cmp_eq_u64_e32 vcc, v[13:14], v[11:12]
	v_mov_b32_e32 v11, v13
	s_or_b64 s[4:5], vcc, s[4:5]
	v_mov_b32_e32 v12, v14
	s_andn2_b64 exec, exec, s[4:5]
	s_cbranch_execnz .LBB3_280
.LBB3_281:
	s_or_b64 exec, exec, s[16:17]
	s_getpc_b64 s[10:11]
	s_add_u32 s10, s10, .str.8@rel32@lo+4
	s_addc_u32 s11, s11, .str.8@rel32@hi+12
	s_cmp_lg_u64 s[10:11], 0
	s_cselect_b64 s[38:39], -1, 0
	s_and_b64 vcc, exec, s[38:39]
	s_cbranch_vccz .LBB3_366
; %bb.282:
	s_waitcnt vmcnt(0)
	v_and_b32_e32 v35, 2, v0
	v_mov_b32_e32 v3, 0
	v_and_b32_e32 v9, -3, v0
	v_mov_b32_e32 v10, v1
	s_mov_b64 s[16:17], 3
	v_mov_b32_e32 v13, 2
	v_mov_b32_e32 v14, 1
	s_branch .LBB3_284
.LBB3_283:                              ;   in Loop: Header=BB3_284 Depth=1
	s_or_b64 exec, exec, s[22:23]
	s_sub_u32 s16, s16, s18
	s_subb_u32 s17, s17, s19
	s_add_u32 s10, s10, s18
	s_addc_u32 s11, s11, s19
	s_cmp_lg_u64 s[16:17], 0
	s_cbranch_scc0 .LBB3_365
.LBB3_284:                              ; =>This Loop Header: Depth=1
                                        ;     Child Loop BB3_287 Depth 2
                                        ;     Child Loop BB3_294 Depth 2
	;; [unrolled: 1-line block ×11, first 2 shown]
	v_cmp_lt_u64_e64 s[4:5], s[16:17], 56
	v_cmp_gt_u64_e64 s[20:21], s[16:17], 7
	s_and_b64 s[4:5], s[4:5], exec
	s_cselect_b32 s19, s17, 0
	s_cselect_b32 s18, s16, 56
	s_and_b64 vcc, exec, s[20:21]
	s_cbranch_vccnz .LBB3_289
; %bb.285:                              ;   in Loop: Header=BB3_284 Depth=1
	v_mov_b32_e32 v17, 0
	s_cmp_eq_u64 s[16:17], 0
	v_mov_b32_e32 v18, 0
	s_mov_b64 s[4:5], 0
	s_cbranch_scc1 .LBB3_288
; %bb.286:                              ;   in Loop: Header=BB3_284 Depth=1
	v_mov_b32_e32 v17, 0
	s_lshl_b64 s[20:21], s[18:19], 3
	s_mov_b64 s[22:23], 0
	v_mov_b32_e32 v18, 0
	s_mov_b64 s[24:25], s[10:11]
.LBB3_287:                              ;   Parent Loop BB3_284 Depth=1
                                        ; =>  This Inner Loop Header: Depth=2
	global_load_ubyte v2, v3, s[24:25]
	s_waitcnt vmcnt(0)
	v_and_b32_e32 v2, 0xffff, v2
	v_lshlrev_b64 v[6:7], s22, v[2:3]
	s_add_u32 s22, s22, 8
	s_addc_u32 s23, s23, 0
	s_add_u32 s24, s24, 1
	s_addc_u32 s25, s25, 0
	v_or_b32_e32 v17, v6, v17
	s_cmp_lg_u32 s20, s22
	v_or_b32_e32 v18, v7, v18
	s_cbranch_scc1 .LBB3_287
.LBB3_288:                              ;   in Loop: Header=BB3_284 Depth=1
	s_mov_b32 s15, 0
	s_andn2_b64 vcc, exec, s[4:5]
	s_mov_b64 s[4:5], s[10:11]
	s_cbranch_vccz .LBB3_290
	s_branch .LBB3_291
.LBB3_289:                              ;   in Loop: Header=BB3_284 Depth=1
                                        ; implicit-def: $vgpr17_vgpr18
                                        ; implicit-def: $sgpr15
	s_mov_b64 s[4:5], s[10:11]
.LBB3_290:                              ;   in Loop: Header=BB3_284 Depth=1
	global_load_dwordx2 v[17:18], v3, s[10:11]
	s_add_i32 s15, s18, -8
	s_add_u32 s4, s10, 8
	s_addc_u32 s5, s11, 0
.LBB3_291:                              ;   in Loop: Header=BB3_284 Depth=1
	s_cmp_gt_u32 s15, 7
	s_cbranch_scc1 .LBB3_295
; %bb.292:                              ;   in Loop: Header=BB3_284 Depth=1
	s_cmp_eq_u32 s15, 0
	s_cbranch_scc1 .LBB3_296
; %bb.293:                              ;   in Loop: Header=BB3_284 Depth=1
	v_mov_b32_e32 v19, 0
	s_mov_b64 s[20:21], 0
	v_mov_b32_e32 v20, 0
	s_mov_b64 s[22:23], 0
.LBB3_294:                              ;   Parent Loop BB3_284 Depth=1
                                        ; =>  This Inner Loop Header: Depth=2
	s_add_u32 s24, s4, s22
	s_addc_u32 s25, s5, s23
	global_load_ubyte v2, v3, s[24:25]
	s_add_u32 s22, s22, 1
	s_addc_u32 s23, s23, 0
	s_waitcnt vmcnt(0)
	v_and_b32_e32 v2, 0xffff, v2
	v_lshlrev_b64 v[6:7], s20, v[2:3]
	s_add_u32 s20, s20, 8
	s_addc_u32 s21, s21, 0
	v_or_b32_e32 v19, v6, v19
	s_cmp_lg_u32 s15, s22
	v_or_b32_e32 v20, v7, v20
	s_cbranch_scc1 .LBB3_294
	s_branch .LBB3_297
.LBB3_295:                              ;   in Loop: Header=BB3_284 Depth=1
                                        ; implicit-def: $vgpr19_vgpr20
                                        ; implicit-def: $sgpr24
	s_branch .LBB3_298
.LBB3_296:                              ;   in Loop: Header=BB3_284 Depth=1
	v_mov_b32_e32 v19, 0
	v_mov_b32_e32 v20, 0
.LBB3_297:                              ;   in Loop: Header=BB3_284 Depth=1
	s_mov_b32 s24, 0
	s_cbranch_execnz .LBB3_299
.LBB3_298:                              ;   in Loop: Header=BB3_284 Depth=1
	global_load_dwordx2 v[19:20], v3, s[4:5]
	s_add_i32 s24, s15, -8
	s_add_u32 s4, s4, 8
	s_addc_u32 s5, s5, 0
.LBB3_299:                              ;   in Loop: Header=BB3_284 Depth=1
	s_cmp_gt_u32 s24, 7
	s_cbranch_scc1 .LBB3_303
; %bb.300:                              ;   in Loop: Header=BB3_284 Depth=1
	s_cmp_eq_u32 s24, 0
	s_cbranch_scc1 .LBB3_304
; %bb.301:                              ;   in Loop: Header=BB3_284 Depth=1
	v_mov_b32_e32 v21, 0
	s_mov_b64 s[20:21], 0
	v_mov_b32_e32 v22, 0
	s_mov_b64 s[22:23], 0
.LBB3_302:                              ;   Parent Loop BB3_284 Depth=1
                                        ; =>  This Inner Loop Header: Depth=2
	s_add_u32 s26, s4, s22
	s_addc_u32 s27, s5, s23
	global_load_ubyte v2, v3, s[26:27]
	s_add_u32 s22, s22, 1
	s_addc_u32 s23, s23, 0
	s_waitcnt vmcnt(0)
	v_and_b32_e32 v2, 0xffff, v2
	v_lshlrev_b64 v[6:7], s20, v[2:3]
	s_add_u32 s20, s20, 8
	s_addc_u32 s21, s21, 0
	v_or_b32_e32 v21, v6, v21
	s_cmp_lg_u32 s24, s22
	v_or_b32_e32 v22, v7, v22
	s_cbranch_scc1 .LBB3_302
	s_branch .LBB3_305
.LBB3_303:                              ;   in Loop: Header=BB3_284 Depth=1
                                        ; implicit-def: $sgpr15
	s_branch .LBB3_306
.LBB3_304:                              ;   in Loop: Header=BB3_284 Depth=1
	v_mov_b32_e32 v21, 0
	v_mov_b32_e32 v22, 0
.LBB3_305:                              ;   in Loop: Header=BB3_284 Depth=1
	s_mov_b32 s15, 0
	s_cbranch_execnz .LBB3_307
.LBB3_306:                              ;   in Loop: Header=BB3_284 Depth=1
	global_load_dwordx2 v[21:22], v3, s[4:5]
	s_add_i32 s15, s24, -8
	s_add_u32 s4, s4, 8
	s_addc_u32 s5, s5, 0
.LBB3_307:                              ;   in Loop: Header=BB3_284 Depth=1
	s_cmp_gt_u32 s15, 7
	s_cbranch_scc1 .LBB3_311
; %bb.308:                              ;   in Loop: Header=BB3_284 Depth=1
	s_cmp_eq_u32 s15, 0
	s_cbranch_scc1 .LBB3_312
; %bb.309:                              ;   in Loop: Header=BB3_284 Depth=1
	v_mov_b32_e32 v23, 0
	s_mov_b64 s[20:21], 0
	v_mov_b32_e32 v24, 0
	s_mov_b64 s[22:23], 0
.LBB3_310:                              ;   Parent Loop BB3_284 Depth=1
                                        ; =>  This Inner Loop Header: Depth=2
	s_add_u32 s24, s4, s22
	s_addc_u32 s25, s5, s23
	global_load_ubyte v2, v3, s[24:25]
	s_add_u32 s22, s22, 1
	s_addc_u32 s23, s23, 0
	s_waitcnt vmcnt(0)
	v_and_b32_e32 v2, 0xffff, v2
	v_lshlrev_b64 v[6:7], s20, v[2:3]
	s_add_u32 s20, s20, 8
	s_addc_u32 s21, s21, 0
	v_or_b32_e32 v23, v6, v23
	s_cmp_lg_u32 s15, s22
	v_or_b32_e32 v24, v7, v24
	s_cbranch_scc1 .LBB3_310
	s_branch .LBB3_313
.LBB3_311:                              ;   in Loop: Header=BB3_284 Depth=1
                                        ; implicit-def: $vgpr23_vgpr24
                                        ; implicit-def: $sgpr24
	s_branch .LBB3_314
.LBB3_312:                              ;   in Loop: Header=BB3_284 Depth=1
	v_mov_b32_e32 v23, 0
	v_mov_b32_e32 v24, 0
.LBB3_313:                              ;   in Loop: Header=BB3_284 Depth=1
	s_mov_b32 s24, 0
	s_cbranch_execnz .LBB3_315
.LBB3_314:                              ;   in Loop: Header=BB3_284 Depth=1
	global_load_dwordx2 v[23:24], v3, s[4:5]
	s_add_i32 s24, s15, -8
	s_add_u32 s4, s4, 8
	s_addc_u32 s5, s5, 0
.LBB3_315:                              ;   in Loop: Header=BB3_284 Depth=1
	s_cmp_gt_u32 s24, 7
	s_cbranch_scc1 .LBB3_319
; %bb.316:                              ;   in Loop: Header=BB3_284 Depth=1
	s_cmp_eq_u32 s24, 0
	s_cbranch_scc1 .LBB3_320
; %bb.317:                              ;   in Loop: Header=BB3_284 Depth=1
	v_mov_b32_e32 v25, 0
	s_mov_b64 s[20:21], 0
	v_mov_b32_e32 v26, 0
	s_mov_b64 s[22:23], 0
.LBB3_318:                              ;   Parent Loop BB3_284 Depth=1
                                        ; =>  This Inner Loop Header: Depth=2
	s_add_u32 s26, s4, s22
	s_addc_u32 s27, s5, s23
	global_load_ubyte v2, v3, s[26:27]
	s_add_u32 s22, s22, 1
	s_addc_u32 s23, s23, 0
	s_waitcnt vmcnt(0)
	v_and_b32_e32 v2, 0xffff, v2
	v_lshlrev_b64 v[6:7], s20, v[2:3]
	s_add_u32 s20, s20, 8
	s_addc_u32 s21, s21, 0
	v_or_b32_e32 v25, v6, v25
	s_cmp_lg_u32 s24, s22
	v_or_b32_e32 v26, v7, v26
	s_cbranch_scc1 .LBB3_318
	s_branch .LBB3_321
.LBB3_319:                              ;   in Loop: Header=BB3_284 Depth=1
                                        ; implicit-def: $sgpr15
	s_branch .LBB3_322
.LBB3_320:                              ;   in Loop: Header=BB3_284 Depth=1
	v_mov_b32_e32 v25, 0
	v_mov_b32_e32 v26, 0
.LBB3_321:                              ;   in Loop: Header=BB3_284 Depth=1
	s_mov_b32 s15, 0
	s_cbranch_execnz .LBB3_323
.LBB3_322:                              ;   in Loop: Header=BB3_284 Depth=1
	global_load_dwordx2 v[25:26], v3, s[4:5]
	s_add_i32 s15, s24, -8
	s_add_u32 s4, s4, 8
	s_addc_u32 s5, s5, 0
.LBB3_323:                              ;   in Loop: Header=BB3_284 Depth=1
	s_cmp_gt_u32 s15, 7
	s_cbranch_scc1 .LBB3_327
; %bb.324:                              ;   in Loop: Header=BB3_284 Depth=1
	s_cmp_eq_u32 s15, 0
	s_cbranch_scc1 .LBB3_328
; %bb.325:                              ;   in Loop: Header=BB3_284 Depth=1
	v_mov_b32_e32 v27, 0
	s_mov_b64 s[20:21], 0
	v_mov_b32_e32 v28, 0
	s_mov_b64 s[22:23], 0
.LBB3_326:                              ;   Parent Loop BB3_284 Depth=1
                                        ; =>  This Inner Loop Header: Depth=2
	s_add_u32 s24, s4, s22
	s_addc_u32 s25, s5, s23
	global_load_ubyte v2, v3, s[24:25]
	s_add_u32 s22, s22, 1
	s_addc_u32 s23, s23, 0
	s_waitcnt vmcnt(0)
	v_and_b32_e32 v2, 0xffff, v2
	v_lshlrev_b64 v[6:7], s20, v[2:3]
	s_add_u32 s20, s20, 8
	s_addc_u32 s21, s21, 0
	v_or_b32_e32 v27, v6, v27
	s_cmp_lg_u32 s15, s22
	v_or_b32_e32 v28, v7, v28
	s_cbranch_scc1 .LBB3_326
	s_branch .LBB3_329
.LBB3_327:                              ;   in Loop: Header=BB3_284 Depth=1
                                        ; implicit-def: $vgpr27_vgpr28
                                        ; implicit-def: $sgpr24
	s_branch .LBB3_330
.LBB3_328:                              ;   in Loop: Header=BB3_284 Depth=1
	v_mov_b32_e32 v27, 0
	v_mov_b32_e32 v28, 0
.LBB3_329:                              ;   in Loop: Header=BB3_284 Depth=1
	s_mov_b32 s24, 0
	s_cbranch_execnz .LBB3_331
.LBB3_330:                              ;   in Loop: Header=BB3_284 Depth=1
	global_load_dwordx2 v[27:28], v3, s[4:5]
	s_add_i32 s24, s15, -8
	s_add_u32 s4, s4, 8
	s_addc_u32 s5, s5, 0
.LBB3_331:                              ;   in Loop: Header=BB3_284 Depth=1
	s_cmp_gt_u32 s24, 7
	s_cbranch_scc1 .LBB3_335
; %bb.332:                              ;   in Loop: Header=BB3_284 Depth=1
	s_cmp_eq_u32 s24, 0
	s_cbranch_scc1 .LBB3_336
; %bb.333:                              ;   in Loop: Header=BB3_284 Depth=1
	v_mov_b32_e32 v29, 0
	s_mov_b64 s[20:21], 0
	v_mov_b32_e32 v30, 0
	s_mov_b64 s[22:23], s[4:5]
.LBB3_334:                              ;   Parent Loop BB3_284 Depth=1
                                        ; =>  This Inner Loop Header: Depth=2
	global_load_ubyte v2, v3, s[22:23]
	s_add_i32 s24, s24, -1
	s_waitcnt vmcnt(0)
	v_and_b32_e32 v2, 0xffff, v2
	v_lshlrev_b64 v[6:7], s20, v[2:3]
	s_add_u32 s20, s20, 8
	s_addc_u32 s21, s21, 0
	s_add_u32 s22, s22, 1
	s_addc_u32 s23, s23, 0
	v_or_b32_e32 v29, v6, v29
	s_cmp_lg_u32 s24, 0
	v_or_b32_e32 v30, v7, v30
	s_cbranch_scc1 .LBB3_334
	s_branch .LBB3_337
.LBB3_335:                              ;   in Loop: Header=BB3_284 Depth=1
	s_branch .LBB3_338
.LBB3_336:                              ;   in Loop: Header=BB3_284 Depth=1
	v_mov_b32_e32 v29, 0
	v_mov_b32_e32 v30, 0
.LBB3_337:                              ;   in Loop: Header=BB3_284 Depth=1
	s_cbranch_execnz .LBB3_339
.LBB3_338:                              ;   in Loop: Header=BB3_284 Depth=1
	global_load_dwordx2 v[29:30], v3, s[4:5]
.LBB3_339:                              ;   in Loop: Header=BB3_284 Depth=1
	v_readfirstlane_b32 s4, v51
	v_mov_b32_e32 v6, 0
	v_mov_b32_e32 v7, 0
	v_cmp_eq_u32_e64 s[4:5], s4, v51
	s_and_saveexec_b64 s[20:21], s[4:5]
	s_cbranch_execz .LBB3_345
; %bb.340:                              ;   in Loop: Header=BB3_284 Depth=1
	global_load_dwordx2 v[33:34], v3, s[36:37] offset:24 glc
	s_waitcnt vmcnt(0)
	buffer_wbinvl1_vol
	global_load_dwordx2 v[6:7], v3, s[36:37] offset:40
	global_load_dwordx2 v[11:12], v3, s[36:37]
	s_waitcnt vmcnt(1)
	v_and_b32_e32 v2, v6, v33
	v_and_b32_e32 v6, v7, v34
	v_mul_lo_u32 v6, v6, 24
	v_mul_hi_u32 v7, v2, 24
	v_mul_lo_u32 v2, v2, 24
	v_add_u32_e32 v7, v7, v6
	s_waitcnt vmcnt(0)
	v_add_co_u32_e32 v6, vcc, v11, v2
	v_addc_co_u32_e32 v7, vcc, v12, v7, vcc
	global_load_dwordx2 v[31:32], v[6:7], off glc
	s_waitcnt vmcnt(0)
	global_atomic_cmpswap_x2 v[6:7], v3, v[31:34], s[36:37] offset:24 glc
	s_waitcnt vmcnt(0)
	buffer_wbinvl1_vol
	v_cmp_ne_u64_e32 vcc, v[6:7], v[33:34]
	s_and_saveexec_b64 s[22:23], vcc
	s_cbranch_execz .LBB3_344
; %bb.341:                              ;   in Loop: Header=BB3_284 Depth=1
	s_mov_b64 s[24:25], 0
.LBB3_342:                              ;   Parent Loop BB3_284 Depth=1
                                        ; =>  This Inner Loop Header: Depth=2
	s_sleep 1
	global_load_dwordx2 v[11:12], v3, s[36:37] offset:40
	global_load_dwordx2 v[15:16], v3, s[36:37]
	v_mov_b32_e32 v34, v7
	v_mov_b32_e32 v33, v6
	s_waitcnt vmcnt(1)
	v_and_b32_e32 v2, v11, v33
	s_waitcnt vmcnt(0)
	v_mad_u64_u32 v[6:7], s[26:27], v2, 24, v[15:16]
	v_and_b32_e32 v11, v12, v34
	v_mov_b32_e32 v2, v7
	v_mad_u64_u32 v[11:12], s[26:27], v11, 24, v[2:3]
	v_mov_b32_e32 v7, v11
	global_load_dwordx2 v[31:32], v[6:7], off glc
	s_waitcnt vmcnt(0)
	global_atomic_cmpswap_x2 v[6:7], v3, v[31:34], s[36:37] offset:24 glc
	s_waitcnt vmcnt(0)
	buffer_wbinvl1_vol
	v_cmp_eq_u64_e32 vcc, v[6:7], v[33:34]
	s_or_b64 s[24:25], vcc, s[24:25]
	s_andn2_b64 exec, exec, s[24:25]
	s_cbranch_execnz .LBB3_342
; %bb.343:                              ;   in Loop: Header=BB3_284 Depth=1
	s_or_b64 exec, exec, s[24:25]
.LBB3_344:                              ;   in Loop: Header=BB3_284 Depth=1
	s_or_b64 exec, exec, s[22:23]
.LBB3_345:                              ;   in Loop: Header=BB3_284 Depth=1
	s_or_b64 exec, exec, s[20:21]
	global_load_dwordx2 v[11:12], v3, s[36:37] offset:40
	global_load_dwordx4 v[31:34], v3, s[36:37]
	v_readfirstlane_b32 s20, v6
	v_readfirstlane_b32 s21, v7
	s_mov_b64 s[22:23], exec
	s_waitcnt vmcnt(1)
	v_readfirstlane_b32 s24, v11
	v_readfirstlane_b32 s25, v12
	s_and_b64 s[24:25], s[20:21], s[24:25]
	s_mul_i32 s15, s25, 24
	s_mul_hi_u32 s26, s24, 24
	s_mul_i32 s27, s24, 24
	s_add_i32 s15, s26, s15
	v_mov_b32_e32 v2, s15
	s_waitcnt vmcnt(0)
	v_add_co_u32_e32 v6, vcc, s27, v31
	v_addc_co_u32_e32 v7, vcc, v32, v2, vcc
	s_and_saveexec_b64 s[26:27], s[4:5]
	s_cbranch_execz .LBB3_347
; %bb.346:                              ;   in Loop: Header=BB3_284 Depth=1
	v_mov_b32_e32 v11, s22
	v_mov_b32_e32 v12, s23
	global_store_dwordx4 v[6:7], v[11:14], off offset:8
.LBB3_347:                              ;   in Loop: Header=BB3_284 Depth=1
	s_or_b64 exec, exec, s[26:27]
	s_lshl_b64 s[22:23], s[24:25], 12
	v_mov_b32_e32 v2, s23
	v_add_co_u32_e32 v33, vcc, s22, v33
	v_addc_co_u32_e32 v34, vcc, v34, v2, vcc
	v_cmp_gt_u64_e64 vcc, s[16:17], 56
	v_or_b32_e32 v2, 0, v10
	v_or_b32_e32 v11, v9, v35
	s_lshl_b32 s15, s18, 2
	v_cndmask_b32_e32 v16, v2, v10, vcc
	v_cndmask_b32_e32 v2, v11, v9, vcc
	s_add_i32 s15, s15, 28
	s_and_b32 s15, s15, 0x1e0
	v_and_b32_e32 v2, 0xffffff1f, v2
	v_or_b32_e32 v15, s15, v2
	v_readfirstlane_b32 s22, v33
	v_readfirstlane_b32 s23, v34
	s_nop 4
	global_store_dwordx4 v50, v[15:18], s[22:23]
	global_store_dwordx4 v50, v[19:22], s[22:23] offset:16
	global_store_dwordx4 v50, v[23:26], s[22:23] offset:32
	;; [unrolled: 1-line block ×3, first 2 shown]
	s_and_saveexec_b64 s[22:23], s[4:5]
	s_cbranch_execz .LBB3_355
; %bb.348:                              ;   in Loop: Header=BB3_284 Depth=1
	global_load_dwordx2 v[19:20], v3, s[36:37] offset:32 glc
	global_load_dwordx2 v[9:10], v3, s[36:37] offset:40
	v_mov_b32_e32 v17, s20
	v_mov_b32_e32 v18, s21
	s_waitcnt vmcnt(0)
	v_readfirstlane_b32 s24, v9
	v_readfirstlane_b32 s25, v10
	s_and_b64 s[24:25], s[24:25], s[20:21]
	s_mul_i32 s15, s25, 24
	s_mul_hi_u32 s25, s24, 24
	s_mul_i32 s24, s24, 24
	s_add_i32 s15, s25, s15
	v_mov_b32_e32 v2, s15
	v_add_co_u32_e32 v15, vcc, s24, v31
	v_addc_co_u32_e32 v16, vcc, v32, v2, vcc
	global_store_dwordx2 v[15:16], v[19:20], off
	s_waitcnt vmcnt(0)
	global_atomic_cmpswap_x2 v[11:12], v3, v[17:20], s[36:37] offset:32 glc
	s_waitcnt vmcnt(0)
	v_cmp_ne_u64_e32 vcc, v[11:12], v[19:20]
	s_and_saveexec_b64 s[24:25], vcc
	s_cbranch_execz .LBB3_351
; %bb.349:                              ;   in Loop: Header=BB3_284 Depth=1
	s_mov_b64 s[26:27], 0
.LBB3_350:                              ;   Parent Loop BB3_284 Depth=1
                                        ; =>  This Inner Loop Header: Depth=2
	s_sleep 1
	global_store_dwordx2 v[15:16], v[11:12], off
	v_mov_b32_e32 v9, s20
	v_mov_b32_e32 v10, s21
	s_waitcnt vmcnt(0)
	global_atomic_cmpswap_x2 v[9:10], v3, v[9:12], s[36:37] offset:32 glc
	s_waitcnt vmcnt(0)
	v_cmp_eq_u64_e32 vcc, v[9:10], v[11:12]
	v_mov_b32_e32 v12, v10
	s_or_b64 s[26:27], vcc, s[26:27]
	v_mov_b32_e32 v11, v9
	s_andn2_b64 exec, exec, s[26:27]
	s_cbranch_execnz .LBB3_350
.LBB3_351:                              ;   in Loop: Header=BB3_284 Depth=1
	s_or_b64 exec, exec, s[24:25]
	global_load_dwordx2 v[9:10], v3, s[36:37] offset:16
	s_mov_b64 s[26:27], exec
	v_mbcnt_lo_u32_b32 v2, s26, 0
	v_mbcnt_hi_u32_b32 v2, s27, v2
	v_cmp_eq_u32_e32 vcc, 0, v2
	s_and_saveexec_b64 s[24:25], vcc
	s_cbranch_execz .LBB3_353
; %bb.352:                              ;   in Loop: Header=BB3_284 Depth=1
	s_bcnt1_i32_b64 s15, s[26:27]
	v_mov_b32_e32 v2, s15
	s_waitcnt vmcnt(0)
	global_atomic_add_x2 v[9:10], v[2:3], off offset:8
.LBB3_353:                              ;   in Loop: Header=BB3_284 Depth=1
	s_or_b64 exec, exec, s[24:25]
	s_waitcnt vmcnt(0)
	global_load_dwordx2 v[11:12], v[9:10], off offset:16
	s_waitcnt vmcnt(0)
	v_cmp_eq_u64_e32 vcc, 0, v[11:12]
	s_cbranch_vccnz .LBB3_355
; %bb.354:                              ;   in Loop: Header=BB3_284 Depth=1
	global_load_dword v2, v[9:10], off offset:24
	s_waitcnt vmcnt(0)
	global_store_dwordx2 v[11:12], v[2:3], off
	v_and_b32_e32 v2, 0xffffff, v2
	v_readfirstlane_b32 m0, v2
	s_sendmsg sendmsg(MSG_INTERRUPT)
.LBB3_355:                              ;   in Loop: Header=BB3_284 Depth=1
	s_or_b64 exec, exec, s[22:23]
	v_add_co_u32_e32 v9, vcc, v33, v50
	v_addc_co_u32_e32 v10, vcc, 0, v34, vcc
	s_branch .LBB3_359
.LBB3_356:                              ;   in Loop: Header=BB3_359 Depth=2
	s_or_b64 exec, exec, s[22:23]
	v_readfirstlane_b32 s15, v2
	s_cmp_eq_u32 s15, 0
	s_cbranch_scc1 .LBB3_358
; %bb.357:                              ;   in Loop: Header=BB3_359 Depth=2
	s_sleep 1
	s_cbranch_execnz .LBB3_359
	s_branch .LBB3_361
.LBB3_358:                              ;   in Loop: Header=BB3_284 Depth=1
	s_branch .LBB3_361
.LBB3_359:                              ;   Parent Loop BB3_284 Depth=1
                                        ; =>  This Inner Loop Header: Depth=2
	v_mov_b32_e32 v2, 1
	s_and_saveexec_b64 s[22:23], s[4:5]
	s_cbranch_execz .LBB3_356
; %bb.360:                              ;   in Loop: Header=BB3_359 Depth=2
	global_load_dword v2, v[6:7], off offset:20 glc
	s_waitcnt vmcnt(0)
	buffer_wbinvl1_vol
	v_and_b32_e32 v2, 1, v2
	s_branch .LBB3_356
.LBB3_361:                              ;   in Loop: Header=BB3_284 Depth=1
	global_load_dwordx4 v[9:12], v[9:10], off
	s_and_saveexec_b64 s[22:23], s[4:5]
	s_cbranch_execz .LBB3_283
; %bb.362:                              ;   in Loop: Header=BB3_284 Depth=1
	global_load_dwordx2 v[6:7], v3, s[36:37] offset:40
	global_load_dwordx2 v[11:12], v3, s[36:37] offset:24 glc
	global_load_dwordx2 v[18:19], v3, s[36:37]
	v_mov_b32_e32 v2, s21
	s_waitcnt vmcnt(2)
	v_add_co_u32_e32 v17, vcc, 1, v6
	v_addc_co_u32_e32 v20, vcc, 0, v7, vcc
	v_add_co_u32_e32 v15, vcc, s20, v17
	v_addc_co_u32_e32 v16, vcc, v20, v2, vcc
	v_cmp_eq_u64_e32 vcc, 0, v[15:16]
	v_cndmask_b32_e32 v16, v16, v20, vcc
	v_cndmask_b32_e32 v15, v15, v17, vcc
	v_and_b32_e32 v2, v16, v7
	v_and_b32_e32 v6, v15, v6
	v_mul_lo_u32 v2, v2, 24
	v_mul_hi_u32 v7, v6, 24
	v_mul_lo_u32 v6, v6, 24
	s_waitcnt vmcnt(1)
	v_mov_b32_e32 v17, v11
	v_add_u32_e32 v2, v7, v2
	s_waitcnt vmcnt(0)
	v_add_co_u32_e32 v6, vcc, v18, v6
	v_addc_co_u32_e32 v7, vcc, v19, v2, vcc
	global_store_dwordx2 v[6:7], v[11:12], off
	v_mov_b32_e32 v18, v12
	s_waitcnt vmcnt(0)
	global_atomic_cmpswap_x2 v[17:18], v3, v[15:18], s[36:37] offset:24 glc
	s_waitcnt vmcnt(0)
	v_cmp_ne_u64_e32 vcc, v[17:18], v[11:12]
	s_and_b64 exec, exec, vcc
	s_cbranch_execz .LBB3_283
; %bb.363:                              ;   in Loop: Header=BB3_284 Depth=1
	s_mov_b64 s[4:5], 0
.LBB3_364:                              ;   Parent Loop BB3_284 Depth=1
                                        ; =>  This Inner Loop Header: Depth=2
	s_sleep 1
	global_store_dwordx2 v[6:7], v[17:18], off
	s_waitcnt vmcnt(0)
	global_atomic_cmpswap_x2 v[11:12], v3, v[15:18], s[36:37] offset:24 glc
	s_waitcnt vmcnt(0)
	v_cmp_eq_u64_e32 vcc, v[11:12], v[17:18]
	v_mov_b32_e32 v18, v12
	s_or_b64 s[4:5], vcc, s[4:5]
	v_mov_b32_e32 v17, v11
	s_andn2_b64 exec, exec, s[4:5]
	s_cbranch_execnz .LBB3_364
	s_branch .LBB3_283
.LBB3_365:
	s_branch .LBB3_393
.LBB3_366:
                                        ; implicit-def: $vgpr9_vgpr10
	s_cbranch_execz .LBB3_393
; %bb.367:
	v_readfirstlane_b32 s4, v51
	v_mov_b32_e32 v6, 0
	v_mov_b32_e32 v7, 0
	v_cmp_eq_u32_e64 s[4:5], s4, v51
	s_and_saveexec_b64 s[10:11], s[4:5]
	s_cbranch_execz .LBB3_373
; %bb.368:
	v_mov_b32_e32 v2, 0
	global_load_dwordx2 v[11:12], v2, s[36:37] offset:24 glc
	s_waitcnt vmcnt(0)
	buffer_wbinvl1_vol
	global_load_dwordx2 v[6:7], v2, s[36:37] offset:40
	global_load_dwordx2 v[9:10], v2, s[36:37]
	s_waitcnt vmcnt(1)
	v_and_b32_e32 v3, v6, v11
	v_and_b32_e32 v6, v7, v12
	v_mul_lo_u32 v6, v6, 24
	v_mul_hi_u32 v7, v3, 24
	v_mul_lo_u32 v3, v3, 24
	v_add_u32_e32 v7, v7, v6
	s_waitcnt vmcnt(0)
	v_add_co_u32_e32 v6, vcc, v9, v3
	v_addc_co_u32_e32 v7, vcc, v10, v7, vcc
	global_load_dwordx2 v[9:10], v[6:7], off glc
	s_waitcnt vmcnt(0)
	global_atomic_cmpswap_x2 v[6:7], v2, v[9:12], s[36:37] offset:24 glc
	s_waitcnt vmcnt(0)
	buffer_wbinvl1_vol
	v_cmp_ne_u64_e32 vcc, v[6:7], v[11:12]
	s_and_saveexec_b64 s[16:17], vcc
	s_cbranch_execz .LBB3_372
; %bb.369:
	s_mov_b64 s[18:19], 0
.LBB3_370:                              ; =>This Inner Loop Header: Depth=1
	s_sleep 1
	global_load_dwordx2 v[9:10], v2, s[36:37] offset:40
	global_load_dwordx2 v[13:14], v2, s[36:37]
	v_mov_b32_e32 v12, v7
	v_mov_b32_e32 v11, v6
	s_waitcnt vmcnt(1)
	v_and_b32_e32 v3, v9, v11
	s_waitcnt vmcnt(0)
	v_mad_u64_u32 v[6:7], s[20:21], v3, 24, v[13:14]
	v_and_b32_e32 v9, v10, v12
	v_mov_b32_e32 v3, v7
	v_mad_u64_u32 v[9:10], s[20:21], v9, 24, v[3:4]
	v_mov_b32_e32 v7, v9
	global_load_dwordx2 v[9:10], v[6:7], off glc
	s_waitcnt vmcnt(0)
	global_atomic_cmpswap_x2 v[6:7], v2, v[9:12], s[36:37] offset:24 glc
	s_waitcnt vmcnt(0)
	buffer_wbinvl1_vol
	v_cmp_eq_u64_e32 vcc, v[6:7], v[11:12]
	s_or_b64 s[18:19], vcc, s[18:19]
	s_andn2_b64 exec, exec, s[18:19]
	s_cbranch_execnz .LBB3_370
; %bb.371:
	s_or_b64 exec, exec, s[18:19]
.LBB3_372:
	s_or_b64 exec, exec, s[16:17]
.LBB3_373:
	s_or_b64 exec, exec, s[10:11]
	v_mov_b32_e32 v2, 0
	global_load_dwordx2 v[13:14], v2, s[36:37] offset:40
	global_load_dwordx4 v[9:12], v2, s[36:37]
	v_readfirstlane_b32 s10, v6
	v_readfirstlane_b32 s11, v7
	s_mov_b64 s[16:17], exec
	s_waitcnt vmcnt(1)
	v_readfirstlane_b32 s18, v13
	v_readfirstlane_b32 s19, v14
	s_and_b64 s[18:19], s[10:11], s[18:19]
	s_mul_i32 s15, s19, 24
	s_mul_hi_u32 s20, s18, 24
	s_mul_i32 s21, s18, 24
	s_add_i32 s15, s20, s15
	v_mov_b32_e32 v3, s15
	s_waitcnt vmcnt(0)
	v_add_co_u32_e32 v6, vcc, s21, v9
	v_addc_co_u32_e32 v7, vcc, v10, v3, vcc
	s_and_saveexec_b64 s[20:21], s[4:5]
	s_cbranch_execz .LBB3_375
; %bb.374:
	v_mov_b32_e32 v13, s16
	v_mov_b32_e32 v14, s17
	;; [unrolled: 1-line block ×4, first 2 shown]
	global_store_dwordx4 v[6:7], v[13:16], off offset:8
.LBB3_375:
	s_or_b64 exec, exec, s[20:21]
	s_lshl_b64 s[16:17], s[18:19], 12
	v_mov_b32_e32 v3, s17
	v_add_co_u32_e32 v13, vcc, s16, v11
	v_addc_co_u32_e32 v14, vcc, v12, v3, vcc
	s_movk_i32 s15, 0xff1f
	v_and_or_b32 v0, v0, s15, 32
	s_mov_b32 s16, 0
	v_mov_b32_e32 v3, v2
	v_readfirstlane_b32 s20, v13
	v_readfirstlane_b32 s21, v14
	v_add_co_u32_e32 v11, vcc, v13, v50
	s_mov_b32 s17, s16
	s_mov_b32 s18, s16
	;; [unrolled: 1-line block ×3, first 2 shown]
	s_nop 0
	global_store_dwordx4 v50, v[0:3], s[20:21]
	v_addc_co_u32_e32 v12, vcc, 0, v14, vcc
	v_mov_b32_e32 v0, s16
	v_mov_b32_e32 v1, s17
	;; [unrolled: 1-line block ×4, first 2 shown]
	global_store_dwordx4 v50, v[0:3], s[20:21] offset:16
	global_store_dwordx4 v50, v[0:3], s[20:21] offset:32
	;; [unrolled: 1-line block ×3, first 2 shown]
	s_and_saveexec_b64 s[16:17], s[4:5]
	s_cbranch_execz .LBB3_383
; %bb.376:
	v_mov_b32_e32 v13, 0
	global_load_dwordx2 v[16:17], v13, s[36:37] offset:32 glc
	global_load_dwordx2 v[0:1], v13, s[36:37] offset:40
	v_mov_b32_e32 v14, s10
	v_mov_b32_e32 v15, s11
	s_waitcnt vmcnt(0)
	v_readfirstlane_b32 s18, v0
	v_readfirstlane_b32 s19, v1
	s_and_b64 s[18:19], s[18:19], s[10:11]
	s_mul_i32 s15, s19, 24
	s_mul_hi_u32 s19, s18, 24
	s_mul_i32 s18, s18, 24
	s_add_i32 s15, s19, s15
	v_mov_b32_e32 v0, s15
	v_add_co_u32_e32 v9, vcc, s18, v9
	v_addc_co_u32_e32 v10, vcc, v10, v0, vcc
	global_store_dwordx2 v[9:10], v[16:17], off
	s_waitcnt vmcnt(0)
	global_atomic_cmpswap_x2 v[2:3], v13, v[14:17], s[36:37] offset:32 glc
	s_waitcnt vmcnt(0)
	v_cmp_ne_u64_e32 vcc, v[2:3], v[16:17]
	s_and_saveexec_b64 s[18:19], vcc
	s_cbranch_execz .LBB3_379
; %bb.377:
	s_mov_b64 s[20:21], 0
.LBB3_378:                              ; =>This Inner Loop Header: Depth=1
	s_sleep 1
	global_store_dwordx2 v[9:10], v[2:3], off
	v_mov_b32_e32 v0, s10
	v_mov_b32_e32 v1, s11
	s_waitcnt vmcnt(0)
	global_atomic_cmpswap_x2 v[0:1], v13, v[0:3], s[36:37] offset:32 glc
	s_waitcnt vmcnt(0)
	v_cmp_eq_u64_e32 vcc, v[0:1], v[2:3]
	v_mov_b32_e32 v3, v1
	s_or_b64 s[20:21], vcc, s[20:21]
	v_mov_b32_e32 v2, v0
	s_andn2_b64 exec, exec, s[20:21]
	s_cbranch_execnz .LBB3_378
.LBB3_379:
	s_or_b64 exec, exec, s[18:19]
	v_mov_b32_e32 v3, 0
	global_load_dwordx2 v[0:1], v3, s[36:37] offset:16
	s_mov_b64 s[18:19], exec
	v_mbcnt_lo_u32_b32 v2, s18, 0
	v_mbcnt_hi_u32_b32 v2, s19, v2
	v_cmp_eq_u32_e32 vcc, 0, v2
	s_and_saveexec_b64 s[20:21], vcc
	s_cbranch_execz .LBB3_381
; %bb.380:
	s_bcnt1_i32_b64 s15, s[18:19]
	v_mov_b32_e32 v2, s15
	s_waitcnt vmcnt(0)
	global_atomic_add_x2 v[0:1], v[2:3], off offset:8
.LBB3_381:
	s_or_b64 exec, exec, s[20:21]
	s_waitcnt vmcnt(0)
	global_load_dwordx2 v[2:3], v[0:1], off offset:16
	s_waitcnt vmcnt(0)
	v_cmp_eq_u64_e32 vcc, 0, v[2:3]
	s_cbranch_vccnz .LBB3_383
; %bb.382:
	global_load_dword v0, v[0:1], off offset:24
	v_mov_b32_e32 v1, 0
	s_waitcnt vmcnt(0)
	global_store_dwordx2 v[2:3], v[0:1], off
	v_and_b32_e32 v0, 0xffffff, v0
	v_readfirstlane_b32 m0, v0
	s_sendmsg sendmsg(MSG_INTERRUPT)
.LBB3_383:
	s_or_b64 exec, exec, s[16:17]
	s_branch .LBB3_387
.LBB3_384:                              ;   in Loop: Header=BB3_387 Depth=1
	s_or_b64 exec, exec, s[16:17]
	v_readfirstlane_b32 s15, v0
	s_cmp_eq_u32 s15, 0
	s_cbranch_scc1 .LBB3_386
; %bb.385:                              ;   in Loop: Header=BB3_387 Depth=1
	s_sleep 1
	s_cbranch_execnz .LBB3_387
	s_branch .LBB3_389
.LBB3_386:
	s_branch .LBB3_389
.LBB3_387:                              ; =>This Inner Loop Header: Depth=1
	v_mov_b32_e32 v0, 1
	s_and_saveexec_b64 s[16:17], s[4:5]
	s_cbranch_execz .LBB3_384
; %bb.388:                              ;   in Loop: Header=BB3_387 Depth=1
	global_load_dword v0, v[6:7], off offset:20 glc
	s_waitcnt vmcnt(0)
	buffer_wbinvl1_vol
	v_and_b32_e32 v0, 1, v0
	s_branch .LBB3_384
.LBB3_389:
	global_load_dwordx2 v[9:10], v[11:12], off
	s_and_saveexec_b64 s[16:17], s[4:5]
	s_cbranch_execz .LBB3_392
; %bb.390:
	v_mov_b32_e32 v11, 0
	global_load_dwordx2 v[2:3], v11, s[36:37] offset:40
	global_load_dwordx2 v[12:13], v11, s[36:37] offset:24 glc
	global_load_dwordx2 v[6:7], v11, s[36:37]
	v_mov_b32_e32 v1, s11
	s_mov_b64 s[4:5], 0
	s_waitcnt vmcnt(2)
	v_add_co_u32_e32 v14, vcc, 1, v2
	v_addc_co_u32_e32 v15, vcc, 0, v3, vcc
	v_add_co_u32_e32 v0, vcc, s10, v14
	v_addc_co_u32_e32 v1, vcc, v15, v1, vcc
	v_cmp_eq_u64_e32 vcc, 0, v[0:1]
	v_cndmask_b32_e32 v1, v1, v15, vcc
	v_cndmask_b32_e32 v0, v0, v14, vcc
	v_and_b32_e32 v3, v1, v3
	v_and_b32_e32 v2, v0, v2
	v_mul_lo_u32 v3, v3, 24
	v_mul_hi_u32 v14, v2, 24
	v_mul_lo_u32 v15, v2, 24
	s_waitcnt vmcnt(1)
	v_mov_b32_e32 v2, v12
	v_add_u32_e32 v3, v14, v3
	s_waitcnt vmcnt(0)
	v_add_co_u32_e32 v6, vcc, v6, v15
	v_addc_co_u32_e32 v7, vcc, v7, v3, vcc
	global_store_dwordx2 v[6:7], v[12:13], off
	v_mov_b32_e32 v3, v13
	s_waitcnt vmcnt(0)
	global_atomic_cmpswap_x2 v[2:3], v11, v[0:3], s[36:37] offset:24 glc
	s_waitcnt vmcnt(0)
	v_cmp_ne_u64_e32 vcc, v[2:3], v[12:13]
	s_and_b64 exec, exec, vcc
	s_cbranch_execz .LBB3_392
.LBB3_391:                              ; =>This Inner Loop Header: Depth=1
	s_sleep 1
	global_store_dwordx2 v[6:7], v[2:3], off
	s_waitcnt vmcnt(0)
	global_atomic_cmpswap_x2 v[12:13], v11, v[0:3], s[36:37] offset:24 glc
	s_waitcnt vmcnt(0)
	v_cmp_eq_u64_e32 vcc, v[12:13], v[2:3]
	v_mov_b32_e32 v2, v12
	s_or_b64 s[4:5], vcc, s[4:5]
	v_mov_b32_e32 v3, v13
	s_andn2_b64 exec, exec, s[4:5]
	s_cbranch_execnz .LBB3_391
.LBB3_392:
	s_or_b64 exec, exec, s[16:17]
.LBB3_393:
	v_readfirstlane_b32 s4, v51
	v_mov_b32_e32 v6, 0
	v_mov_b32_e32 v7, 0
	v_cmp_eq_u32_e64 s[4:5], s4, v51
	s_and_saveexec_b64 s[10:11], s[4:5]
	s_cbranch_execz .LBB3_399
; %bb.394:
	s_waitcnt vmcnt(0)
	v_mov_b32_e32 v0, 0
	global_load_dwordx2 v[13:14], v0, s[36:37] offset:24 glc
	s_waitcnt vmcnt(0)
	buffer_wbinvl1_vol
	global_load_dwordx2 v[1:2], v0, s[36:37] offset:40
	global_load_dwordx2 v[6:7], v0, s[36:37]
	s_waitcnt vmcnt(1)
	v_and_b32_e32 v1, v1, v13
	v_and_b32_e32 v2, v2, v14
	v_mul_lo_u32 v2, v2, 24
	v_mul_hi_u32 v3, v1, 24
	v_mul_lo_u32 v1, v1, 24
	v_add_u32_e32 v2, v3, v2
	s_waitcnt vmcnt(0)
	v_add_co_u32_e32 v1, vcc, v6, v1
	v_addc_co_u32_e32 v2, vcc, v7, v2, vcc
	global_load_dwordx2 v[11:12], v[1:2], off glc
	s_waitcnt vmcnt(0)
	global_atomic_cmpswap_x2 v[6:7], v0, v[11:14], s[36:37] offset:24 glc
	s_waitcnt vmcnt(0)
	buffer_wbinvl1_vol
	v_cmp_ne_u64_e32 vcc, v[6:7], v[13:14]
	s_and_saveexec_b64 s[16:17], vcc
	s_cbranch_execz .LBB3_398
; %bb.395:
	s_mov_b64 s[18:19], 0
.LBB3_396:                              ; =>This Inner Loop Header: Depth=1
	s_sleep 1
	global_load_dwordx2 v[1:2], v0, s[36:37] offset:40
	global_load_dwordx2 v[11:12], v0, s[36:37]
	v_mov_b32_e32 v14, v7
	v_mov_b32_e32 v13, v6
	s_waitcnt vmcnt(1)
	v_and_b32_e32 v1, v1, v13
	s_waitcnt vmcnt(0)
	v_mad_u64_u32 v[6:7], s[20:21], v1, 24, v[11:12]
	v_and_b32_e32 v2, v2, v14
	v_mov_b32_e32 v1, v7
	v_mad_u64_u32 v[1:2], s[20:21], v2, 24, v[1:2]
	v_mov_b32_e32 v7, v1
	global_load_dwordx2 v[11:12], v[6:7], off glc
	s_waitcnt vmcnt(0)
	global_atomic_cmpswap_x2 v[6:7], v0, v[11:14], s[36:37] offset:24 glc
	s_waitcnt vmcnt(0)
	buffer_wbinvl1_vol
	v_cmp_eq_u64_e32 vcc, v[6:7], v[13:14]
	s_or_b64 s[18:19], vcc, s[18:19]
	s_andn2_b64 exec, exec, s[18:19]
	s_cbranch_execnz .LBB3_396
; %bb.397:
	s_or_b64 exec, exec, s[18:19]
.LBB3_398:
	s_or_b64 exec, exec, s[16:17]
.LBB3_399:
	s_or_b64 exec, exec, s[10:11]
	s_waitcnt vmcnt(0)
	v_mov_b32_e32 v12, 0
	global_load_dwordx2 v[13:14], v12, s[36:37] offset:40
	global_load_dwordx4 v[0:3], v12, s[36:37]
	v_readfirstlane_b32 s10, v6
	v_readfirstlane_b32 s11, v7
	s_mov_b64 s[16:17], exec
	s_waitcnt vmcnt(1)
	v_readfirstlane_b32 s18, v13
	v_readfirstlane_b32 s19, v14
	s_and_b64 s[18:19], s[10:11], s[18:19]
	s_mul_i32 s15, s19, 24
	s_mul_hi_u32 s20, s18, 24
	s_mul_i32 s21, s18, 24
	s_add_i32 s15, s20, s15
	v_mov_b32_e32 v7, s15
	s_waitcnt vmcnt(0)
	v_add_co_u32_e32 v6, vcc, s21, v0
	v_addc_co_u32_e32 v7, vcc, v1, v7, vcc
	s_and_saveexec_b64 s[20:21], s[4:5]
	s_cbranch_execz .LBB3_401
; %bb.400:
	v_mov_b32_e32 v13, s16
	v_mov_b32_e32 v14, s17
	;; [unrolled: 1-line block ×4, first 2 shown]
	global_store_dwordx4 v[6:7], v[13:16], off offset:8
.LBB3_401:
	s_or_b64 exec, exec, s[20:21]
	s_lshl_b64 s[16:17], s[18:19], 12
	v_mov_b32_e32 v11, s17
	v_add_co_u32_e32 v2, vcc, s16, v2
	v_addc_co_u32_e32 v3, vcc, v3, v11, vcc
	s_movk_i32 s15, 0xff1d
	v_and_or_b32 v9, v9, s15, 34
	s_mov_b32 s16, 0
	v_mov_b32_e32 v11, 10
	v_readfirstlane_b32 s20, v2
	v_readfirstlane_b32 s21, v3
	s_mov_b32 s17, s16
	s_mov_b32 s18, s16
	;; [unrolled: 1-line block ×3, first 2 shown]
	s_nop 1
	global_store_dwordx4 v50, v[9:12], s[20:21]
	s_nop 0
	v_mov_b32_e32 v9, s16
	v_mov_b32_e32 v10, s17
	;; [unrolled: 1-line block ×4, first 2 shown]
	global_store_dwordx4 v50, v[9:12], s[20:21] offset:16
	global_store_dwordx4 v50, v[9:12], s[20:21] offset:32
	global_store_dwordx4 v50, v[9:12], s[20:21] offset:48
	s_and_saveexec_b64 s[16:17], s[4:5]
	s_cbranch_execz .LBB3_409
; %bb.402:
	v_mov_b32_e32 v11, 0
	global_load_dwordx2 v[14:15], v11, s[36:37] offset:32 glc
	global_load_dwordx2 v[2:3], v11, s[36:37] offset:40
	v_mov_b32_e32 v12, s10
	v_mov_b32_e32 v13, s11
	s_waitcnt vmcnt(0)
	v_readfirstlane_b32 s18, v2
	v_readfirstlane_b32 s19, v3
	s_and_b64 s[18:19], s[18:19], s[10:11]
	s_mul_i32 s15, s19, 24
	s_mul_hi_u32 s19, s18, 24
	s_mul_i32 s18, s18, 24
	s_add_i32 s15, s19, s15
	v_mov_b32_e32 v2, s15
	v_add_co_u32_e32 v9, vcc, s18, v0
	v_addc_co_u32_e32 v10, vcc, v1, v2, vcc
	global_store_dwordx2 v[9:10], v[14:15], off
	s_waitcnt vmcnt(0)
	global_atomic_cmpswap_x2 v[2:3], v11, v[12:15], s[36:37] offset:32 glc
	s_waitcnt vmcnt(0)
	v_cmp_ne_u64_e32 vcc, v[2:3], v[14:15]
	s_and_saveexec_b64 s[18:19], vcc
	s_cbranch_execz .LBB3_405
; %bb.403:
	s_mov_b64 s[20:21], 0
.LBB3_404:                              ; =>This Inner Loop Header: Depth=1
	s_sleep 1
	global_store_dwordx2 v[9:10], v[2:3], off
	v_mov_b32_e32 v0, s10
	v_mov_b32_e32 v1, s11
	s_waitcnt vmcnt(0)
	global_atomic_cmpswap_x2 v[0:1], v11, v[0:3], s[36:37] offset:32 glc
	s_waitcnt vmcnt(0)
	v_cmp_eq_u64_e32 vcc, v[0:1], v[2:3]
	v_mov_b32_e32 v3, v1
	s_or_b64 s[20:21], vcc, s[20:21]
	v_mov_b32_e32 v2, v0
	s_andn2_b64 exec, exec, s[20:21]
	s_cbranch_execnz .LBB3_404
.LBB3_405:
	s_or_b64 exec, exec, s[18:19]
	v_mov_b32_e32 v3, 0
	global_load_dwordx2 v[0:1], v3, s[36:37] offset:16
	s_mov_b64 s[18:19], exec
	v_mbcnt_lo_u32_b32 v2, s18, 0
	v_mbcnt_hi_u32_b32 v2, s19, v2
	v_cmp_eq_u32_e32 vcc, 0, v2
	s_and_saveexec_b64 s[20:21], vcc
	s_cbranch_execz .LBB3_407
; %bb.406:
	s_bcnt1_i32_b64 s15, s[18:19]
	v_mov_b32_e32 v2, s15
	s_waitcnt vmcnt(0)
	global_atomic_add_x2 v[0:1], v[2:3], off offset:8
.LBB3_407:
	s_or_b64 exec, exec, s[20:21]
	s_waitcnt vmcnt(0)
	global_load_dwordx2 v[2:3], v[0:1], off offset:16
	s_waitcnt vmcnt(0)
	v_cmp_eq_u64_e32 vcc, 0, v[2:3]
	s_cbranch_vccnz .LBB3_409
; %bb.408:
	global_load_dword v0, v[0:1], off offset:24
	v_mov_b32_e32 v1, 0
	s_waitcnt vmcnt(0)
	global_store_dwordx2 v[2:3], v[0:1], off
	v_and_b32_e32 v0, 0xffffff, v0
	v_readfirstlane_b32 m0, v0
	s_sendmsg sendmsg(MSG_INTERRUPT)
.LBB3_409:
	s_or_b64 exec, exec, s[16:17]
	s_branch .LBB3_413
.LBB3_410:                              ;   in Loop: Header=BB3_413 Depth=1
	s_or_b64 exec, exec, s[16:17]
	v_readfirstlane_b32 s15, v0
	s_cmp_eq_u32 s15, 0
	s_cbranch_scc1 .LBB3_412
; %bb.411:                              ;   in Loop: Header=BB3_413 Depth=1
	s_sleep 1
	s_cbranch_execnz .LBB3_413
	s_branch .LBB3_415
.LBB3_412:
	s_branch .LBB3_415
.LBB3_413:                              ; =>This Inner Loop Header: Depth=1
	v_mov_b32_e32 v0, 1
	s_and_saveexec_b64 s[16:17], s[4:5]
	s_cbranch_execz .LBB3_410
; %bb.414:                              ;   in Loop: Header=BB3_413 Depth=1
	global_load_dword v0, v[6:7], off offset:20 glc
	s_waitcnt vmcnt(0)
	buffer_wbinvl1_vol
	v_and_b32_e32 v0, 1, v0
	s_branch .LBB3_410
.LBB3_415:
	s_and_saveexec_b64 s[16:17], s[4:5]
	s_cbranch_execz .LBB3_418
; %bb.416:
	v_mov_b32_e32 v9, 0
	global_load_dwordx2 v[2:3], v9, s[36:37] offset:40
	global_load_dwordx2 v[10:11], v9, s[36:37] offset:24 glc
	global_load_dwordx2 v[6:7], v9, s[36:37]
	v_mov_b32_e32 v1, s11
	s_mov_b64 s[4:5], 0
	s_waitcnt vmcnt(2)
	v_add_co_u32_e32 v12, vcc, 1, v2
	v_addc_co_u32_e32 v13, vcc, 0, v3, vcc
	v_add_co_u32_e32 v0, vcc, s10, v12
	v_addc_co_u32_e32 v1, vcc, v13, v1, vcc
	v_cmp_eq_u64_e32 vcc, 0, v[0:1]
	v_cndmask_b32_e32 v1, v1, v13, vcc
	v_cndmask_b32_e32 v0, v0, v12, vcc
	v_and_b32_e32 v3, v1, v3
	v_and_b32_e32 v2, v0, v2
	v_mul_lo_u32 v3, v3, 24
	v_mul_hi_u32 v12, v2, 24
	v_mul_lo_u32 v13, v2, 24
	s_waitcnt vmcnt(1)
	v_mov_b32_e32 v2, v10
	v_add_u32_e32 v3, v12, v3
	s_waitcnt vmcnt(0)
	v_add_co_u32_e32 v6, vcc, v6, v13
	v_addc_co_u32_e32 v7, vcc, v7, v3, vcc
	global_store_dwordx2 v[6:7], v[10:11], off
	v_mov_b32_e32 v3, v11
	s_waitcnt vmcnt(0)
	global_atomic_cmpswap_x2 v[2:3], v9, v[0:3], s[36:37] offset:24 glc
	s_waitcnt vmcnt(0)
	v_cmp_ne_u64_e32 vcc, v[2:3], v[10:11]
	s_and_b64 exec, exec, vcc
	s_cbranch_execz .LBB3_418
.LBB3_417:                              ; =>This Inner Loop Header: Depth=1
	s_sleep 1
	global_store_dwordx2 v[6:7], v[2:3], off
	s_waitcnt vmcnt(0)
	global_atomic_cmpswap_x2 v[10:11], v9, v[0:3], s[36:37] offset:24 glc
	s_waitcnt vmcnt(0)
	v_cmp_eq_u64_e32 vcc, v[10:11], v[2:3]
	v_mov_b32_e32 v2, v10
	s_or_b64 s[4:5], vcc, s[4:5]
	v_mov_b32_e32 v3, v11
	s_andn2_b64 exec, exec, s[4:5]
	s_cbranch_execnz .LBB3_417
.LBB3_418:
	s_or_b64 exec, exec, s[16:17]
	v_readfirstlane_b32 s4, v51
	v_mov_b32_e32 v6, 0
	v_mov_b32_e32 v7, 0
	v_cmp_eq_u32_e64 s[4:5], s4, v51
	s_and_saveexec_b64 s[10:11], s[4:5]
	s_cbranch_execz .LBB3_424
; %bb.419:
	v_mov_b32_e32 v0, 0
	global_load_dwordx2 v[11:12], v0, s[36:37] offset:24 glc
	s_waitcnt vmcnt(0)
	buffer_wbinvl1_vol
	global_load_dwordx2 v[1:2], v0, s[36:37] offset:40
	global_load_dwordx2 v[6:7], v0, s[36:37]
	s_waitcnt vmcnt(1)
	v_and_b32_e32 v1, v1, v11
	v_and_b32_e32 v2, v2, v12
	v_mul_lo_u32 v2, v2, 24
	v_mul_hi_u32 v3, v1, 24
	v_mul_lo_u32 v1, v1, 24
	v_add_u32_e32 v2, v3, v2
	s_waitcnt vmcnt(0)
	v_add_co_u32_e32 v1, vcc, v6, v1
	v_addc_co_u32_e32 v2, vcc, v7, v2, vcc
	global_load_dwordx2 v[9:10], v[1:2], off glc
	s_waitcnt vmcnt(0)
	global_atomic_cmpswap_x2 v[6:7], v0, v[9:12], s[36:37] offset:24 glc
	s_waitcnt vmcnt(0)
	buffer_wbinvl1_vol
	v_cmp_ne_u64_e32 vcc, v[6:7], v[11:12]
	s_and_saveexec_b64 s[16:17], vcc
	s_cbranch_execz .LBB3_423
; %bb.420:
	s_mov_b64 s[18:19], 0
.LBB3_421:                              ; =>This Inner Loop Header: Depth=1
	s_sleep 1
	global_load_dwordx2 v[1:2], v0, s[36:37] offset:40
	global_load_dwordx2 v[9:10], v0, s[36:37]
	v_mov_b32_e32 v12, v7
	v_mov_b32_e32 v11, v6
	s_waitcnt vmcnt(1)
	v_and_b32_e32 v1, v1, v11
	s_waitcnt vmcnt(0)
	v_mad_u64_u32 v[6:7], s[20:21], v1, 24, v[9:10]
	v_and_b32_e32 v2, v2, v12
	v_mov_b32_e32 v1, v7
	v_mad_u64_u32 v[1:2], s[20:21], v2, 24, v[1:2]
	v_mov_b32_e32 v7, v1
	global_load_dwordx2 v[9:10], v[6:7], off glc
	s_waitcnt vmcnt(0)
	global_atomic_cmpswap_x2 v[6:7], v0, v[9:12], s[36:37] offset:24 glc
	s_waitcnt vmcnt(0)
	buffer_wbinvl1_vol
	v_cmp_eq_u64_e32 vcc, v[6:7], v[11:12]
	s_or_b64 s[18:19], vcc, s[18:19]
	s_andn2_b64 exec, exec, s[18:19]
	s_cbranch_execnz .LBB3_421
; %bb.422:
	s_or_b64 exec, exec, s[18:19]
.LBB3_423:
	s_or_b64 exec, exec, s[16:17]
.LBB3_424:
	s_or_b64 exec, exec, s[10:11]
	v_mov_b32_e32 v10, 0
	global_load_dwordx2 v[11:12], v10, s[36:37] offset:40
	global_load_dwordx4 v[0:3], v10, s[36:37]
	v_readfirstlane_b32 s10, v6
	v_readfirstlane_b32 s11, v7
	s_mov_b64 s[16:17], exec
	s_waitcnt vmcnt(1)
	v_readfirstlane_b32 s18, v11
	v_readfirstlane_b32 s19, v12
	s_and_b64 s[18:19], s[10:11], s[18:19]
	s_mul_i32 s15, s19, 24
	s_mul_hi_u32 s20, s18, 24
	s_mul_i32 s21, s18, 24
	s_add_i32 s15, s20, s15
	v_mov_b32_e32 v7, s15
	s_waitcnt vmcnt(0)
	v_add_co_u32_e32 v6, vcc, s21, v0
	v_addc_co_u32_e32 v7, vcc, v1, v7, vcc
	s_and_saveexec_b64 s[20:21], s[4:5]
	s_cbranch_execz .LBB3_426
; %bb.425:
	v_mov_b32_e32 v11, s16
	v_mov_b32_e32 v12, s17
	;; [unrolled: 1-line block ×4, first 2 shown]
	global_store_dwordx4 v[6:7], v[11:14], off offset:8
.LBB3_426:
	s_or_b64 exec, exec, s[20:21]
	s_lshl_b64 s[16:17], s[18:19], 12
	v_mov_b32_e32 v9, s17
	v_add_co_u32_e32 v2, vcc, s16, v2
	v_addc_co_u32_e32 v3, vcc, v3, v9, vcc
	s_mov_b32 s16, 0
	v_mov_b32_e32 v9, 33
	v_mov_b32_e32 v11, v10
	;; [unrolled: 1-line block ×3, first 2 shown]
	v_readfirstlane_b32 s20, v2
	v_readfirstlane_b32 s21, v3
	v_add_co_u32_e32 v13, vcc, v2, v50
	s_mov_b32 s17, s16
	s_mov_b32 s18, s16
	;; [unrolled: 1-line block ×3, first 2 shown]
	s_nop 0
	global_store_dwordx4 v50, v[9:12], s[20:21]
	v_addc_co_u32_e32 v14, vcc, 0, v3, vcc
	v_mov_b32_e32 v9, s16
	v_mov_b32_e32 v10, s17
	;; [unrolled: 1-line block ×4, first 2 shown]
	global_store_dwordx4 v50, v[9:12], s[20:21] offset:16
	global_store_dwordx4 v50, v[9:12], s[20:21] offset:32
	;; [unrolled: 1-line block ×3, first 2 shown]
	s_and_saveexec_b64 s[16:17], s[4:5]
	s_cbranch_execz .LBB3_434
; %bb.427:
	v_mov_b32_e32 v11, 0
	global_load_dwordx2 v[17:18], v11, s[36:37] offset:32 glc
	global_load_dwordx2 v[2:3], v11, s[36:37] offset:40
	v_mov_b32_e32 v15, s10
	v_mov_b32_e32 v16, s11
	s_waitcnt vmcnt(0)
	v_readfirstlane_b32 s18, v2
	v_readfirstlane_b32 s19, v3
	s_and_b64 s[18:19], s[18:19], s[10:11]
	s_mul_i32 s15, s19, 24
	s_mul_hi_u32 s19, s18, 24
	s_mul_i32 s18, s18, 24
	s_add_i32 s15, s19, s15
	v_mov_b32_e32 v2, s15
	v_add_co_u32_e32 v9, vcc, s18, v0
	v_addc_co_u32_e32 v10, vcc, v1, v2, vcc
	global_store_dwordx2 v[9:10], v[17:18], off
	s_waitcnt vmcnt(0)
	global_atomic_cmpswap_x2 v[2:3], v11, v[15:18], s[36:37] offset:32 glc
	s_waitcnt vmcnt(0)
	v_cmp_ne_u64_e32 vcc, v[2:3], v[17:18]
	s_and_saveexec_b64 s[18:19], vcc
	s_cbranch_execz .LBB3_430
; %bb.428:
	s_mov_b64 s[20:21], 0
.LBB3_429:                              ; =>This Inner Loop Header: Depth=1
	s_sleep 1
	global_store_dwordx2 v[9:10], v[2:3], off
	v_mov_b32_e32 v0, s10
	v_mov_b32_e32 v1, s11
	s_waitcnt vmcnt(0)
	global_atomic_cmpswap_x2 v[0:1], v11, v[0:3], s[36:37] offset:32 glc
	s_waitcnt vmcnt(0)
	v_cmp_eq_u64_e32 vcc, v[0:1], v[2:3]
	v_mov_b32_e32 v3, v1
	s_or_b64 s[20:21], vcc, s[20:21]
	v_mov_b32_e32 v2, v0
	s_andn2_b64 exec, exec, s[20:21]
	s_cbranch_execnz .LBB3_429
.LBB3_430:
	s_or_b64 exec, exec, s[18:19]
	v_mov_b32_e32 v3, 0
	global_load_dwordx2 v[0:1], v3, s[36:37] offset:16
	s_mov_b64 s[18:19], exec
	v_mbcnt_lo_u32_b32 v2, s18, 0
	v_mbcnt_hi_u32_b32 v2, s19, v2
	v_cmp_eq_u32_e32 vcc, 0, v2
	s_and_saveexec_b64 s[20:21], vcc
	s_cbranch_execz .LBB3_432
; %bb.431:
	s_bcnt1_i32_b64 s15, s[18:19]
	v_mov_b32_e32 v2, s15
	s_waitcnt vmcnt(0)
	global_atomic_add_x2 v[0:1], v[2:3], off offset:8
.LBB3_432:
	s_or_b64 exec, exec, s[20:21]
	s_waitcnt vmcnt(0)
	global_load_dwordx2 v[2:3], v[0:1], off offset:16
	s_waitcnt vmcnt(0)
	v_cmp_eq_u64_e32 vcc, 0, v[2:3]
	s_cbranch_vccnz .LBB3_434
; %bb.433:
	global_load_dword v0, v[0:1], off offset:24
	v_mov_b32_e32 v1, 0
	s_waitcnt vmcnt(0)
	global_store_dwordx2 v[2:3], v[0:1], off
	v_and_b32_e32 v0, 0xffffff, v0
	v_readfirstlane_b32 m0, v0
	s_sendmsg sendmsg(MSG_INTERRUPT)
.LBB3_434:
	s_or_b64 exec, exec, s[16:17]
	s_branch .LBB3_438
.LBB3_435:                              ;   in Loop: Header=BB3_438 Depth=1
	s_or_b64 exec, exec, s[16:17]
	v_readfirstlane_b32 s15, v0
	s_cmp_eq_u32 s15, 0
	s_cbranch_scc1 .LBB3_437
; %bb.436:                              ;   in Loop: Header=BB3_438 Depth=1
	s_sleep 1
	s_cbranch_execnz .LBB3_438
	s_branch .LBB3_440
.LBB3_437:
	s_branch .LBB3_440
.LBB3_438:                              ; =>This Inner Loop Header: Depth=1
	v_mov_b32_e32 v0, 1
	s_and_saveexec_b64 s[16:17], s[4:5]
	s_cbranch_execz .LBB3_435
; %bb.439:                              ;   in Loop: Header=BB3_438 Depth=1
	global_load_dword v0, v[6:7], off offset:20 glc
	s_waitcnt vmcnt(0)
	buffer_wbinvl1_vol
	v_and_b32_e32 v0, 1, v0
	s_branch .LBB3_435
.LBB3_440:
	global_load_dwordx2 v[9:10], v[13:14], off
	s_and_saveexec_b64 s[16:17], s[4:5]
	s_cbranch_execz .LBB3_443
; %bb.441:
	v_mov_b32_e32 v11, 0
	global_load_dwordx2 v[2:3], v11, s[36:37] offset:40
	global_load_dwordx2 v[12:13], v11, s[36:37] offset:24 glc
	global_load_dwordx2 v[6:7], v11, s[36:37]
	v_mov_b32_e32 v1, s11
	s_mov_b64 s[4:5], 0
	s_waitcnt vmcnt(2)
	v_add_co_u32_e32 v14, vcc, 1, v2
	v_addc_co_u32_e32 v15, vcc, 0, v3, vcc
	v_add_co_u32_e32 v0, vcc, s10, v14
	v_addc_co_u32_e32 v1, vcc, v15, v1, vcc
	v_cmp_eq_u64_e32 vcc, 0, v[0:1]
	v_cndmask_b32_e32 v1, v1, v15, vcc
	v_cndmask_b32_e32 v0, v0, v14, vcc
	v_and_b32_e32 v3, v1, v3
	v_and_b32_e32 v2, v0, v2
	v_mul_lo_u32 v3, v3, 24
	v_mul_hi_u32 v14, v2, 24
	v_mul_lo_u32 v15, v2, 24
	s_waitcnt vmcnt(1)
	v_mov_b32_e32 v2, v12
	v_add_u32_e32 v3, v14, v3
	s_waitcnt vmcnt(0)
	v_add_co_u32_e32 v6, vcc, v6, v15
	v_addc_co_u32_e32 v7, vcc, v7, v3, vcc
	global_store_dwordx2 v[6:7], v[12:13], off
	v_mov_b32_e32 v3, v13
	s_waitcnt vmcnt(0)
	global_atomic_cmpswap_x2 v[2:3], v11, v[0:3], s[36:37] offset:24 glc
	s_waitcnt vmcnt(0)
	v_cmp_ne_u64_e32 vcc, v[2:3], v[12:13]
	s_and_b64 exec, exec, vcc
	s_cbranch_execz .LBB3_443
.LBB3_442:                              ; =>This Inner Loop Header: Depth=1
	s_sleep 1
	global_store_dwordx2 v[6:7], v[2:3], off
	s_waitcnt vmcnt(0)
	global_atomic_cmpswap_x2 v[12:13], v11, v[0:3], s[36:37] offset:24 glc
	s_waitcnt vmcnt(0)
	v_cmp_eq_u64_e32 vcc, v[12:13], v[2:3]
	v_mov_b32_e32 v2, v12
	s_or_b64 s[4:5], vcc, s[4:5]
	v_mov_b32_e32 v3, v13
	s_andn2_b64 exec, exec, s[4:5]
	s_cbranch_execnz .LBB3_442
.LBB3_443:
	s_or_b64 exec, exec, s[16:17]
	s_and_b64 vcc, exec, s[6:7]
	s_cbranch_vccz .LBB3_528
; %bb.444:
	s_waitcnt vmcnt(0)
	v_and_b32_e32 v33, 2, v9
	v_mov_b32_e32 v7, 0
	v_and_b32_e32 v0, -3, v9
	v_mov_b32_e32 v1, v10
	s_mov_b64 s[16:17], 3
	v_mov_b32_e32 v13, 2
	v_mov_b32_e32 v14, 1
	s_getpc_b64 s[10:11]
	s_add_u32 s10, s10, .str.7@rel32@lo+4
	s_addc_u32 s11, s11, .str.7@rel32@hi+12
	s_branch .LBB3_446
.LBB3_445:                              ;   in Loop: Header=BB3_446 Depth=1
	s_or_b64 exec, exec, s[22:23]
	s_sub_u32 s16, s16, s18
	s_subb_u32 s17, s17, s19
	s_add_u32 s10, s10, s18
	s_addc_u32 s11, s11, s19
	s_cmp_lg_u64 s[16:17], 0
	s_cbranch_scc0 .LBB3_527
.LBB3_446:                              ; =>This Loop Header: Depth=1
                                        ;     Child Loop BB3_449 Depth 2
                                        ;     Child Loop BB3_456 Depth 2
	;; [unrolled: 1-line block ×11, first 2 shown]
	v_cmp_lt_u64_e64 s[4:5], s[16:17], 56
	v_cmp_gt_u64_e64 s[20:21], s[16:17], 7
	s_and_b64 s[4:5], s[4:5], exec
	s_cselect_b32 s19, s17, 0
	s_cselect_b32 s18, s16, 56
	s_and_b64 vcc, exec, s[20:21]
	s_cbranch_vccnz .LBB3_451
; %bb.447:                              ;   in Loop: Header=BB3_446 Depth=1
	s_waitcnt vmcnt(0)
	v_mov_b32_e32 v2, 0
	s_cmp_eq_u64 s[16:17], 0
	v_mov_b32_e32 v3, 0
	s_mov_b64 s[4:5], 0
	s_cbranch_scc1 .LBB3_450
; %bb.448:                              ;   in Loop: Header=BB3_446 Depth=1
	v_mov_b32_e32 v2, 0
	s_lshl_b64 s[20:21], s[18:19], 3
	s_mov_b64 s[22:23], 0
	v_mov_b32_e32 v3, 0
	s_mov_b64 s[24:25], s[10:11]
.LBB3_449:                              ;   Parent Loop BB3_446 Depth=1
                                        ; =>  This Inner Loop Header: Depth=2
	global_load_ubyte v6, v7, s[24:25]
	s_waitcnt vmcnt(0)
	v_and_b32_e32 v6, 0xffff, v6
	v_lshlrev_b64 v[11:12], s22, v[6:7]
	s_add_u32 s22, s22, 8
	s_addc_u32 s23, s23, 0
	s_add_u32 s24, s24, 1
	s_addc_u32 s25, s25, 0
	v_or_b32_e32 v2, v11, v2
	s_cmp_lg_u32 s20, s22
	v_or_b32_e32 v3, v12, v3
	s_cbranch_scc1 .LBB3_449
.LBB3_450:                              ;   in Loop: Header=BB3_446 Depth=1
	s_mov_b32 s15, 0
	s_andn2_b64 vcc, exec, s[4:5]
	s_mov_b64 s[4:5], s[10:11]
	s_cbranch_vccz .LBB3_452
	s_branch .LBB3_453
.LBB3_451:                              ;   in Loop: Header=BB3_446 Depth=1
                                        ; implicit-def: $vgpr2_vgpr3
                                        ; implicit-def: $sgpr15
	s_mov_b64 s[4:5], s[10:11]
.LBB3_452:                              ;   in Loop: Header=BB3_446 Depth=1
	global_load_dwordx2 v[2:3], v7, s[10:11]
	s_add_i32 s15, s18, -8
	s_add_u32 s4, s10, 8
	s_addc_u32 s5, s11, 0
.LBB3_453:                              ;   in Loop: Header=BB3_446 Depth=1
	s_cmp_gt_u32 s15, 7
	s_cbranch_scc1 .LBB3_457
; %bb.454:                              ;   in Loop: Header=BB3_446 Depth=1
	s_cmp_eq_u32 s15, 0
	s_cbranch_scc1 .LBB3_458
; %bb.455:                              ;   in Loop: Header=BB3_446 Depth=1
	v_mov_b32_e32 v15, 0
	s_mov_b64 s[20:21], 0
	v_mov_b32_e32 v16, 0
	s_mov_b64 s[22:23], 0
.LBB3_456:                              ;   Parent Loop BB3_446 Depth=1
                                        ; =>  This Inner Loop Header: Depth=2
	s_add_u32 s24, s4, s22
	s_addc_u32 s25, s5, s23
	global_load_ubyte v6, v7, s[24:25]
	s_add_u32 s22, s22, 1
	s_addc_u32 s23, s23, 0
	s_waitcnt vmcnt(0)
	v_and_b32_e32 v6, 0xffff, v6
	v_lshlrev_b64 v[11:12], s20, v[6:7]
	s_add_u32 s20, s20, 8
	s_addc_u32 s21, s21, 0
	v_or_b32_e32 v15, v11, v15
	s_cmp_lg_u32 s15, s22
	v_or_b32_e32 v16, v12, v16
	s_cbranch_scc1 .LBB3_456
	s_branch .LBB3_459
.LBB3_457:                              ;   in Loop: Header=BB3_446 Depth=1
                                        ; implicit-def: $vgpr15_vgpr16
                                        ; implicit-def: $sgpr24
	s_branch .LBB3_460
.LBB3_458:                              ;   in Loop: Header=BB3_446 Depth=1
	v_mov_b32_e32 v15, 0
	v_mov_b32_e32 v16, 0
.LBB3_459:                              ;   in Loop: Header=BB3_446 Depth=1
	s_mov_b32 s24, 0
	s_cbranch_execnz .LBB3_461
.LBB3_460:                              ;   in Loop: Header=BB3_446 Depth=1
	global_load_dwordx2 v[15:16], v7, s[4:5]
	s_add_i32 s24, s15, -8
	s_add_u32 s4, s4, 8
	s_addc_u32 s5, s5, 0
.LBB3_461:                              ;   in Loop: Header=BB3_446 Depth=1
	s_cmp_gt_u32 s24, 7
	s_cbranch_scc1 .LBB3_465
; %bb.462:                              ;   in Loop: Header=BB3_446 Depth=1
	s_cmp_eq_u32 s24, 0
	s_cbranch_scc1 .LBB3_466
; %bb.463:                              ;   in Loop: Header=BB3_446 Depth=1
	v_mov_b32_e32 v17, 0
	s_mov_b64 s[20:21], 0
	v_mov_b32_e32 v18, 0
	s_mov_b64 s[22:23], 0
.LBB3_464:                              ;   Parent Loop BB3_446 Depth=1
                                        ; =>  This Inner Loop Header: Depth=2
	s_add_u32 s26, s4, s22
	s_addc_u32 s27, s5, s23
	global_load_ubyte v6, v7, s[26:27]
	s_add_u32 s22, s22, 1
	s_addc_u32 s23, s23, 0
	s_waitcnt vmcnt(0)
	v_and_b32_e32 v6, 0xffff, v6
	v_lshlrev_b64 v[11:12], s20, v[6:7]
	s_add_u32 s20, s20, 8
	s_addc_u32 s21, s21, 0
	v_or_b32_e32 v17, v11, v17
	s_cmp_lg_u32 s24, s22
	v_or_b32_e32 v18, v12, v18
	s_cbranch_scc1 .LBB3_464
	s_branch .LBB3_467
.LBB3_465:                              ;   in Loop: Header=BB3_446 Depth=1
                                        ; implicit-def: $sgpr15
	s_branch .LBB3_468
.LBB3_466:                              ;   in Loop: Header=BB3_446 Depth=1
	v_mov_b32_e32 v17, 0
	v_mov_b32_e32 v18, 0
.LBB3_467:                              ;   in Loop: Header=BB3_446 Depth=1
	s_mov_b32 s15, 0
	s_cbranch_execnz .LBB3_469
.LBB3_468:                              ;   in Loop: Header=BB3_446 Depth=1
	global_load_dwordx2 v[17:18], v7, s[4:5]
	s_add_i32 s15, s24, -8
	s_add_u32 s4, s4, 8
	s_addc_u32 s5, s5, 0
.LBB3_469:                              ;   in Loop: Header=BB3_446 Depth=1
	s_cmp_gt_u32 s15, 7
	s_cbranch_scc1 .LBB3_473
; %bb.470:                              ;   in Loop: Header=BB3_446 Depth=1
	s_cmp_eq_u32 s15, 0
	s_cbranch_scc1 .LBB3_474
; %bb.471:                              ;   in Loop: Header=BB3_446 Depth=1
	v_mov_b32_e32 v19, 0
	s_mov_b64 s[20:21], 0
	v_mov_b32_e32 v20, 0
	s_mov_b64 s[22:23], 0
.LBB3_472:                              ;   Parent Loop BB3_446 Depth=1
                                        ; =>  This Inner Loop Header: Depth=2
	s_add_u32 s24, s4, s22
	s_addc_u32 s25, s5, s23
	global_load_ubyte v6, v7, s[24:25]
	s_add_u32 s22, s22, 1
	s_addc_u32 s23, s23, 0
	s_waitcnt vmcnt(0)
	v_and_b32_e32 v6, 0xffff, v6
	v_lshlrev_b64 v[11:12], s20, v[6:7]
	s_add_u32 s20, s20, 8
	s_addc_u32 s21, s21, 0
	v_or_b32_e32 v19, v11, v19
	s_cmp_lg_u32 s15, s22
	v_or_b32_e32 v20, v12, v20
	s_cbranch_scc1 .LBB3_472
	s_branch .LBB3_475
.LBB3_473:                              ;   in Loop: Header=BB3_446 Depth=1
                                        ; implicit-def: $vgpr19_vgpr20
                                        ; implicit-def: $sgpr24
	s_branch .LBB3_476
.LBB3_474:                              ;   in Loop: Header=BB3_446 Depth=1
	v_mov_b32_e32 v19, 0
	v_mov_b32_e32 v20, 0
.LBB3_475:                              ;   in Loop: Header=BB3_446 Depth=1
	s_mov_b32 s24, 0
	s_cbranch_execnz .LBB3_477
.LBB3_476:                              ;   in Loop: Header=BB3_446 Depth=1
	global_load_dwordx2 v[19:20], v7, s[4:5]
	s_add_i32 s24, s15, -8
	s_add_u32 s4, s4, 8
	s_addc_u32 s5, s5, 0
.LBB3_477:                              ;   in Loop: Header=BB3_446 Depth=1
	s_cmp_gt_u32 s24, 7
	s_cbranch_scc1 .LBB3_481
; %bb.478:                              ;   in Loop: Header=BB3_446 Depth=1
	s_cmp_eq_u32 s24, 0
	s_cbranch_scc1 .LBB3_482
; %bb.479:                              ;   in Loop: Header=BB3_446 Depth=1
	v_mov_b32_e32 v21, 0
	s_mov_b64 s[20:21], 0
	v_mov_b32_e32 v22, 0
	s_mov_b64 s[22:23], 0
.LBB3_480:                              ;   Parent Loop BB3_446 Depth=1
                                        ; =>  This Inner Loop Header: Depth=2
	s_add_u32 s26, s4, s22
	s_addc_u32 s27, s5, s23
	global_load_ubyte v6, v7, s[26:27]
	s_add_u32 s22, s22, 1
	s_addc_u32 s23, s23, 0
	s_waitcnt vmcnt(0)
	v_and_b32_e32 v6, 0xffff, v6
	v_lshlrev_b64 v[11:12], s20, v[6:7]
	s_add_u32 s20, s20, 8
	s_addc_u32 s21, s21, 0
	v_or_b32_e32 v21, v11, v21
	s_cmp_lg_u32 s24, s22
	v_or_b32_e32 v22, v12, v22
	s_cbranch_scc1 .LBB3_480
	s_branch .LBB3_483
.LBB3_481:                              ;   in Loop: Header=BB3_446 Depth=1
                                        ; implicit-def: $sgpr15
	s_branch .LBB3_484
.LBB3_482:                              ;   in Loop: Header=BB3_446 Depth=1
	v_mov_b32_e32 v21, 0
	v_mov_b32_e32 v22, 0
.LBB3_483:                              ;   in Loop: Header=BB3_446 Depth=1
	s_mov_b32 s15, 0
	s_cbranch_execnz .LBB3_485
.LBB3_484:                              ;   in Loop: Header=BB3_446 Depth=1
	global_load_dwordx2 v[21:22], v7, s[4:5]
	s_add_i32 s15, s24, -8
	s_add_u32 s4, s4, 8
	s_addc_u32 s5, s5, 0
.LBB3_485:                              ;   in Loop: Header=BB3_446 Depth=1
	s_cmp_gt_u32 s15, 7
	s_cbranch_scc1 .LBB3_489
; %bb.486:                              ;   in Loop: Header=BB3_446 Depth=1
	s_cmp_eq_u32 s15, 0
	s_cbranch_scc1 .LBB3_490
; %bb.487:                              ;   in Loop: Header=BB3_446 Depth=1
	v_mov_b32_e32 v23, 0
	s_mov_b64 s[20:21], 0
	v_mov_b32_e32 v24, 0
	s_mov_b64 s[22:23], 0
.LBB3_488:                              ;   Parent Loop BB3_446 Depth=1
                                        ; =>  This Inner Loop Header: Depth=2
	s_add_u32 s24, s4, s22
	s_addc_u32 s25, s5, s23
	global_load_ubyte v6, v7, s[24:25]
	s_add_u32 s22, s22, 1
	s_addc_u32 s23, s23, 0
	s_waitcnt vmcnt(0)
	v_and_b32_e32 v6, 0xffff, v6
	v_lshlrev_b64 v[11:12], s20, v[6:7]
	s_add_u32 s20, s20, 8
	s_addc_u32 s21, s21, 0
	v_or_b32_e32 v23, v11, v23
	s_cmp_lg_u32 s15, s22
	v_or_b32_e32 v24, v12, v24
	s_cbranch_scc1 .LBB3_488
	s_branch .LBB3_491
.LBB3_489:                              ;   in Loop: Header=BB3_446 Depth=1
                                        ; implicit-def: $vgpr23_vgpr24
                                        ; implicit-def: $sgpr24
	s_branch .LBB3_492
.LBB3_490:                              ;   in Loop: Header=BB3_446 Depth=1
	v_mov_b32_e32 v23, 0
	v_mov_b32_e32 v24, 0
.LBB3_491:                              ;   in Loop: Header=BB3_446 Depth=1
	s_mov_b32 s24, 0
	s_cbranch_execnz .LBB3_493
.LBB3_492:                              ;   in Loop: Header=BB3_446 Depth=1
	global_load_dwordx2 v[23:24], v7, s[4:5]
	s_add_i32 s24, s15, -8
	s_add_u32 s4, s4, 8
	s_addc_u32 s5, s5, 0
.LBB3_493:                              ;   in Loop: Header=BB3_446 Depth=1
	s_cmp_gt_u32 s24, 7
	s_cbranch_scc1 .LBB3_497
; %bb.494:                              ;   in Loop: Header=BB3_446 Depth=1
	s_cmp_eq_u32 s24, 0
	s_cbranch_scc1 .LBB3_498
; %bb.495:                              ;   in Loop: Header=BB3_446 Depth=1
	v_mov_b32_e32 v25, 0
	s_mov_b64 s[20:21], 0
	v_mov_b32_e32 v26, 0
	s_mov_b64 s[22:23], s[4:5]
.LBB3_496:                              ;   Parent Loop BB3_446 Depth=1
                                        ; =>  This Inner Loop Header: Depth=2
	global_load_ubyte v6, v7, s[22:23]
	s_add_i32 s24, s24, -1
	s_waitcnt vmcnt(0)
	v_and_b32_e32 v6, 0xffff, v6
	v_lshlrev_b64 v[11:12], s20, v[6:7]
	s_add_u32 s20, s20, 8
	s_addc_u32 s21, s21, 0
	s_add_u32 s22, s22, 1
	s_addc_u32 s23, s23, 0
	v_or_b32_e32 v25, v11, v25
	s_cmp_lg_u32 s24, 0
	v_or_b32_e32 v26, v12, v26
	s_cbranch_scc1 .LBB3_496
	s_branch .LBB3_499
.LBB3_497:                              ;   in Loop: Header=BB3_446 Depth=1
	s_branch .LBB3_500
.LBB3_498:                              ;   in Loop: Header=BB3_446 Depth=1
	v_mov_b32_e32 v25, 0
	v_mov_b32_e32 v26, 0
.LBB3_499:                              ;   in Loop: Header=BB3_446 Depth=1
	s_cbranch_execnz .LBB3_501
.LBB3_500:                              ;   in Loop: Header=BB3_446 Depth=1
	global_load_dwordx2 v[25:26], v7, s[4:5]
.LBB3_501:                              ;   in Loop: Header=BB3_446 Depth=1
	v_readfirstlane_b32 s4, v51
	v_mov_b32_e32 v11, 0
	v_mov_b32_e32 v12, 0
	v_cmp_eq_u32_e64 s[4:5], s4, v51
	s_and_saveexec_b64 s[20:21], s[4:5]
	s_cbranch_execz .LBB3_507
; %bb.502:                              ;   in Loop: Header=BB3_446 Depth=1
	global_load_dwordx2 v[29:30], v7, s[36:37] offset:24 glc
	s_waitcnt vmcnt(0)
	buffer_wbinvl1_vol
	global_load_dwordx2 v[11:12], v7, s[36:37] offset:40
	global_load_dwordx2 v[27:28], v7, s[36:37]
	s_waitcnt vmcnt(1)
	v_and_b32_e32 v6, v11, v29
	v_and_b32_e32 v11, v12, v30
	v_mul_lo_u32 v11, v11, 24
	v_mul_hi_u32 v12, v6, 24
	v_mul_lo_u32 v6, v6, 24
	v_add_u32_e32 v12, v12, v11
	s_waitcnt vmcnt(0)
	v_add_co_u32_e32 v11, vcc, v27, v6
	v_addc_co_u32_e32 v12, vcc, v28, v12, vcc
	global_load_dwordx2 v[27:28], v[11:12], off glc
	s_waitcnt vmcnt(0)
	global_atomic_cmpswap_x2 v[11:12], v7, v[27:30], s[36:37] offset:24 glc
	s_waitcnt vmcnt(0)
	buffer_wbinvl1_vol
	v_cmp_ne_u64_e32 vcc, v[11:12], v[29:30]
	s_and_saveexec_b64 s[22:23], vcc
	s_cbranch_execz .LBB3_506
; %bb.503:                              ;   in Loop: Header=BB3_446 Depth=1
	s_mov_b64 s[24:25], 0
.LBB3_504:                              ;   Parent Loop BB3_446 Depth=1
                                        ; =>  This Inner Loop Header: Depth=2
	s_sleep 1
	global_load_dwordx2 v[27:28], v7, s[36:37] offset:40
	global_load_dwordx2 v[31:32], v7, s[36:37]
	v_mov_b32_e32 v30, v12
	v_mov_b32_e32 v29, v11
	s_waitcnt vmcnt(1)
	v_and_b32_e32 v6, v27, v29
	s_waitcnt vmcnt(0)
	v_mad_u64_u32 v[11:12], s[26:27], v6, 24, v[31:32]
	v_and_b32_e32 v27, v28, v30
	v_mov_b32_e32 v6, v12
	v_mad_u64_u32 v[27:28], s[26:27], v27, 24, v[6:7]
	v_mov_b32_e32 v12, v27
	global_load_dwordx2 v[27:28], v[11:12], off glc
	s_waitcnt vmcnt(0)
	global_atomic_cmpswap_x2 v[11:12], v7, v[27:30], s[36:37] offset:24 glc
	s_waitcnt vmcnt(0)
	buffer_wbinvl1_vol
	v_cmp_eq_u64_e32 vcc, v[11:12], v[29:30]
	s_or_b64 s[24:25], vcc, s[24:25]
	s_andn2_b64 exec, exec, s[24:25]
	s_cbranch_execnz .LBB3_504
; %bb.505:                              ;   in Loop: Header=BB3_446 Depth=1
	s_or_b64 exec, exec, s[24:25]
.LBB3_506:                              ;   in Loop: Header=BB3_446 Depth=1
	s_or_b64 exec, exec, s[22:23]
.LBB3_507:                              ;   in Loop: Header=BB3_446 Depth=1
	s_or_b64 exec, exec, s[20:21]
	global_load_dwordx2 v[31:32], v7, s[36:37] offset:40
	global_load_dwordx4 v[27:30], v7, s[36:37]
	v_readfirstlane_b32 s20, v11
	v_readfirstlane_b32 s21, v12
	s_mov_b64 s[22:23], exec
	s_waitcnt vmcnt(1)
	v_readfirstlane_b32 s24, v31
	v_readfirstlane_b32 s25, v32
	s_and_b64 s[24:25], s[20:21], s[24:25]
	s_mul_i32 s15, s25, 24
	s_mul_hi_u32 s26, s24, 24
	s_mul_i32 s27, s24, 24
	s_add_i32 s15, s26, s15
	v_mov_b32_e32 v6, s15
	s_waitcnt vmcnt(0)
	v_add_co_u32_e32 v31, vcc, s27, v27
	v_addc_co_u32_e32 v32, vcc, v28, v6, vcc
	s_and_saveexec_b64 s[26:27], s[4:5]
	s_cbranch_execz .LBB3_509
; %bb.508:                              ;   in Loop: Header=BB3_446 Depth=1
	v_mov_b32_e32 v11, s22
	v_mov_b32_e32 v12, s23
	global_store_dwordx4 v[31:32], v[11:14], off offset:8
.LBB3_509:                              ;   in Loop: Header=BB3_446 Depth=1
	s_or_b64 exec, exec, s[26:27]
	s_lshl_b64 s[22:23], s[24:25], 12
	v_mov_b32_e32 v6, s23
	v_add_co_u32_e32 v29, vcc, s22, v29
	v_addc_co_u32_e32 v30, vcc, v30, v6, vcc
	v_cmp_gt_u64_e64 vcc, s[16:17], 56
	v_or_b32_e32 v11, v0, v33
	s_lshl_b32 s15, s18, 2
	v_cndmask_b32_e32 v0, v11, v0, vcc
	s_add_i32 s15, s15, 28
	v_or_b32_e32 v6, 0, v1
	s_and_b32 s15, s15, 0x1e0
	v_and_b32_e32 v0, 0xffffff1f, v0
	v_cndmask_b32_e32 v1, v6, v1, vcc
	v_or_b32_e32 v0, s15, v0
	v_readfirstlane_b32 s22, v29
	v_readfirstlane_b32 s23, v30
	s_nop 4
	global_store_dwordx4 v50, v[0:3], s[22:23]
	global_store_dwordx4 v50, v[15:18], s[22:23] offset:16
	global_store_dwordx4 v50, v[19:22], s[22:23] offset:32
	;; [unrolled: 1-line block ×3, first 2 shown]
	s_and_saveexec_b64 s[22:23], s[4:5]
	s_cbranch_execz .LBB3_517
; %bb.510:                              ;   in Loop: Header=BB3_446 Depth=1
	global_load_dwordx2 v[17:18], v7, s[36:37] offset:32 glc
	global_load_dwordx2 v[0:1], v7, s[36:37] offset:40
	v_mov_b32_e32 v15, s20
	v_mov_b32_e32 v16, s21
	s_waitcnt vmcnt(0)
	v_readfirstlane_b32 s24, v0
	v_readfirstlane_b32 s25, v1
	s_and_b64 s[24:25], s[24:25], s[20:21]
	s_mul_i32 s15, s25, 24
	s_mul_hi_u32 s25, s24, 24
	s_mul_i32 s24, s24, 24
	s_add_i32 s15, s25, s15
	v_mov_b32_e32 v0, s15
	v_add_co_u32_e32 v11, vcc, s24, v27
	v_addc_co_u32_e32 v12, vcc, v28, v0, vcc
	global_store_dwordx2 v[11:12], v[17:18], off
	s_waitcnt vmcnt(0)
	global_atomic_cmpswap_x2 v[2:3], v7, v[15:18], s[36:37] offset:32 glc
	s_waitcnt vmcnt(0)
	v_cmp_ne_u64_e32 vcc, v[2:3], v[17:18]
	s_and_saveexec_b64 s[24:25], vcc
	s_cbranch_execz .LBB3_513
; %bb.511:                              ;   in Loop: Header=BB3_446 Depth=1
	s_mov_b64 s[26:27], 0
.LBB3_512:                              ;   Parent Loop BB3_446 Depth=1
                                        ; =>  This Inner Loop Header: Depth=2
	s_sleep 1
	global_store_dwordx2 v[11:12], v[2:3], off
	v_mov_b32_e32 v0, s20
	v_mov_b32_e32 v1, s21
	s_waitcnt vmcnt(0)
	global_atomic_cmpswap_x2 v[0:1], v7, v[0:3], s[36:37] offset:32 glc
	s_waitcnt vmcnt(0)
	v_cmp_eq_u64_e32 vcc, v[0:1], v[2:3]
	v_mov_b32_e32 v3, v1
	s_or_b64 s[26:27], vcc, s[26:27]
	v_mov_b32_e32 v2, v0
	s_andn2_b64 exec, exec, s[26:27]
	s_cbranch_execnz .LBB3_512
.LBB3_513:                              ;   in Loop: Header=BB3_446 Depth=1
	s_or_b64 exec, exec, s[24:25]
	global_load_dwordx2 v[0:1], v7, s[36:37] offset:16
	s_mov_b64 s[26:27], exec
	v_mbcnt_lo_u32_b32 v2, s26, 0
	v_mbcnt_hi_u32_b32 v2, s27, v2
	v_cmp_eq_u32_e32 vcc, 0, v2
	s_and_saveexec_b64 s[24:25], vcc
	s_cbranch_execz .LBB3_515
; %bb.514:                              ;   in Loop: Header=BB3_446 Depth=1
	s_bcnt1_i32_b64 s15, s[26:27]
	v_mov_b32_e32 v6, s15
	s_waitcnt vmcnt(0)
	global_atomic_add_x2 v[0:1], v[6:7], off offset:8
.LBB3_515:                              ;   in Loop: Header=BB3_446 Depth=1
	s_or_b64 exec, exec, s[24:25]
	s_waitcnt vmcnt(0)
	global_load_dwordx2 v[2:3], v[0:1], off offset:16
	s_waitcnt vmcnt(0)
	v_cmp_eq_u64_e32 vcc, 0, v[2:3]
	s_cbranch_vccnz .LBB3_517
; %bb.516:                              ;   in Loop: Header=BB3_446 Depth=1
	global_load_dword v6, v[0:1], off offset:24
	s_waitcnt vmcnt(0)
	v_and_b32_e32 v0, 0xffffff, v6
	v_readfirstlane_b32 m0, v0
	global_store_dwordx2 v[2:3], v[6:7], off
	s_sendmsg sendmsg(MSG_INTERRUPT)
.LBB3_517:                              ;   in Loop: Header=BB3_446 Depth=1
	s_or_b64 exec, exec, s[22:23]
	v_add_co_u32_e32 v0, vcc, v29, v50
	v_addc_co_u32_e32 v1, vcc, 0, v30, vcc
	s_branch .LBB3_521
.LBB3_518:                              ;   in Loop: Header=BB3_521 Depth=2
	s_or_b64 exec, exec, s[22:23]
	v_readfirstlane_b32 s15, v2
	s_cmp_eq_u32 s15, 0
	s_cbranch_scc1 .LBB3_520
; %bb.519:                              ;   in Loop: Header=BB3_521 Depth=2
	s_sleep 1
	s_cbranch_execnz .LBB3_521
	s_branch .LBB3_523
.LBB3_520:                              ;   in Loop: Header=BB3_446 Depth=1
	s_branch .LBB3_523
.LBB3_521:                              ;   Parent Loop BB3_446 Depth=1
                                        ; =>  This Inner Loop Header: Depth=2
	v_mov_b32_e32 v2, 1
	s_and_saveexec_b64 s[22:23], s[4:5]
	s_cbranch_execz .LBB3_518
; %bb.522:                              ;   in Loop: Header=BB3_521 Depth=2
	global_load_dword v2, v[31:32], off offset:20 glc
	s_waitcnt vmcnt(0)
	buffer_wbinvl1_vol
	v_and_b32_e32 v2, 1, v2
	s_branch .LBB3_518
.LBB3_523:                              ;   in Loop: Header=BB3_446 Depth=1
	global_load_dwordx4 v[0:3], v[0:1], off
	s_and_saveexec_b64 s[22:23], s[4:5]
	s_cbranch_execz .LBB3_445
; %bb.524:                              ;   in Loop: Header=BB3_446 Depth=1
	global_load_dwordx2 v[2:3], v7, s[36:37] offset:40
	global_load_dwordx2 v[11:12], v7, s[36:37] offset:24 glc
	global_load_dwordx2 v[18:19], v7, s[36:37]
	v_mov_b32_e32 v6, s21
	s_waitcnt vmcnt(2)
	v_add_co_u32_e32 v17, vcc, 1, v2
	v_addc_co_u32_e32 v20, vcc, 0, v3, vcc
	v_add_co_u32_e32 v15, vcc, s20, v17
	v_addc_co_u32_e32 v16, vcc, v20, v6, vcc
	v_cmp_eq_u64_e32 vcc, 0, v[15:16]
	v_cndmask_b32_e32 v16, v16, v20, vcc
	v_cndmask_b32_e32 v15, v15, v17, vcc
	v_and_b32_e32 v3, v16, v3
	v_and_b32_e32 v2, v15, v2
	v_mul_lo_u32 v3, v3, 24
	v_mul_hi_u32 v6, v2, 24
	v_mul_lo_u32 v2, v2, 24
	s_waitcnt vmcnt(1)
	v_mov_b32_e32 v17, v11
	v_add_u32_e32 v3, v6, v3
	s_waitcnt vmcnt(0)
	v_add_co_u32_e32 v2, vcc, v18, v2
	v_addc_co_u32_e32 v3, vcc, v19, v3, vcc
	global_store_dwordx2 v[2:3], v[11:12], off
	v_mov_b32_e32 v18, v12
	s_waitcnt vmcnt(0)
	global_atomic_cmpswap_x2 v[17:18], v7, v[15:18], s[36:37] offset:24 glc
	s_waitcnt vmcnt(0)
	v_cmp_ne_u64_e32 vcc, v[17:18], v[11:12]
	s_and_b64 exec, exec, vcc
	s_cbranch_execz .LBB3_445
; %bb.525:                              ;   in Loop: Header=BB3_446 Depth=1
	s_mov_b64 s[4:5], 0
.LBB3_526:                              ;   Parent Loop BB3_446 Depth=1
                                        ; =>  This Inner Loop Header: Depth=2
	s_sleep 1
	global_store_dwordx2 v[2:3], v[17:18], off
	s_waitcnt vmcnt(0)
	global_atomic_cmpswap_x2 v[11:12], v7, v[15:18], s[36:37] offset:24 glc
	s_waitcnt vmcnt(0)
	v_cmp_eq_u64_e32 vcc, v[11:12], v[17:18]
	v_mov_b32_e32 v18, v12
	s_or_b64 s[4:5], vcc, s[4:5]
	v_mov_b32_e32 v17, v11
	s_andn2_b64 exec, exec, s[4:5]
	s_cbranch_execnz .LBB3_526
	s_branch .LBB3_445
.LBB3_527:
	s_branch .LBB3_555
.LBB3_528:
                                        ; implicit-def: $vgpr0_vgpr1
	s_cbranch_execz .LBB3_555
; %bb.529:
	v_readfirstlane_b32 s4, v51
	v_mov_b32_e32 v6, 0
	v_mov_b32_e32 v7, 0
	v_cmp_eq_u32_e64 s[4:5], s4, v51
	s_and_saveexec_b64 s[10:11], s[4:5]
	s_cbranch_execz .LBB3_535
; %bb.530:
	s_waitcnt vmcnt(0)
	v_mov_b32_e32 v0, 0
	global_load_dwordx2 v[13:14], v0, s[36:37] offset:24 glc
	s_waitcnt vmcnt(0)
	buffer_wbinvl1_vol
	global_load_dwordx2 v[1:2], v0, s[36:37] offset:40
	global_load_dwordx2 v[6:7], v0, s[36:37]
	s_waitcnt vmcnt(1)
	v_and_b32_e32 v1, v1, v13
	v_and_b32_e32 v2, v2, v14
	v_mul_lo_u32 v2, v2, 24
	v_mul_hi_u32 v3, v1, 24
	v_mul_lo_u32 v1, v1, 24
	v_add_u32_e32 v2, v3, v2
	s_waitcnt vmcnt(0)
	v_add_co_u32_e32 v1, vcc, v6, v1
	v_addc_co_u32_e32 v2, vcc, v7, v2, vcc
	global_load_dwordx2 v[11:12], v[1:2], off glc
	s_waitcnt vmcnt(0)
	global_atomic_cmpswap_x2 v[6:7], v0, v[11:14], s[36:37] offset:24 glc
	s_waitcnt vmcnt(0)
	buffer_wbinvl1_vol
	v_cmp_ne_u64_e32 vcc, v[6:7], v[13:14]
	s_and_saveexec_b64 s[16:17], vcc
	s_cbranch_execz .LBB3_534
; %bb.531:
	s_mov_b64 s[18:19], 0
.LBB3_532:                              ; =>This Inner Loop Header: Depth=1
	s_sleep 1
	global_load_dwordx2 v[1:2], v0, s[36:37] offset:40
	global_load_dwordx2 v[11:12], v0, s[36:37]
	v_mov_b32_e32 v14, v7
	v_mov_b32_e32 v13, v6
	s_waitcnt vmcnt(1)
	v_and_b32_e32 v1, v1, v13
	s_waitcnt vmcnt(0)
	v_mad_u64_u32 v[6:7], s[20:21], v1, 24, v[11:12]
	v_and_b32_e32 v2, v2, v14
	v_mov_b32_e32 v1, v7
	v_mad_u64_u32 v[1:2], s[20:21], v2, 24, v[1:2]
	v_mov_b32_e32 v7, v1
	global_load_dwordx2 v[11:12], v[6:7], off glc
	s_waitcnt vmcnt(0)
	global_atomic_cmpswap_x2 v[6:7], v0, v[11:14], s[36:37] offset:24 glc
	s_waitcnt vmcnt(0)
	buffer_wbinvl1_vol
	v_cmp_eq_u64_e32 vcc, v[6:7], v[13:14]
	s_or_b64 s[18:19], vcc, s[18:19]
	s_andn2_b64 exec, exec, s[18:19]
	s_cbranch_execnz .LBB3_532
; %bb.533:
	s_or_b64 exec, exec, s[18:19]
.LBB3_534:
	s_or_b64 exec, exec, s[16:17]
.LBB3_535:
	s_or_b64 exec, exec, s[10:11]
	v_mov_b32_e32 v11, 0
	global_load_dwordx2 v[12:13], v11, s[36:37] offset:40
	global_load_dwordx4 v[0:3], v11, s[36:37]
	v_readfirstlane_b32 s10, v6
	v_readfirstlane_b32 s11, v7
	s_mov_b64 s[16:17], exec
	s_waitcnt vmcnt(1)
	v_readfirstlane_b32 s18, v12
	v_readfirstlane_b32 s19, v13
	s_and_b64 s[18:19], s[10:11], s[18:19]
	s_mul_i32 s15, s19, 24
	s_mul_hi_u32 s20, s18, 24
	s_mul_i32 s21, s18, 24
	s_add_i32 s15, s20, s15
	v_mov_b32_e32 v7, s15
	s_waitcnt vmcnt(0)
	v_add_co_u32_e32 v6, vcc, s21, v0
	v_addc_co_u32_e32 v7, vcc, v1, v7, vcc
	s_and_saveexec_b64 s[20:21], s[4:5]
	s_cbranch_execz .LBB3_537
; %bb.536:
	v_mov_b32_e32 v12, s16
	v_mov_b32_e32 v13, s17
	;; [unrolled: 1-line block ×4, first 2 shown]
	global_store_dwordx4 v[6:7], v[12:15], off offset:8
.LBB3_537:
	s_or_b64 exec, exec, s[20:21]
	s_lshl_b64 s[16:17], s[18:19], 12
	v_mov_b32_e32 v12, s17
	v_add_co_u32_e32 v2, vcc, s16, v2
	v_addc_co_u32_e32 v3, vcc, v3, v12, vcc
	s_movk_i32 s15, 0xff1f
	v_and_or_b32 v9, v9, s15, 32
	s_mov_b32 s16, 0
	v_mov_b32_e32 v12, v11
	v_readfirstlane_b32 s20, v2
	v_readfirstlane_b32 s21, v3
	v_add_co_u32_e32 v13, vcc, v2, v50
	s_mov_b32 s17, s16
	s_mov_b32 s18, s16
	;; [unrolled: 1-line block ×3, first 2 shown]
	s_nop 0
	global_store_dwordx4 v50, v[9:12], s[20:21]
	v_addc_co_u32_e32 v14, vcc, 0, v3, vcc
	v_mov_b32_e32 v9, s16
	v_mov_b32_e32 v10, s17
	v_mov_b32_e32 v11, s18
	v_mov_b32_e32 v12, s19
	global_store_dwordx4 v50, v[9:12], s[20:21] offset:16
	global_store_dwordx4 v50, v[9:12], s[20:21] offset:32
	;; [unrolled: 1-line block ×3, first 2 shown]
	s_and_saveexec_b64 s[16:17], s[4:5]
	s_cbranch_execz .LBB3_545
; %bb.538:
	v_mov_b32_e32 v11, 0
	global_load_dwordx2 v[17:18], v11, s[36:37] offset:32 glc
	global_load_dwordx2 v[2:3], v11, s[36:37] offset:40
	v_mov_b32_e32 v15, s10
	v_mov_b32_e32 v16, s11
	s_waitcnt vmcnt(0)
	v_readfirstlane_b32 s18, v2
	v_readfirstlane_b32 s19, v3
	s_and_b64 s[18:19], s[18:19], s[10:11]
	s_mul_i32 s15, s19, 24
	s_mul_hi_u32 s19, s18, 24
	s_mul_i32 s18, s18, 24
	s_add_i32 s15, s19, s15
	v_mov_b32_e32 v2, s15
	v_add_co_u32_e32 v9, vcc, s18, v0
	v_addc_co_u32_e32 v10, vcc, v1, v2, vcc
	global_store_dwordx2 v[9:10], v[17:18], off
	s_waitcnt vmcnt(0)
	global_atomic_cmpswap_x2 v[2:3], v11, v[15:18], s[36:37] offset:32 glc
	s_waitcnt vmcnt(0)
	v_cmp_ne_u64_e32 vcc, v[2:3], v[17:18]
	s_and_saveexec_b64 s[18:19], vcc
	s_cbranch_execz .LBB3_541
; %bb.539:
	s_mov_b64 s[20:21], 0
.LBB3_540:                              ; =>This Inner Loop Header: Depth=1
	s_sleep 1
	global_store_dwordx2 v[9:10], v[2:3], off
	v_mov_b32_e32 v0, s10
	v_mov_b32_e32 v1, s11
	s_waitcnt vmcnt(0)
	global_atomic_cmpswap_x2 v[0:1], v11, v[0:3], s[36:37] offset:32 glc
	s_waitcnt vmcnt(0)
	v_cmp_eq_u64_e32 vcc, v[0:1], v[2:3]
	v_mov_b32_e32 v3, v1
	s_or_b64 s[20:21], vcc, s[20:21]
	v_mov_b32_e32 v2, v0
	s_andn2_b64 exec, exec, s[20:21]
	s_cbranch_execnz .LBB3_540
.LBB3_541:
	s_or_b64 exec, exec, s[18:19]
	v_mov_b32_e32 v3, 0
	global_load_dwordx2 v[0:1], v3, s[36:37] offset:16
	s_mov_b64 s[18:19], exec
	v_mbcnt_lo_u32_b32 v2, s18, 0
	v_mbcnt_hi_u32_b32 v2, s19, v2
	v_cmp_eq_u32_e32 vcc, 0, v2
	s_and_saveexec_b64 s[20:21], vcc
	s_cbranch_execz .LBB3_543
; %bb.542:
	s_bcnt1_i32_b64 s15, s[18:19]
	v_mov_b32_e32 v2, s15
	s_waitcnt vmcnt(0)
	global_atomic_add_x2 v[0:1], v[2:3], off offset:8
.LBB3_543:
	s_or_b64 exec, exec, s[20:21]
	s_waitcnt vmcnt(0)
	global_load_dwordx2 v[2:3], v[0:1], off offset:16
	s_waitcnt vmcnt(0)
	v_cmp_eq_u64_e32 vcc, 0, v[2:3]
	s_cbranch_vccnz .LBB3_545
; %bb.544:
	global_load_dword v0, v[0:1], off offset:24
	v_mov_b32_e32 v1, 0
	s_waitcnt vmcnt(0)
	global_store_dwordx2 v[2:3], v[0:1], off
	v_and_b32_e32 v0, 0xffffff, v0
	v_readfirstlane_b32 m0, v0
	s_sendmsg sendmsg(MSG_INTERRUPT)
.LBB3_545:
	s_or_b64 exec, exec, s[16:17]
	s_branch .LBB3_549
.LBB3_546:                              ;   in Loop: Header=BB3_549 Depth=1
	s_or_b64 exec, exec, s[16:17]
	v_readfirstlane_b32 s15, v0
	s_cmp_eq_u32 s15, 0
	s_cbranch_scc1 .LBB3_548
; %bb.547:                              ;   in Loop: Header=BB3_549 Depth=1
	s_sleep 1
	s_cbranch_execnz .LBB3_549
	s_branch .LBB3_551
.LBB3_548:
	s_branch .LBB3_551
.LBB3_549:                              ; =>This Inner Loop Header: Depth=1
	v_mov_b32_e32 v0, 1
	s_and_saveexec_b64 s[16:17], s[4:5]
	s_cbranch_execz .LBB3_546
; %bb.550:                              ;   in Loop: Header=BB3_549 Depth=1
	global_load_dword v0, v[6:7], off offset:20 glc
	s_waitcnt vmcnt(0)
	buffer_wbinvl1_vol
	v_and_b32_e32 v0, 1, v0
	s_branch .LBB3_546
.LBB3_551:
	global_load_dwordx2 v[0:1], v[13:14], off
	s_and_saveexec_b64 s[16:17], s[4:5]
	s_cbranch_execz .LBB3_554
; %bb.552:
	v_mov_b32_e32 v6, 0
	global_load_dwordx2 v[2:3], v6, s[36:37] offset:40
	global_load_dwordx2 v[13:14], v6, s[36:37] offset:24 glc
	global_load_dwordx2 v[15:16], v6, s[36:37]
	v_mov_b32_e32 v7, s11
	s_mov_b64 s[4:5], 0
	s_waitcnt vmcnt(2)
	v_add_co_u32_e32 v11, vcc, 1, v2
	v_addc_co_u32_e32 v12, vcc, 0, v3, vcc
	v_add_co_u32_e32 v9, vcc, s10, v11
	v_addc_co_u32_e32 v10, vcc, v12, v7, vcc
	v_cmp_eq_u64_e32 vcc, 0, v[9:10]
	v_cndmask_b32_e32 v10, v10, v12, vcc
	v_cndmask_b32_e32 v9, v9, v11, vcc
	v_and_b32_e32 v3, v10, v3
	v_and_b32_e32 v2, v9, v2
	v_mul_lo_u32 v3, v3, 24
	v_mul_hi_u32 v7, v2, 24
	v_mul_lo_u32 v2, v2, 24
	s_waitcnt vmcnt(1)
	v_mov_b32_e32 v11, v13
	v_mov_b32_e32 v12, v14
	v_add_u32_e32 v3, v7, v3
	s_waitcnt vmcnt(0)
	v_add_co_u32_e32 v2, vcc, v15, v2
	v_addc_co_u32_e32 v3, vcc, v16, v3, vcc
	global_store_dwordx2 v[2:3], v[13:14], off
	s_waitcnt vmcnt(0)
	global_atomic_cmpswap_x2 v[11:12], v6, v[9:12], s[36:37] offset:24 glc
	s_waitcnt vmcnt(0)
	v_cmp_ne_u64_e32 vcc, v[11:12], v[13:14]
	s_and_b64 exec, exec, vcc
	s_cbranch_execz .LBB3_554
.LBB3_553:                              ; =>This Inner Loop Header: Depth=1
	s_sleep 1
	global_store_dwordx2 v[2:3], v[11:12], off
	s_waitcnt vmcnt(0)
	global_atomic_cmpswap_x2 v[13:14], v6, v[9:12], s[36:37] offset:24 glc
	s_waitcnt vmcnt(0)
	v_cmp_eq_u64_e32 vcc, v[13:14], v[11:12]
	v_mov_b32_e32 v11, v13
	s_or_b64 s[4:5], vcc, s[4:5]
	v_mov_b32_e32 v12, v14
	s_andn2_b64 exec, exec, s[4:5]
	s_cbranch_execnz .LBB3_553
.LBB3_554:
	s_or_b64 exec, exec, s[16:17]
.LBB3_555:
	s_getpc_b64 s[10:11]
	s_add_u32 s10, s10, .str.1@rel32@lo+4
	s_addc_u32 s11, s11, .str.1@rel32@hi+12
	s_cmp_lg_u64 s[10:11], 0
	s_cbranch_scc0 .LBB3_640
; %bb.556:
	s_waitcnt vmcnt(0)
	v_and_b32_e32 v13, -3, v0
	v_mov_b32_e32 v14, v1
	s_mov_b64 s[16:17], 0x4f
	v_mov_b32_e32 v3, 0
	v_mov_b32_e32 v11, 2
	;; [unrolled: 1-line block ×3, first 2 shown]
	s_branch .LBB3_558
.LBB3_557:                              ;   in Loop: Header=BB3_558 Depth=1
	s_or_b64 exec, exec, s[22:23]
	s_sub_u32 s16, s16, s18
	s_subb_u32 s17, s17, s19
	s_add_u32 s10, s10, s18
	s_addc_u32 s11, s11, s19
	s_cmp_lg_u64 s[16:17], 0
	s_cbranch_scc0 .LBB3_639
.LBB3_558:                              ; =>This Loop Header: Depth=1
                                        ;     Child Loop BB3_561 Depth 2
                                        ;     Child Loop BB3_568 Depth 2
	;; [unrolled: 1-line block ×11, first 2 shown]
	v_cmp_lt_u64_e64 s[4:5], s[16:17], 56
	v_cmp_gt_u64_e64 s[20:21], s[16:17], 7
	s_and_b64 s[4:5], s[4:5], exec
	s_cselect_b32 s19, s17, 0
	s_cselect_b32 s18, s16, 56
	s_and_b64 vcc, exec, s[20:21]
	s_cbranch_vccnz .LBB3_563
; %bb.559:                              ;   in Loop: Header=BB3_558 Depth=1
	s_waitcnt vmcnt(0)
	v_mov_b32_e32 v15, 0
	s_cmp_eq_u64 s[16:17], 0
	v_mov_b32_e32 v16, 0
	s_mov_b64 s[4:5], 0
	s_cbranch_scc1 .LBB3_562
; %bb.560:                              ;   in Loop: Header=BB3_558 Depth=1
	v_mov_b32_e32 v15, 0
	s_lshl_b64 s[20:21], s[18:19], 3
	s_mov_b64 s[22:23], 0
	v_mov_b32_e32 v16, 0
	s_mov_b64 s[24:25], s[10:11]
.LBB3_561:                              ;   Parent Loop BB3_558 Depth=1
                                        ; =>  This Inner Loop Header: Depth=2
	global_load_ubyte v2, v3, s[24:25]
	s_waitcnt vmcnt(0)
	v_and_b32_e32 v2, 0xffff, v2
	v_lshlrev_b64 v[6:7], s22, v[2:3]
	s_add_u32 s22, s22, 8
	s_addc_u32 s23, s23, 0
	s_add_u32 s24, s24, 1
	s_addc_u32 s25, s25, 0
	v_or_b32_e32 v15, v6, v15
	s_cmp_lg_u32 s20, s22
	v_or_b32_e32 v16, v7, v16
	s_cbranch_scc1 .LBB3_561
.LBB3_562:                              ;   in Loop: Header=BB3_558 Depth=1
	s_mov_b32 s15, 0
	s_andn2_b64 vcc, exec, s[4:5]
	s_mov_b64 s[4:5], s[10:11]
	s_cbranch_vccz .LBB3_564
	s_branch .LBB3_565
.LBB3_563:                              ;   in Loop: Header=BB3_558 Depth=1
                                        ; implicit-def: $sgpr15
	s_mov_b64 s[4:5], s[10:11]
.LBB3_564:                              ;   in Loop: Header=BB3_558 Depth=1
	global_load_dwordx2 v[15:16], v3, s[10:11]
	s_add_i32 s15, s18, -8
	s_add_u32 s4, s10, 8
	s_addc_u32 s5, s11, 0
.LBB3_565:                              ;   in Loop: Header=BB3_558 Depth=1
	s_cmp_gt_u32 s15, 7
	s_cbranch_scc1 .LBB3_569
; %bb.566:                              ;   in Loop: Header=BB3_558 Depth=1
	s_cmp_eq_u32 s15, 0
	s_cbranch_scc1 .LBB3_570
; %bb.567:                              ;   in Loop: Header=BB3_558 Depth=1
	v_mov_b32_e32 v17, 0
	s_mov_b64 s[20:21], 0
	v_mov_b32_e32 v18, 0
	s_mov_b64 s[22:23], 0
.LBB3_568:                              ;   Parent Loop BB3_558 Depth=1
                                        ; =>  This Inner Loop Header: Depth=2
	s_add_u32 s24, s4, s22
	s_addc_u32 s25, s5, s23
	global_load_ubyte v2, v3, s[24:25]
	s_add_u32 s22, s22, 1
	s_addc_u32 s23, s23, 0
	s_waitcnt vmcnt(0)
	v_and_b32_e32 v2, 0xffff, v2
	v_lshlrev_b64 v[6:7], s20, v[2:3]
	s_add_u32 s20, s20, 8
	s_addc_u32 s21, s21, 0
	v_or_b32_e32 v17, v6, v17
	s_cmp_lg_u32 s15, s22
	v_or_b32_e32 v18, v7, v18
	s_cbranch_scc1 .LBB3_568
	s_branch .LBB3_571
.LBB3_569:                              ;   in Loop: Header=BB3_558 Depth=1
                                        ; implicit-def: $vgpr17_vgpr18
                                        ; implicit-def: $sgpr24
	s_branch .LBB3_572
.LBB3_570:                              ;   in Loop: Header=BB3_558 Depth=1
	v_mov_b32_e32 v17, 0
	v_mov_b32_e32 v18, 0
.LBB3_571:                              ;   in Loop: Header=BB3_558 Depth=1
	s_mov_b32 s24, 0
	s_cbranch_execnz .LBB3_573
.LBB3_572:                              ;   in Loop: Header=BB3_558 Depth=1
	global_load_dwordx2 v[17:18], v3, s[4:5]
	s_add_i32 s24, s15, -8
	s_add_u32 s4, s4, 8
	s_addc_u32 s5, s5, 0
.LBB3_573:                              ;   in Loop: Header=BB3_558 Depth=1
	s_cmp_gt_u32 s24, 7
	s_cbranch_scc1 .LBB3_577
; %bb.574:                              ;   in Loop: Header=BB3_558 Depth=1
	s_cmp_eq_u32 s24, 0
	s_cbranch_scc1 .LBB3_578
; %bb.575:                              ;   in Loop: Header=BB3_558 Depth=1
	v_mov_b32_e32 v19, 0
	s_mov_b64 s[20:21], 0
	v_mov_b32_e32 v20, 0
	s_mov_b64 s[22:23], 0
.LBB3_576:                              ;   Parent Loop BB3_558 Depth=1
                                        ; =>  This Inner Loop Header: Depth=2
	s_add_u32 s26, s4, s22
	s_addc_u32 s27, s5, s23
	global_load_ubyte v2, v3, s[26:27]
	s_add_u32 s22, s22, 1
	s_addc_u32 s23, s23, 0
	s_waitcnt vmcnt(0)
	v_and_b32_e32 v2, 0xffff, v2
	v_lshlrev_b64 v[6:7], s20, v[2:3]
	s_add_u32 s20, s20, 8
	s_addc_u32 s21, s21, 0
	v_or_b32_e32 v19, v6, v19
	s_cmp_lg_u32 s24, s22
	v_or_b32_e32 v20, v7, v20
	s_cbranch_scc1 .LBB3_576
	s_branch .LBB3_579
.LBB3_577:                              ;   in Loop: Header=BB3_558 Depth=1
                                        ; implicit-def: $sgpr15
	s_branch .LBB3_580
.LBB3_578:                              ;   in Loop: Header=BB3_558 Depth=1
	v_mov_b32_e32 v19, 0
	v_mov_b32_e32 v20, 0
.LBB3_579:                              ;   in Loop: Header=BB3_558 Depth=1
	s_mov_b32 s15, 0
	s_cbranch_execnz .LBB3_581
.LBB3_580:                              ;   in Loop: Header=BB3_558 Depth=1
	global_load_dwordx2 v[19:20], v3, s[4:5]
	s_add_i32 s15, s24, -8
	s_add_u32 s4, s4, 8
	s_addc_u32 s5, s5, 0
.LBB3_581:                              ;   in Loop: Header=BB3_558 Depth=1
	s_cmp_gt_u32 s15, 7
	s_cbranch_scc1 .LBB3_585
; %bb.582:                              ;   in Loop: Header=BB3_558 Depth=1
	s_cmp_eq_u32 s15, 0
	s_cbranch_scc1 .LBB3_586
; %bb.583:                              ;   in Loop: Header=BB3_558 Depth=1
	v_mov_b32_e32 v21, 0
	s_mov_b64 s[20:21], 0
	v_mov_b32_e32 v22, 0
	s_mov_b64 s[22:23], 0
.LBB3_584:                              ;   Parent Loop BB3_558 Depth=1
                                        ; =>  This Inner Loop Header: Depth=2
	s_add_u32 s24, s4, s22
	s_addc_u32 s25, s5, s23
	global_load_ubyte v2, v3, s[24:25]
	s_add_u32 s22, s22, 1
	s_addc_u32 s23, s23, 0
	s_waitcnt vmcnt(0)
	v_and_b32_e32 v2, 0xffff, v2
	v_lshlrev_b64 v[6:7], s20, v[2:3]
	s_add_u32 s20, s20, 8
	s_addc_u32 s21, s21, 0
	v_or_b32_e32 v21, v6, v21
	s_cmp_lg_u32 s15, s22
	v_or_b32_e32 v22, v7, v22
	s_cbranch_scc1 .LBB3_584
	s_branch .LBB3_587
.LBB3_585:                              ;   in Loop: Header=BB3_558 Depth=1
                                        ; implicit-def: $vgpr21_vgpr22
                                        ; implicit-def: $sgpr24
	s_branch .LBB3_588
.LBB3_586:                              ;   in Loop: Header=BB3_558 Depth=1
	v_mov_b32_e32 v21, 0
	v_mov_b32_e32 v22, 0
.LBB3_587:                              ;   in Loop: Header=BB3_558 Depth=1
	s_mov_b32 s24, 0
	s_cbranch_execnz .LBB3_589
.LBB3_588:                              ;   in Loop: Header=BB3_558 Depth=1
	global_load_dwordx2 v[21:22], v3, s[4:5]
	s_add_i32 s24, s15, -8
	s_add_u32 s4, s4, 8
	s_addc_u32 s5, s5, 0
.LBB3_589:                              ;   in Loop: Header=BB3_558 Depth=1
	s_cmp_gt_u32 s24, 7
	s_cbranch_scc1 .LBB3_593
; %bb.590:                              ;   in Loop: Header=BB3_558 Depth=1
	s_cmp_eq_u32 s24, 0
	s_cbranch_scc1 .LBB3_594
; %bb.591:                              ;   in Loop: Header=BB3_558 Depth=1
	v_mov_b32_e32 v23, 0
	s_mov_b64 s[20:21], 0
	v_mov_b32_e32 v24, 0
	s_mov_b64 s[22:23], 0
.LBB3_592:                              ;   Parent Loop BB3_558 Depth=1
                                        ; =>  This Inner Loop Header: Depth=2
	s_add_u32 s26, s4, s22
	s_addc_u32 s27, s5, s23
	global_load_ubyte v2, v3, s[26:27]
	s_add_u32 s22, s22, 1
	s_addc_u32 s23, s23, 0
	s_waitcnt vmcnt(0)
	v_and_b32_e32 v2, 0xffff, v2
	v_lshlrev_b64 v[6:7], s20, v[2:3]
	s_add_u32 s20, s20, 8
	s_addc_u32 s21, s21, 0
	v_or_b32_e32 v23, v6, v23
	s_cmp_lg_u32 s24, s22
	v_or_b32_e32 v24, v7, v24
	s_cbranch_scc1 .LBB3_592
	s_branch .LBB3_595
.LBB3_593:                              ;   in Loop: Header=BB3_558 Depth=1
                                        ; implicit-def: $sgpr15
	s_branch .LBB3_596
.LBB3_594:                              ;   in Loop: Header=BB3_558 Depth=1
	v_mov_b32_e32 v23, 0
	v_mov_b32_e32 v24, 0
.LBB3_595:                              ;   in Loop: Header=BB3_558 Depth=1
	s_mov_b32 s15, 0
	s_cbranch_execnz .LBB3_597
.LBB3_596:                              ;   in Loop: Header=BB3_558 Depth=1
	global_load_dwordx2 v[23:24], v3, s[4:5]
	s_add_i32 s15, s24, -8
	s_add_u32 s4, s4, 8
	s_addc_u32 s5, s5, 0
.LBB3_597:                              ;   in Loop: Header=BB3_558 Depth=1
	s_cmp_gt_u32 s15, 7
	s_cbranch_scc1 .LBB3_601
; %bb.598:                              ;   in Loop: Header=BB3_558 Depth=1
	s_cmp_eq_u32 s15, 0
	s_cbranch_scc1 .LBB3_602
; %bb.599:                              ;   in Loop: Header=BB3_558 Depth=1
	v_mov_b32_e32 v25, 0
	s_mov_b64 s[20:21], 0
	v_mov_b32_e32 v26, 0
	s_mov_b64 s[22:23], 0
.LBB3_600:                              ;   Parent Loop BB3_558 Depth=1
                                        ; =>  This Inner Loop Header: Depth=2
	s_add_u32 s24, s4, s22
	s_addc_u32 s25, s5, s23
	global_load_ubyte v2, v3, s[24:25]
	s_add_u32 s22, s22, 1
	s_addc_u32 s23, s23, 0
	s_waitcnt vmcnt(0)
	v_and_b32_e32 v2, 0xffff, v2
	v_lshlrev_b64 v[6:7], s20, v[2:3]
	s_add_u32 s20, s20, 8
	s_addc_u32 s21, s21, 0
	v_or_b32_e32 v25, v6, v25
	s_cmp_lg_u32 s15, s22
	v_or_b32_e32 v26, v7, v26
	s_cbranch_scc1 .LBB3_600
	s_branch .LBB3_603
.LBB3_601:                              ;   in Loop: Header=BB3_558 Depth=1
                                        ; implicit-def: $vgpr25_vgpr26
                                        ; implicit-def: $sgpr24
	s_branch .LBB3_604
.LBB3_602:                              ;   in Loop: Header=BB3_558 Depth=1
	v_mov_b32_e32 v25, 0
	v_mov_b32_e32 v26, 0
.LBB3_603:                              ;   in Loop: Header=BB3_558 Depth=1
	s_mov_b32 s24, 0
	s_cbranch_execnz .LBB3_605
.LBB3_604:                              ;   in Loop: Header=BB3_558 Depth=1
	global_load_dwordx2 v[25:26], v3, s[4:5]
	s_add_i32 s24, s15, -8
	s_add_u32 s4, s4, 8
	s_addc_u32 s5, s5, 0
.LBB3_605:                              ;   in Loop: Header=BB3_558 Depth=1
	s_cmp_gt_u32 s24, 7
	s_cbranch_scc1 .LBB3_609
; %bb.606:                              ;   in Loop: Header=BB3_558 Depth=1
	s_cmp_eq_u32 s24, 0
	s_cbranch_scc1 .LBB3_610
; %bb.607:                              ;   in Loop: Header=BB3_558 Depth=1
	v_mov_b32_e32 v27, 0
	s_mov_b64 s[20:21], 0
	v_mov_b32_e32 v28, 0
	s_mov_b64 s[22:23], s[4:5]
.LBB3_608:                              ;   Parent Loop BB3_558 Depth=1
                                        ; =>  This Inner Loop Header: Depth=2
	global_load_ubyte v2, v3, s[22:23]
	s_add_i32 s24, s24, -1
	s_waitcnt vmcnt(0)
	v_and_b32_e32 v2, 0xffff, v2
	v_lshlrev_b64 v[6:7], s20, v[2:3]
	s_add_u32 s20, s20, 8
	s_addc_u32 s21, s21, 0
	s_add_u32 s22, s22, 1
	s_addc_u32 s23, s23, 0
	v_or_b32_e32 v27, v6, v27
	s_cmp_lg_u32 s24, 0
	v_or_b32_e32 v28, v7, v28
	s_cbranch_scc1 .LBB3_608
	s_branch .LBB3_611
.LBB3_609:                              ;   in Loop: Header=BB3_558 Depth=1
	s_branch .LBB3_612
.LBB3_610:                              ;   in Loop: Header=BB3_558 Depth=1
	v_mov_b32_e32 v27, 0
	v_mov_b32_e32 v28, 0
.LBB3_611:                              ;   in Loop: Header=BB3_558 Depth=1
	s_cbranch_execnz .LBB3_613
.LBB3_612:                              ;   in Loop: Header=BB3_558 Depth=1
	global_load_dwordx2 v[27:28], v3, s[4:5]
.LBB3_613:                              ;   in Loop: Header=BB3_558 Depth=1
	v_readfirstlane_b32 s4, v51
	v_mov_b32_e32 v6, 0
	v_mov_b32_e32 v7, 0
	v_cmp_eq_u32_e64 s[4:5], s4, v51
	s_and_saveexec_b64 s[20:21], s[4:5]
	s_cbranch_execz .LBB3_619
; %bb.614:                              ;   in Loop: Header=BB3_558 Depth=1
	global_load_dwordx2 v[31:32], v3, s[36:37] offset:24 glc
	s_waitcnt vmcnt(0)
	buffer_wbinvl1_vol
	global_load_dwordx2 v[6:7], v3, s[36:37] offset:40
	global_load_dwordx2 v[9:10], v3, s[36:37]
	s_waitcnt vmcnt(1)
	v_and_b32_e32 v2, v6, v31
	v_and_b32_e32 v6, v7, v32
	v_mul_lo_u32 v6, v6, 24
	v_mul_hi_u32 v7, v2, 24
	v_mul_lo_u32 v2, v2, 24
	v_add_u32_e32 v7, v7, v6
	s_waitcnt vmcnt(0)
	v_add_co_u32_e32 v6, vcc, v9, v2
	v_addc_co_u32_e32 v7, vcc, v10, v7, vcc
	global_load_dwordx2 v[29:30], v[6:7], off glc
	s_waitcnt vmcnt(0)
	global_atomic_cmpswap_x2 v[6:7], v3, v[29:32], s[36:37] offset:24 glc
	s_waitcnt vmcnt(0)
	buffer_wbinvl1_vol
	v_cmp_ne_u64_e32 vcc, v[6:7], v[31:32]
	s_and_saveexec_b64 s[22:23], vcc
	s_cbranch_execz .LBB3_618
; %bb.615:                              ;   in Loop: Header=BB3_558 Depth=1
	s_mov_b64 s[24:25], 0
.LBB3_616:                              ;   Parent Loop BB3_558 Depth=1
                                        ; =>  This Inner Loop Header: Depth=2
	s_sleep 1
	global_load_dwordx2 v[9:10], v3, s[36:37] offset:40
	global_load_dwordx2 v[29:30], v3, s[36:37]
	v_mov_b32_e32 v32, v7
	v_mov_b32_e32 v31, v6
	s_waitcnt vmcnt(1)
	v_and_b32_e32 v2, v9, v31
	s_waitcnt vmcnt(0)
	v_mad_u64_u32 v[6:7], s[26:27], v2, 24, v[29:30]
	v_and_b32_e32 v9, v10, v32
	v_mov_b32_e32 v2, v7
	v_mad_u64_u32 v[9:10], s[26:27], v9, 24, v[2:3]
	v_mov_b32_e32 v7, v9
	global_load_dwordx2 v[29:30], v[6:7], off glc
	s_waitcnt vmcnt(0)
	global_atomic_cmpswap_x2 v[6:7], v3, v[29:32], s[36:37] offset:24 glc
	s_waitcnt vmcnt(0)
	buffer_wbinvl1_vol
	v_cmp_eq_u64_e32 vcc, v[6:7], v[31:32]
	s_or_b64 s[24:25], vcc, s[24:25]
	s_andn2_b64 exec, exec, s[24:25]
	s_cbranch_execnz .LBB3_616
; %bb.617:                              ;   in Loop: Header=BB3_558 Depth=1
	s_or_b64 exec, exec, s[24:25]
.LBB3_618:                              ;   in Loop: Header=BB3_558 Depth=1
	s_or_b64 exec, exec, s[22:23]
.LBB3_619:                              ;   in Loop: Header=BB3_558 Depth=1
	s_or_b64 exec, exec, s[20:21]
	global_load_dwordx2 v[9:10], v3, s[36:37] offset:40
	global_load_dwordx4 v[29:32], v3, s[36:37]
	v_readfirstlane_b32 s20, v6
	v_readfirstlane_b32 s21, v7
	s_mov_b64 s[22:23], exec
	s_waitcnt vmcnt(1)
	v_readfirstlane_b32 s24, v9
	v_readfirstlane_b32 s25, v10
	s_and_b64 s[24:25], s[20:21], s[24:25]
	s_mul_i32 s15, s25, 24
	s_mul_hi_u32 s26, s24, 24
	s_mul_i32 s27, s24, 24
	s_add_i32 s15, s26, s15
	v_mov_b32_e32 v2, s15
	s_waitcnt vmcnt(0)
	v_add_co_u32_e32 v6, vcc, s27, v29
	v_addc_co_u32_e32 v7, vcc, v30, v2, vcc
	s_and_saveexec_b64 s[26:27], s[4:5]
	s_cbranch_execz .LBB3_621
; %bb.620:                              ;   in Loop: Header=BB3_558 Depth=1
	v_mov_b32_e32 v9, s22
	v_mov_b32_e32 v10, s23
	global_store_dwordx4 v[6:7], v[9:12], off offset:8
.LBB3_621:                              ;   in Loop: Header=BB3_558 Depth=1
	s_or_b64 exec, exec, s[26:27]
	s_lshl_b64 s[22:23], s[24:25], 12
	v_mov_b32_e32 v2, s23
	v_add_co_u32_e32 v31, vcc, s22, v31
	v_addc_co_u32_e32 v32, vcc, v32, v2, vcc
	v_cmp_gt_u64_e64 vcc, s[16:17], 56
	v_or_b32_e32 v2, 2, v13
	s_lshl_b32 s15, s18, 2
	v_cndmask_b32_e32 v2, v2, v13, vcc
	s_add_i32 s15, s15, 28
	s_and_b32 s15, s15, 0x1e0
	v_and_b32_e32 v2, 0xffffff1f, v2
	v_or_b32_e32 v13, s15, v2
	v_readfirstlane_b32 s22, v31
	v_readfirstlane_b32 s23, v32
	s_nop 4
	global_store_dwordx4 v50, v[13:16], s[22:23]
	global_store_dwordx4 v50, v[17:20], s[22:23] offset:16
	global_store_dwordx4 v50, v[21:24], s[22:23] offset:32
	;; [unrolled: 1-line block ×3, first 2 shown]
	s_and_saveexec_b64 s[22:23], s[4:5]
	s_cbranch_execz .LBB3_629
; %bb.622:                              ;   in Loop: Header=BB3_558 Depth=1
	global_load_dwordx2 v[17:18], v3, s[36:37] offset:32 glc
	global_load_dwordx2 v[9:10], v3, s[36:37] offset:40
	v_mov_b32_e32 v15, s20
	v_mov_b32_e32 v16, s21
	s_waitcnt vmcnt(0)
	v_readfirstlane_b32 s24, v9
	v_readfirstlane_b32 s25, v10
	s_and_b64 s[24:25], s[24:25], s[20:21]
	s_mul_i32 s15, s25, 24
	s_mul_hi_u32 s25, s24, 24
	s_mul_i32 s24, s24, 24
	s_add_i32 s15, s25, s15
	v_mov_b32_e32 v2, s15
	v_add_co_u32_e32 v9, vcc, s24, v29
	v_addc_co_u32_e32 v10, vcc, v30, v2, vcc
	global_store_dwordx2 v[9:10], v[17:18], off
	s_waitcnt vmcnt(0)
	global_atomic_cmpswap_x2 v[15:16], v3, v[15:18], s[36:37] offset:32 glc
	s_waitcnt vmcnt(0)
	v_cmp_ne_u64_e32 vcc, v[15:16], v[17:18]
	s_and_saveexec_b64 s[24:25], vcc
	s_cbranch_execz .LBB3_625
; %bb.623:                              ;   in Loop: Header=BB3_558 Depth=1
	s_mov_b64 s[26:27], 0
.LBB3_624:                              ;   Parent Loop BB3_558 Depth=1
                                        ; =>  This Inner Loop Header: Depth=2
	s_sleep 1
	global_store_dwordx2 v[9:10], v[15:16], off
	v_mov_b32_e32 v13, s20
	v_mov_b32_e32 v14, s21
	s_waitcnt vmcnt(0)
	global_atomic_cmpswap_x2 v[13:14], v3, v[13:16], s[36:37] offset:32 glc
	s_waitcnt vmcnt(0)
	v_cmp_eq_u64_e32 vcc, v[13:14], v[15:16]
	v_mov_b32_e32 v16, v14
	s_or_b64 s[26:27], vcc, s[26:27]
	v_mov_b32_e32 v15, v13
	s_andn2_b64 exec, exec, s[26:27]
	s_cbranch_execnz .LBB3_624
.LBB3_625:                              ;   in Loop: Header=BB3_558 Depth=1
	s_or_b64 exec, exec, s[24:25]
	global_load_dwordx2 v[9:10], v3, s[36:37] offset:16
	s_mov_b64 s[26:27], exec
	v_mbcnt_lo_u32_b32 v2, s26, 0
	v_mbcnt_hi_u32_b32 v2, s27, v2
	v_cmp_eq_u32_e32 vcc, 0, v2
	s_and_saveexec_b64 s[24:25], vcc
	s_cbranch_execz .LBB3_627
; %bb.626:                              ;   in Loop: Header=BB3_558 Depth=1
	s_bcnt1_i32_b64 s15, s[26:27]
	v_mov_b32_e32 v2, s15
	s_waitcnt vmcnt(0)
	global_atomic_add_x2 v[9:10], v[2:3], off offset:8
.LBB3_627:                              ;   in Loop: Header=BB3_558 Depth=1
	s_or_b64 exec, exec, s[24:25]
	s_waitcnt vmcnt(0)
	global_load_dwordx2 v[13:14], v[9:10], off offset:16
	s_waitcnt vmcnt(0)
	v_cmp_eq_u64_e32 vcc, 0, v[13:14]
	s_cbranch_vccnz .LBB3_629
; %bb.628:                              ;   in Loop: Header=BB3_558 Depth=1
	global_load_dword v2, v[9:10], off offset:24
	s_waitcnt vmcnt(0)
	global_store_dwordx2 v[13:14], v[2:3], off
	v_and_b32_e32 v2, 0xffffff, v2
	v_readfirstlane_b32 m0, v2
	s_sendmsg sendmsg(MSG_INTERRUPT)
.LBB3_629:                              ;   in Loop: Header=BB3_558 Depth=1
	s_or_b64 exec, exec, s[22:23]
	v_add_co_u32_e32 v9, vcc, v31, v50
	v_addc_co_u32_e32 v10, vcc, 0, v32, vcc
	s_branch .LBB3_633
.LBB3_630:                              ;   in Loop: Header=BB3_633 Depth=2
	s_or_b64 exec, exec, s[22:23]
	v_readfirstlane_b32 s15, v2
	s_cmp_eq_u32 s15, 0
	s_cbranch_scc1 .LBB3_632
; %bb.631:                              ;   in Loop: Header=BB3_633 Depth=2
	s_sleep 1
	s_cbranch_execnz .LBB3_633
	s_branch .LBB3_635
.LBB3_632:                              ;   in Loop: Header=BB3_558 Depth=1
	s_branch .LBB3_635
.LBB3_633:                              ;   Parent Loop BB3_558 Depth=1
                                        ; =>  This Inner Loop Header: Depth=2
	v_mov_b32_e32 v2, 1
	s_and_saveexec_b64 s[22:23], s[4:5]
	s_cbranch_execz .LBB3_630
; %bb.634:                              ;   in Loop: Header=BB3_633 Depth=2
	global_load_dword v2, v[6:7], off offset:20 glc
	s_waitcnt vmcnt(0)
	buffer_wbinvl1_vol
	v_and_b32_e32 v2, 1, v2
	s_branch .LBB3_630
.LBB3_635:                              ;   in Loop: Header=BB3_558 Depth=1
	global_load_dwordx4 v[13:16], v[9:10], off
	s_and_saveexec_b64 s[22:23], s[4:5]
	s_cbranch_execz .LBB3_557
; %bb.636:                              ;   in Loop: Header=BB3_558 Depth=1
	global_load_dwordx2 v[6:7], v3, s[36:37] offset:40
	global_load_dwordx2 v[9:10], v3, s[36:37] offset:24 glc
	global_load_dwordx2 v[18:19], v3, s[36:37]
	v_mov_b32_e32 v2, s21
	s_waitcnt vmcnt(2)
	v_add_co_u32_e32 v17, vcc, 1, v6
	v_addc_co_u32_e32 v20, vcc, 0, v7, vcc
	v_add_co_u32_e32 v15, vcc, s20, v17
	v_addc_co_u32_e32 v16, vcc, v20, v2, vcc
	v_cmp_eq_u64_e32 vcc, 0, v[15:16]
	v_cndmask_b32_e32 v16, v16, v20, vcc
	v_cndmask_b32_e32 v15, v15, v17, vcc
	v_and_b32_e32 v2, v16, v7
	v_and_b32_e32 v6, v15, v6
	v_mul_lo_u32 v2, v2, 24
	v_mul_hi_u32 v7, v6, 24
	v_mul_lo_u32 v6, v6, 24
	s_waitcnt vmcnt(1)
	v_mov_b32_e32 v17, v9
	v_add_u32_e32 v2, v7, v2
	s_waitcnt vmcnt(0)
	v_add_co_u32_e32 v6, vcc, v18, v6
	v_addc_co_u32_e32 v7, vcc, v19, v2, vcc
	global_store_dwordx2 v[6:7], v[9:10], off
	v_mov_b32_e32 v18, v10
	s_waitcnt vmcnt(0)
	global_atomic_cmpswap_x2 v[17:18], v3, v[15:18], s[36:37] offset:24 glc
	s_waitcnt vmcnt(0)
	v_cmp_ne_u64_e32 vcc, v[17:18], v[9:10]
	s_and_b64 exec, exec, vcc
	s_cbranch_execz .LBB3_557
; %bb.637:                              ;   in Loop: Header=BB3_558 Depth=1
	s_mov_b64 s[4:5], 0
.LBB3_638:                              ;   Parent Loop BB3_558 Depth=1
                                        ; =>  This Inner Loop Header: Depth=2
	s_sleep 1
	global_store_dwordx2 v[6:7], v[17:18], off
	s_waitcnt vmcnt(0)
	global_atomic_cmpswap_x2 v[9:10], v3, v[15:18], s[36:37] offset:24 glc
	s_waitcnt vmcnt(0)
	v_cmp_eq_u64_e32 vcc, v[9:10], v[17:18]
	v_mov_b32_e32 v18, v10
	s_or_b64 s[4:5], vcc, s[4:5]
	v_mov_b32_e32 v17, v9
	s_andn2_b64 exec, exec, s[4:5]
	s_cbranch_execnz .LBB3_638
	s_branch .LBB3_557
.LBB3_639:
	s_branch .LBB3_667
.LBB3_640:
	s_cbranch_execz .LBB3_667
; %bb.641:
	v_readfirstlane_b32 s4, v51
	v_mov_b32_e32 v6, 0
	v_mov_b32_e32 v7, 0
	v_cmp_eq_u32_e64 s[4:5], s4, v51
	s_and_saveexec_b64 s[10:11], s[4:5]
	s_cbranch_execz .LBB3_647
; %bb.642:
	s_waitcnt vmcnt(0)
	v_mov_b32_e32 v2, 0
	global_load_dwordx2 v[11:12], v2, s[36:37] offset:24 glc
	s_waitcnt vmcnt(0)
	buffer_wbinvl1_vol
	global_load_dwordx2 v[6:7], v2, s[36:37] offset:40
	global_load_dwordx2 v[9:10], v2, s[36:37]
	s_waitcnt vmcnt(1)
	v_and_b32_e32 v3, v6, v11
	v_and_b32_e32 v6, v7, v12
	v_mul_lo_u32 v6, v6, 24
	v_mul_hi_u32 v7, v3, 24
	v_mul_lo_u32 v3, v3, 24
	v_add_u32_e32 v7, v7, v6
	s_waitcnt vmcnt(0)
	v_add_co_u32_e32 v6, vcc, v9, v3
	v_addc_co_u32_e32 v7, vcc, v10, v7, vcc
	global_load_dwordx2 v[9:10], v[6:7], off glc
	s_waitcnt vmcnt(0)
	global_atomic_cmpswap_x2 v[6:7], v2, v[9:12], s[36:37] offset:24 glc
	s_waitcnt vmcnt(0)
	buffer_wbinvl1_vol
	v_cmp_ne_u64_e32 vcc, v[6:7], v[11:12]
	s_and_saveexec_b64 s[16:17], vcc
	s_cbranch_execz .LBB3_646
; %bb.643:
	s_mov_b64 s[18:19], 0
.LBB3_644:                              ; =>This Inner Loop Header: Depth=1
	s_sleep 1
	global_load_dwordx2 v[9:10], v2, s[36:37] offset:40
	global_load_dwordx2 v[13:14], v2, s[36:37]
	v_mov_b32_e32 v12, v7
	v_mov_b32_e32 v11, v6
	s_waitcnt vmcnt(1)
	v_and_b32_e32 v3, v9, v11
	s_waitcnt vmcnt(0)
	v_mad_u64_u32 v[6:7], s[20:21], v3, 24, v[13:14]
	v_and_b32_e32 v9, v10, v12
	v_mov_b32_e32 v3, v7
	v_mad_u64_u32 v[9:10], s[20:21], v9, 24, v[3:4]
	v_mov_b32_e32 v7, v9
	global_load_dwordx2 v[9:10], v[6:7], off glc
	s_waitcnt vmcnt(0)
	global_atomic_cmpswap_x2 v[6:7], v2, v[9:12], s[36:37] offset:24 glc
	s_waitcnt vmcnt(0)
	buffer_wbinvl1_vol
	v_cmp_eq_u64_e32 vcc, v[6:7], v[11:12]
	s_or_b64 s[18:19], vcc, s[18:19]
	s_andn2_b64 exec, exec, s[18:19]
	s_cbranch_execnz .LBB3_644
; %bb.645:
	s_or_b64 exec, exec, s[18:19]
.LBB3_646:
	s_or_b64 exec, exec, s[16:17]
.LBB3_647:
	s_or_b64 exec, exec, s[10:11]
	s_waitcnt vmcnt(0)
	v_mov_b32_e32 v2, 0
	global_load_dwordx2 v[13:14], v2, s[36:37] offset:40
	global_load_dwordx4 v[9:12], v2, s[36:37]
	v_readfirstlane_b32 s10, v6
	v_readfirstlane_b32 s11, v7
	s_mov_b64 s[16:17], exec
	s_waitcnt vmcnt(1)
	v_readfirstlane_b32 s18, v13
	v_readfirstlane_b32 s19, v14
	s_and_b64 s[18:19], s[10:11], s[18:19]
	s_mul_i32 s15, s19, 24
	s_mul_hi_u32 s20, s18, 24
	s_mul_i32 s21, s18, 24
	s_add_i32 s15, s20, s15
	v_mov_b32_e32 v3, s15
	s_waitcnt vmcnt(0)
	v_add_co_u32_e32 v6, vcc, s21, v9
	v_addc_co_u32_e32 v7, vcc, v10, v3, vcc
	s_and_saveexec_b64 s[20:21], s[4:5]
	s_cbranch_execz .LBB3_649
; %bb.648:
	v_mov_b32_e32 v13, s16
	v_mov_b32_e32 v14, s17
	;; [unrolled: 1-line block ×4, first 2 shown]
	global_store_dwordx4 v[6:7], v[13:16], off offset:8
.LBB3_649:
	s_or_b64 exec, exec, s[20:21]
	s_lshl_b64 s[16:17], s[18:19], 12
	v_mov_b32_e32 v3, s17
	v_add_co_u32_e32 v11, vcc, s16, v11
	v_addc_co_u32_e32 v12, vcc, v12, v3, vcc
	s_movk_i32 s15, 0xff1d
	v_and_or_b32 v0, v0, s15, 34
	s_mov_b32 s16, 0
	v_mov_b32_e32 v3, v2
	v_readfirstlane_b32 s20, v11
	v_readfirstlane_b32 s21, v12
	s_mov_b32 s17, s16
	s_mov_b32 s18, s16
	;; [unrolled: 1-line block ×3, first 2 shown]
	s_nop 1
	global_store_dwordx4 v50, v[0:3], s[20:21]
	s_nop 0
	v_mov_b32_e32 v0, s16
	v_mov_b32_e32 v1, s17
	;; [unrolled: 1-line block ×4, first 2 shown]
	global_store_dwordx4 v50, v[0:3], s[20:21] offset:16
	global_store_dwordx4 v50, v[0:3], s[20:21] offset:32
	;; [unrolled: 1-line block ×3, first 2 shown]
	s_and_saveexec_b64 s[16:17], s[4:5]
	s_cbranch_execz .LBB3_657
; %bb.650:
	v_mov_b32_e32 v11, 0
	global_load_dwordx2 v[14:15], v11, s[36:37] offset:32 glc
	global_load_dwordx2 v[0:1], v11, s[36:37] offset:40
	v_mov_b32_e32 v12, s10
	v_mov_b32_e32 v13, s11
	s_waitcnt vmcnt(0)
	v_readfirstlane_b32 s18, v0
	v_readfirstlane_b32 s19, v1
	s_and_b64 s[18:19], s[18:19], s[10:11]
	s_mul_i32 s15, s19, 24
	s_mul_hi_u32 s19, s18, 24
	s_mul_i32 s18, s18, 24
	s_add_i32 s15, s19, s15
	v_mov_b32_e32 v0, s15
	v_add_co_u32_e32 v9, vcc, s18, v9
	v_addc_co_u32_e32 v10, vcc, v10, v0, vcc
	global_store_dwordx2 v[9:10], v[14:15], off
	s_waitcnt vmcnt(0)
	global_atomic_cmpswap_x2 v[2:3], v11, v[12:15], s[36:37] offset:32 glc
	s_waitcnt vmcnt(0)
	v_cmp_ne_u64_e32 vcc, v[2:3], v[14:15]
	s_and_saveexec_b64 s[18:19], vcc
	s_cbranch_execz .LBB3_653
; %bb.651:
	s_mov_b64 s[20:21], 0
.LBB3_652:                              ; =>This Inner Loop Header: Depth=1
	s_sleep 1
	global_store_dwordx2 v[9:10], v[2:3], off
	v_mov_b32_e32 v0, s10
	v_mov_b32_e32 v1, s11
	s_waitcnt vmcnt(0)
	global_atomic_cmpswap_x2 v[0:1], v11, v[0:3], s[36:37] offset:32 glc
	s_waitcnt vmcnt(0)
	v_cmp_eq_u64_e32 vcc, v[0:1], v[2:3]
	v_mov_b32_e32 v3, v1
	s_or_b64 s[20:21], vcc, s[20:21]
	v_mov_b32_e32 v2, v0
	s_andn2_b64 exec, exec, s[20:21]
	s_cbranch_execnz .LBB3_652
.LBB3_653:
	s_or_b64 exec, exec, s[18:19]
	v_mov_b32_e32 v3, 0
	global_load_dwordx2 v[0:1], v3, s[36:37] offset:16
	s_mov_b64 s[18:19], exec
	v_mbcnt_lo_u32_b32 v2, s18, 0
	v_mbcnt_hi_u32_b32 v2, s19, v2
	v_cmp_eq_u32_e32 vcc, 0, v2
	s_and_saveexec_b64 s[20:21], vcc
	s_cbranch_execz .LBB3_655
; %bb.654:
	s_bcnt1_i32_b64 s15, s[18:19]
	v_mov_b32_e32 v2, s15
	s_waitcnt vmcnt(0)
	global_atomic_add_x2 v[0:1], v[2:3], off offset:8
.LBB3_655:
	s_or_b64 exec, exec, s[20:21]
	s_waitcnt vmcnt(0)
	global_load_dwordx2 v[2:3], v[0:1], off offset:16
	s_waitcnt vmcnt(0)
	v_cmp_eq_u64_e32 vcc, 0, v[2:3]
	s_cbranch_vccnz .LBB3_657
; %bb.656:
	global_load_dword v0, v[0:1], off offset:24
	v_mov_b32_e32 v1, 0
	s_waitcnt vmcnt(0)
	global_store_dwordx2 v[2:3], v[0:1], off
	v_and_b32_e32 v0, 0xffffff, v0
	v_readfirstlane_b32 m0, v0
	s_sendmsg sendmsg(MSG_INTERRUPT)
.LBB3_657:
	s_or_b64 exec, exec, s[16:17]
	s_branch .LBB3_661
.LBB3_658:                              ;   in Loop: Header=BB3_661 Depth=1
	s_or_b64 exec, exec, s[16:17]
	v_readfirstlane_b32 s15, v0
	s_cmp_eq_u32 s15, 0
	s_cbranch_scc1 .LBB3_660
; %bb.659:                              ;   in Loop: Header=BB3_661 Depth=1
	s_sleep 1
	s_cbranch_execnz .LBB3_661
	s_branch .LBB3_663
.LBB3_660:
	s_branch .LBB3_663
.LBB3_661:                              ; =>This Inner Loop Header: Depth=1
	v_mov_b32_e32 v0, 1
	s_and_saveexec_b64 s[16:17], s[4:5]
	s_cbranch_execz .LBB3_658
; %bb.662:                              ;   in Loop: Header=BB3_661 Depth=1
	global_load_dword v0, v[6:7], off offset:20 glc
	s_waitcnt vmcnt(0)
	buffer_wbinvl1_vol
	v_and_b32_e32 v0, 1, v0
	s_branch .LBB3_658
.LBB3_663:
	s_and_saveexec_b64 s[16:17], s[4:5]
	s_cbranch_execz .LBB3_666
; %bb.664:
	v_mov_b32_e32 v9, 0
	global_load_dwordx2 v[2:3], v9, s[36:37] offset:40
	global_load_dwordx2 v[10:11], v9, s[36:37] offset:24 glc
	global_load_dwordx2 v[6:7], v9, s[36:37]
	v_mov_b32_e32 v1, s11
	s_mov_b64 s[4:5], 0
	s_waitcnt vmcnt(2)
	v_add_co_u32_e32 v12, vcc, 1, v2
	v_addc_co_u32_e32 v13, vcc, 0, v3, vcc
	v_add_co_u32_e32 v0, vcc, s10, v12
	v_addc_co_u32_e32 v1, vcc, v13, v1, vcc
	v_cmp_eq_u64_e32 vcc, 0, v[0:1]
	v_cndmask_b32_e32 v1, v1, v13, vcc
	v_cndmask_b32_e32 v0, v0, v12, vcc
	v_and_b32_e32 v3, v1, v3
	v_and_b32_e32 v2, v0, v2
	v_mul_lo_u32 v3, v3, 24
	v_mul_hi_u32 v12, v2, 24
	v_mul_lo_u32 v13, v2, 24
	s_waitcnt vmcnt(1)
	v_mov_b32_e32 v2, v10
	v_add_u32_e32 v3, v12, v3
	s_waitcnt vmcnt(0)
	v_add_co_u32_e32 v6, vcc, v6, v13
	v_addc_co_u32_e32 v7, vcc, v7, v3, vcc
	global_store_dwordx2 v[6:7], v[10:11], off
	v_mov_b32_e32 v3, v11
	s_waitcnt vmcnt(0)
	global_atomic_cmpswap_x2 v[2:3], v9, v[0:3], s[36:37] offset:24 glc
	s_waitcnt vmcnt(0)
	v_cmp_ne_u64_e32 vcc, v[2:3], v[10:11]
	s_and_b64 exec, exec, vcc
	s_cbranch_execz .LBB3_666
.LBB3_665:                              ; =>This Inner Loop Header: Depth=1
	s_sleep 1
	global_store_dwordx2 v[6:7], v[2:3], off
	s_waitcnt vmcnt(0)
	global_atomic_cmpswap_x2 v[10:11], v9, v[0:3], s[36:37] offset:24 glc
	s_waitcnt vmcnt(0)
	v_cmp_eq_u64_e32 vcc, v[10:11], v[2:3]
	v_mov_b32_e32 v2, v10
	s_or_b64 s[4:5], vcc, s[4:5]
	v_mov_b32_e32 v3, v11
	s_andn2_b64 exec, exec, s[4:5]
	s_cbranch_execnz .LBB3_665
.LBB3_666:
	s_or_b64 exec, exec, s[16:17]
.LBB3_667:
	v_readfirstlane_b32 s4, v51
	v_mov_b32_e32 v6, 0
	v_mov_b32_e32 v7, 0
	v_cmp_eq_u32_e64 s[4:5], s4, v51
	s_and_saveexec_b64 s[10:11], s[4:5]
	s_cbranch_execz .LBB3_673
; %bb.668:
	s_waitcnt vmcnt(0)
	v_mov_b32_e32 v0, 0
	global_load_dwordx2 v[11:12], v0, s[36:37] offset:24 glc
	s_waitcnt vmcnt(0)
	buffer_wbinvl1_vol
	global_load_dwordx2 v[1:2], v0, s[36:37] offset:40
	global_load_dwordx2 v[6:7], v0, s[36:37]
	s_waitcnt vmcnt(1)
	v_and_b32_e32 v1, v1, v11
	v_and_b32_e32 v2, v2, v12
	v_mul_lo_u32 v2, v2, 24
	v_mul_hi_u32 v3, v1, 24
	v_mul_lo_u32 v1, v1, 24
	v_add_u32_e32 v2, v3, v2
	s_waitcnt vmcnt(0)
	v_add_co_u32_e32 v1, vcc, v6, v1
	v_addc_co_u32_e32 v2, vcc, v7, v2, vcc
	global_load_dwordx2 v[9:10], v[1:2], off glc
	s_waitcnt vmcnt(0)
	global_atomic_cmpswap_x2 v[6:7], v0, v[9:12], s[36:37] offset:24 glc
	s_waitcnt vmcnt(0)
	buffer_wbinvl1_vol
	v_cmp_ne_u64_e32 vcc, v[6:7], v[11:12]
	s_and_saveexec_b64 s[16:17], vcc
	s_cbranch_execz .LBB3_672
; %bb.669:
	s_mov_b64 s[18:19], 0
.LBB3_670:                              ; =>This Inner Loop Header: Depth=1
	s_sleep 1
	global_load_dwordx2 v[1:2], v0, s[36:37] offset:40
	global_load_dwordx2 v[9:10], v0, s[36:37]
	v_mov_b32_e32 v12, v7
	v_mov_b32_e32 v11, v6
	s_waitcnt vmcnt(1)
	v_and_b32_e32 v1, v1, v11
	s_waitcnt vmcnt(0)
	v_mad_u64_u32 v[6:7], s[20:21], v1, 24, v[9:10]
	v_and_b32_e32 v2, v2, v12
	v_mov_b32_e32 v1, v7
	v_mad_u64_u32 v[1:2], s[20:21], v2, 24, v[1:2]
	v_mov_b32_e32 v7, v1
	global_load_dwordx2 v[9:10], v[6:7], off glc
	s_waitcnt vmcnt(0)
	global_atomic_cmpswap_x2 v[6:7], v0, v[9:12], s[36:37] offset:24 glc
	s_waitcnt vmcnt(0)
	buffer_wbinvl1_vol
	v_cmp_eq_u64_e32 vcc, v[6:7], v[11:12]
	s_or_b64 s[18:19], vcc, s[18:19]
	s_andn2_b64 exec, exec, s[18:19]
	s_cbranch_execnz .LBB3_670
; %bb.671:
	s_or_b64 exec, exec, s[18:19]
.LBB3_672:
	s_or_b64 exec, exec, s[16:17]
.LBB3_673:
	s_or_b64 exec, exec, s[10:11]
	s_waitcnt vmcnt(0)
	v_mov_b32_e32 v10, 0
	global_load_dwordx2 v[11:12], v10, s[36:37] offset:40
	global_load_dwordx4 v[0:3], v10, s[36:37]
	v_readfirstlane_b32 s10, v6
	v_readfirstlane_b32 s11, v7
	s_mov_b64 s[16:17], exec
	s_waitcnt vmcnt(1)
	v_readfirstlane_b32 s18, v11
	v_readfirstlane_b32 s19, v12
	s_and_b64 s[18:19], s[10:11], s[18:19]
	s_mul_i32 s15, s19, 24
	s_mul_hi_u32 s20, s18, 24
	s_mul_i32 s21, s18, 24
	s_add_i32 s15, s20, s15
	v_mov_b32_e32 v7, s15
	s_waitcnt vmcnt(0)
	v_add_co_u32_e32 v6, vcc, s21, v0
	v_addc_co_u32_e32 v7, vcc, v1, v7, vcc
	s_and_saveexec_b64 s[20:21], s[4:5]
	s_cbranch_execz .LBB3_675
; %bb.674:
	v_mov_b32_e32 v11, s16
	v_mov_b32_e32 v12, s17
	;; [unrolled: 1-line block ×4, first 2 shown]
	global_store_dwordx4 v[6:7], v[11:14], off offset:8
.LBB3_675:
	s_or_b64 exec, exec, s[20:21]
	s_lshl_b64 s[16:17], s[18:19], 12
	v_mov_b32_e32 v9, s17
	v_add_co_u32_e32 v2, vcc, s16, v2
	v_addc_co_u32_e32 v3, vcc, v3, v9, vcc
	s_mov_b32 s16, 0
	v_mov_b32_e32 v9, 33
	v_mov_b32_e32 v11, v10
	;; [unrolled: 1-line block ×3, first 2 shown]
	v_readfirstlane_b32 s20, v2
	v_readfirstlane_b32 s21, v3
	v_add_co_u32_e32 v13, vcc, v2, v50
	s_mov_b32 s17, s16
	s_mov_b32 s18, s16
	;; [unrolled: 1-line block ×3, first 2 shown]
	s_nop 0
	global_store_dwordx4 v50, v[9:12], s[20:21]
	v_addc_co_u32_e32 v14, vcc, 0, v3, vcc
	v_mov_b32_e32 v9, s16
	v_mov_b32_e32 v10, s17
	;; [unrolled: 1-line block ×4, first 2 shown]
	global_store_dwordx4 v50, v[9:12], s[20:21] offset:16
	global_store_dwordx4 v50, v[9:12], s[20:21] offset:32
	;; [unrolled: 1-line block ×3, first 2 shown]
	s_and_saveexec_b64 s[16:17], s[4:5]
	s_cbranch_execz .LBB3_683
; %bb.676:
	v_mov_b32_e32 v11, 0
	global_load_dwordx2 v[17:18], v11, s[36:37] offset:32 glc
	global_load_dwordx2 v[2:3], v11, s[36:37] offset:40
	v_mov_b32_e32 v15, s10
	v_mov_b32_e32 v16, s11
	s_waitcnt vmcnt(0)
	v_readfirstlane_b32 s18, v2
	v_readfirstlane_b32 s19, v3
	s_and_b64 s[18:19], s[18:19], s[10:11]
	s_mul_i32 s15, s19, 24
	s_mul_hi_u32 s19, s18, 24
	s_mul_i32 s18, s18, 24
	s_add_i32 s15, s19, s15
	v_mov_b32_e32 v2, s15
	v_add_co_u32_e32 v9, vcc, s18, v0
	v_addc_co_u32_e32 v10, vcc, v1, v2, vcc
	global_store_dwordx2 v[9:10], v[17:18], off
	s_waitcnt vmcnt(0)
	global_atomic_cmpswap_x2 v[2:3], v11, v[15:18], s[36:37] offset:32 glc
	s_waitcnt vmcnt(0)
	v_cmp_ne_u64_e32 vcc, v[2:3], v[17:18]
	s_and_saveexec_b64 s[18:19], vcc
	s_cbranch_execz .LBB3_679
; %bb.677:
	s_mov_b64 s[20:21], 0
.LBB3_678:                              ; =>This Inner Loop Header: Depth=1
	s_sleep 1
	global_store_dwordx2 v[9:10], v[2:3], off
	v_mov_b32_e32 v0, s10
	v_mov_b32_e32 v1, s11
	s_waitcnt vmcnt(0)
	global_atomic_cmpswap_x2 v[0:1], v11, v[0:3], s[36:37] offset:32 glc
	s_waitcnt vmcnt(0)
	v_cmp_eq_u64_e32 vcc, v[0:1], v[2:3]
	v_mov_b32_e32 v3, v1
	s_or_b64 s[20:21], vcc, s[20:21]
	v_mov_b32_e32 v2, v0
	s_andn2_b64 exec, exec, s[20:21]
	s_cbranch_execnz .LBB3_678
.LBB3_679:
	s_or_b64 exec, exec, s[18:19]
	v_mov_b32_e32 v3, 0
	global_load_dwordx2 v[0:1], v3, s[36:37] offset:16
	s_mov_b64 s[18:19], exec
	v_mbcnt_lo_u32_b32 v2, s18, 0
	v_mbcnt_hi_u32_b32 v2, s19, v2
	v_cmp_eq_u32_e32 vcc, 0, v2
	s_and_saveexec_b64 s[20:21], vcc
	s_cbranch_execz .LBB3_681
; %bb.680:
	s_bcnt1_i32_b64 s15, s[18:19]
	v_mov_b32_e32 v2, s15
	s_waitcnt vmcnt(0)
	global_atomic_add_x2 v[0:1], v[2:3], off offset:8
.LBB3_681:
	s_or_b64 exec, exec, s[20:21]
	s_waitcnt vmcnt(0)
	global_load_dwordx2 v[2:3], v[0:1], off offset:16
	s_waitcnt vmcnt(0)
	v_cmp_eq_u64_e32 vcc, 0, v[2:3]
	s_cbranch_vccnz .LBB3_683
; %bb.682:
	global_load_dword v0, v[0:1], off offset:24
	v_mov_b32_e32 v1, 0
	s_waitcnt vmcnt(0)
	global_store_dwordx2 v[2:3], v[0:1], off
	v_and_b32_e32 v0, 0xffffff, v0
	v_readfirstlane_b32 m0, v0
	s_sendmsg sendmsg(MSG_INTERRUPT)
.LBB3_683:
	s_or_b64 exec, exec, s[16:17]
	s_branch .LBB3_687
.LBB3_684:                              ;   in Loop: Header=BB3_687 Depth=1
	s_or_b64 exec, exec, s[16:17]
	v_readfirstlane_b32 s15, v0
	s_cmp_eq_u32 s15, 0
	s_cbranch_scc1 .LBB3_686
; %bb.685:                              ;   in Loop: Header=BB3_687 Depth=1
	s_sleep 1
	s_cbranch_execnz .LBB3_687
	s_branch .LBB3_689
.LBB3_686:
	s_branch .LBB3_689
.LBB3_687:                              ; =>This Inner Loop Header: Depth=1
	v_mov_b32_e32 v0, 1
	s_and_saveexec_b64 s[16:17], s[4:5]
	s_cbranch_execz .LBB3_684
; %bb.688:                              ;   in Loop: Header=BB3_687 Depth=1
	global_load_dword v0, v[6:7], off offset:20 glc
	s_waitcnt vmcnt(0)
	buffer_wbinvl1_vol
	v_and_b32_e32 v0, 1, v0
	s_branch .LBB3_684
.LBB3_689:
	global_load_dwordx2 v[0:1], v[13:14], off
	s_and_saveexec_b64 s[16:17], s[4:5]
	s_cbranch_execz .LBB3_692
; %bb.690:
	v_mov_b32_e32 v6, 0
	global_load_dwordx2 v[2:3], v6, s[36:37] offset:40
	global_load_dwordx2 v[13:14], v6, s[36:37] offset:24 glc
	global_load_dwordx2 v[15:16], v6, s[36:37]
	v_mov_b32_e32 v7, s11
	s_mov_b64 s[4:5], 0
	s_waitcnt vmcnt(2)
	v_add_co_u32_e32 v11, vcc, 1, v2
	v_addc_co_u32_e32 v12, vcc, 0, v3, vcc
	v_add_co_u32_e32 v9, vcc, s10, v11
	v_addc_co_u32_e32 v10, vcc, v12, v7, vcc
	v_cmp_eq_u64_e32 vcc, 0, v[9:10]
	v_cndmask_b32_e32 v10, v10, v12, vcc
	v_cndmask_b32_e32 v9, v9, v11, vcc
	v_and_b32_e32 v3, v10, v3
	v_and_b32_e32 v2, v9, v2
	v_mul_lo_u32 v3, v3, 24
	v_mul_hi_u32 v7, v2, 24
	v_mul_lo_u32 v2, v2, 24
	s_waitcnt vmcnt(1)
	v_mov_b32_e32 v11, v13
	v_mov_b32_e32 v12, v14
	v_add_u32_e32 v3, v7, v3
	s_waitcnt vmcnt(0)
	v_add_co_u32_e32 v2, vcc, v15, v2
	v_addc_co_u32_e32 v3, vcc, v16, v3, vcc
	global_store_dwordx2 v[2:3], v[13:14], off
	s_waitcnt vmcnt(0)
	global_atomic_cmpswap_x2 v[11:12], v6, v[9:12], s[36:37] offset:24 glc
	s_waitcnt vmcnt(0)
	v_cmp_ne_u64_e32 vcc, v[11:12], v[13:14]
	s_and_b64 exec, exec, vcc
	s_cbranch_execz .LBB3_692
.LBB3_691:                              ; =>This Inner Loop Header: Depth=1
	s_sleep 1
	global_store_dwordx2 v[2:3], v[11:12], off
	s_waitcnt vmcnt(0)
	global_atomic_cmpswap_x2 v[13:14], v6, v[9:12], s[36:37] offset:24 glc
	s_waitcnt vmcnt(0)
	v_cmp_eq_u64_e32 vcc, v[13:14], v[11:12]
	v_mov_b32_e32 v11, v13
	s_or_b64 s[4:5], vcc, s[4:5]
	v_mov_b32_e32 v12, v14
	s_andn2_b64 exec, exec, s[4:5]
	s_cbranch_execnz .LBB3_691
.LBB3_692:
	s_or_b64 exec, exec, s[16:17]
	s_and_b64 vcc, exec, s[38:39]
	s_cbranch_vccz .LBB3_777
; %bb.693:
	s_waitcnt vmcnt(0)
	v_and_b32_e32 v35, 2, v0
	v_mov_b32_e32 v3, 0
	v_and_b32_e32 v9, -3, v0
	v_mov_b32_e32 v10, v1
	s_mov_b64 s[16:17], 3
	v_mov_b32_e32 v13, 2
	v_mov_b32_e32 v14, 1
	s_getpc_b64 s[10:11]
	s_add_u32 s10, s10, .str.8@rel32@lo+4
	s_addc_u32 s11, s11, .str.8@rel32@hi+12
	s_branch .LBB3_695
.LBB3_694:                              ;   in Loop: Header=BB3_695 Depth=1
	s_or_b64 exec, exec, s[22:23]
	s_sub_u32 s16, s16, s18
	s_subb_u32 s17, s17, s19
	s_add_u32 s10, s10, s18
	s_addc_u32 s11, s11, s19
	s_cmp_lg_u64 s[16:17], 0
	s_cbranch_scc0 .LBB3_776
.LBB3_695:                              ; =>This Loop Header: Depth=1
                                        ;     Child Loop BB3_698 Depth 2
                                        ;     Child Loop BB3_705 Depth 2
	;; [unrolled: 1-line block ×11, first 2 shown]
	v_cmp_lt_u64_e64 s[4:5], s[16:17], 56
	v_cmp_gt_u64_e64 s[20:21], s[16:17], 7
	s_and_b64 s[4:5], s[4:5], exec
	s_cselect_b32 s19, s17, 0
	s_cselect_b32 s18, s16, 56
	s_and_b64 vcc, exec, s[20:21]
	s_cbranch_vccnz .LBB3_700
; %bb.696:                              ;   in Loop: Header=BB3_695 Depth=1
	v_mov_b32_e32 v17, 0
	s_cmp_eq_u64 s[16:17], 0
	v_mov_b32_e32 v18, 0
	s_mov_b64 s[4:5], 0
	s_cbranch_scc1 .LBB3_699
; %bb.697:                              ;   in Loop: Header=BB3_695 Depth=1
	v_mov_b32_e32 v17, 0
	s_lshl_b64 s[20:21], s[18:19], 3
	s_mov_b64 s[22:23], 0
	v_mov_b32_e32 v18, 0
	s_mov_b64 s[24:25], s[10:11]
.LBB3_698:                              ;   Parent Loop BB3_695 Depth=1
                                        ; =>  This Inner Loop Header: Depth=2
	global_load_ubyte v2, v3, s[24:25]
	s_waitcnt vmcnt(0)
	v_and_b32_e32 v2, 0xffff, v2
	v_lshlrev_b64 v[6:7], s22, v[2:3]
	s_add_u32 s22, s22, 8
	s_addc_u32 s23, s23, 0
	s_add_u32 s24, s24, 1
	s_addc_u32 s25, s25, 0
	v_or_b32_e32 v17, v6, v17
	s_cmp_lg_u32 s20, s22
	v_or_b32_e32 v18, v7, v18
	s_cbranch_scc1 .LBB3_698
.LBB3_699:                              ;   in Loop: Header=BB3_695 Depth=1
	s_mov_b32 s15, 0
	s_andn2_b64 vcc, exec, s[4:5]
	s_mov_b64 s[4:5], s[10:11]
	s_cbranch_vccz .LBB3_701
	s_branch .LBB3_702
.LBB3_700:                              ;   in Loop: Header=BB3_695 Depth=1
                                        ; implicit-def: $vgpr17_vgpr18
                                        ; implicit-def: $sgpr15
	s_mov_b64 s[4:5], s[10:11]
.LBB3_701:                              ;   in Loop: Header=BB3_695 Depth=1
	global_load_dwordx2 v[17:18], v3, s[10:11]
	s_add_i32 s15, s18, -8
	s_add_u32 s4, s10, 8
	s_addc_u32 s5, s11, 0
.LBB3_702:                              ;   in Loop: Header=BB3_695 Depth=1
	s_cmp_gt_u32 s15, 7
	s_cbranch_scc1 .LBB3_706
; %bb.703:                              ;   in Loop: Header=BB3_695 Depth=1
	s_cmp_eq_u32 s15, 0
	s_cbranch_scc1 .LBB3_707
; %bb.704:                              ;   in Loop: Header=BB3_695 Depth=1
	v_mov_b32_e32 v19, 0
	s_mov_b64 s[20:21], 0
	v_mov_b32_e32 v20, 0
	s_mov_b64 s[22:23], 0
.LBB3_705:                              ;   Parent Loop BB3_695 Depth=1
                                        ; =>  This Inner Loop Header: Depth=2
	s_add_u32 s24, s4, s22
	s_addc_u32 s25, s5, s23
	global_load_ubyte v2, v3, s[24:25]
	s_add_u32 s22, s22, 1
	s_addc_u32 s23, s23, 0
	s_waitcnt vmcnt(0)
	v_and_b32_e32 v2, 0xffff, v2
	v_lshlrev_b64 v[6:7], s20, v[2:3]
	s_add_u32 s20, s20, 8
	s_addc_u32 s21, s21, 0
	v_or_b32_e32 v19, v6, v19
	s_cmp_lg_u32 s15, s22
	v_or_b32_e32 v20, v7, v20
	s_cbranch_scc1 .LBB3_705
	s_branch .LBB3_708
.LBB3_706:                              ;   in Loop: Header=BB3_695 Depth=1
                                        ; implicit-def: $vgpr19_vgpr20
                                        ; implicit-def: $sgpr24
	s_branch .LBB3_709
.LBB3_707:                              ;   in Loop: Header=BB3_695 Depth=1
	v_mov_b32_e32 v19, 0
	v_mov_b32_e32 v20, 0
.LBB3_708:                              ;   in Loop: Header=BB3_695 Depth=1
	s_mov_b32 s24, 0
	s_cbranch_execnz .LBB3_710
.LBB3_709:                              ;   in Loop: Header=BB3_695 Depth=1
	global_load_dwordx2 v[19:20], v3, s[4:5]
	s_add_i32 s24, s15, -8
	s_add_u32 s4, s4, 8
	s_addc_u32 s5, s5, 0
.LBB3_710:                              ;   in Loop: Header=BB3_695 Depth=1
	s_cmp_gt_u32 s24, 7
	s_cbranch_scc1 .LBB3_714
; %bb.711:                              ;   in Loop: Header=BB3_695 Depth=1
	s_cmp_eq_u32 s24, 0
	s_cbranch_scc1 .LBB3_715
; %bb.712:                              ;   in Loop: Header=BB3_695 Depth=1
	v_mov_b32_e32 v21, 0
	s_mov_b64 s[20:21], 0
	v_mov_b32_e32 v22, 0
	s_mov_b64 s[22:23], 0
.LBB3_713:                              ;   Parent Loop BB3_695 Depth=1
                                        ; =>  This Inner Loop Header: Depth=2
	s_add_u32 s26, s4, s22
	s_addc_u32 s27, s5, s23
	global_load_ubyte v2, v3, s[26:27]
	s_add_u32 s22, s22, 1
	s_addc_u32 s23, s23, 0
	s_waitcnt vmcnt(0)
	v_and_b32_e32 v2, 0xffff, v2
	v_lshlrev_b64 v[6:7], s20, v[2:3]
	s_add_u32 s20, s20, 8
	s_addc_u32 s21, s21, 0
	v_or_b32_e32 v21, v6, v21
	s_cmp_lg_u32 s24, s22
	v_or_b32_e32 v22, v7, v22
	s_cbranch_scc1 .LBB3_713
	s_branch .LBB3_716
.LBB3_714:                              ;   in Loop: Header=BB3_695 Depth=1
                                        ; implicit-def: $sgpr15
	s_branch .LBB3_717
.LBB3_715:                              ;   in Loop: Header=BB3_695 Depth=1
	v_mov_b32_e32 v21, 0
	v_mov_b32_e32 v22, 0
.LBB3_716:                              ;   in Loop: Header=BB3_695 Depth=1
	s_mov_b32 s15, 0
	s_cbranch_execnz .LBB3_718
.LBB3_717:                              ;   in Loop: Header=BB3_695 Depth=1
	global_load_dwordx2 v[21:22], v3, s[4:5]
	s_add_i32 s15, s24, -8
	s_add_u32 s4, s4, 8
	s_addc_u32 s5, s5, 0
.LBB3_718:                              ;   in Loop: Header=BB3_695 Depth=1
	s_cmp_gt_u32 s15, 7
	s_cbranch_scc1 .LBB3_722
; %bb.719:                              ;   in Loop: Header=BB3_695 Depth=1
	s_cmp_eq_u32 s15, 0
	s_cbranch_scc1 .LBB3_723
; %bb.720:                              ;   in Loop: Header=BB3_695 Depth=1
	v_mov_b32_e32 v23, 0
	s_mov_b64 s[20:21], 0
	v_mov_b32_e32 v24, 0
	s_mov_b64 s[22:23], 0
.LBB3_721:                              ;   Parent Loop BB3_695 Depth=1
                                        ; =>  This Inner Loop Header: Depth=2
	s_add_u32 s24, s4, s22
	s_addc_u32 s25, s5, s23
	global_load_ubyte v2, v3, s[24:25]
	s_add_u32 s22, s22, 1
	s_addc_u32 s23, s23, 0
	s_waitcnt vmcnt(0)
	v_and_b32_e32 v2, 0xffff, v2
	v_lshlrev_b64 v[6:7], s20, v[2:3]
	s_add_u32 s20, s20, 8
	s_addc_u32 s21, s21, 0
	v_or_b32_e32 v23, v6, v23
	s_cmp_lg_u32 s15, s22
	v_or_b32_e32 v24, v7, v24
	s_cbranch_scc1 .LBB3_721
	s_branch .LBB3_724
.LBB3_722:                              ;   in Loop: Header=BB3_695 Depth=1
                                        ; implicit-def: $vgpr23_vgpr24
                                        ; implicit-def: $sgpr24
	s_branch .LBB3_725
.LBB3_723:                              ;   in Loop: Header=BB3_695 Depth=1
	v_mov_b32_e32 v23, 0
	v_mov_b32_e32 v24, 0
.LBB3_724:                              ;   in Loop: Header=BB3_695 Depth=1
	s_mov_b32 s24, 0
	s_cbranch_execnz .LBB3_726
.LBB3_725:                              ;   in Loop: Header=BB3_695 Depth=1
	global_load_dwordx2 v[23:24], v3, s[4:5]
	s_add_i32 s24, s15, -8
	s_add_u32 s4, s4, 8
	s_addc_u32 s5, s5, 0
.LBB3_726:                              ;   in Loop: Header=BB3_695 Depth=1
	s_cmp_gt_u32 s24, 7
	s_cbranch_scc1 .LBB3_730
; %bb.727:                              ;   in Loop: Header=BB3_695 Depth=1
	s_cmp_eq_u32 s24, 0
	s_cbranch_scc1 .LBB3_731
; %bb.728:                              ;   in Loop: Header=BB3_695 Depth=1
	v_mov_b32_e32 v25, 0
	s_mov_b64 s[20:21], 0
	v_mov_b32_e32 v26, 0
	s_mov_b64 s[22:23], 0
.LBB3_729:                              ;   Parent Loop BB3_695 Depth=1
                                        ; =>  This Inner Loop Header: Depth=2
	s_add_u32 s26, s4, s22
	s_addc_u32 s27, s5, s23
	global_load_ubyte v2, v3, s[26:27]
	s_add_u32 s22, s22, 1
	s_addc_u32 s23, s23, 0
	s_waitcnt vmcnt(0)
	v_and_b32_e32 v2, 0xffff, v2
	v_lshlrev_b64 v[6:7], s20, v[2:3]
	s_add_u32 s20, s20, 8
	s_addc_u32 s21, s21, 0
	v_or_b32_e32 v25, v6, v25
	s_cmp_lg_u32 s24, s22
	v_or_b32_e32 v26, v7, v26
	s_cbranch_scc1 .LBB3_729
	s_branch .LBB3_732
.LBB3_730:                              ;   in Loop: Header=BB3_695 Depth=1
                                        ; implicit-def: $sgpr15
	s_branch .LBB3_733
.LBB3_731:                              ;   in Loop: Header=BB3_695 Depth=1
	v_mov_b32_e32 v25, 0
	v_mov_b32_e32 v26, 0
.LBB3_732:                              ;   in Loop: Header=BB3_695 Depth=1
	s_mov_b32 s15, 0
	s_cbranch_execnz .LBB3_734
.LBB3_733:                              ;   in Loop: Header=BB3_695 Depth=1
	global_load_dwordx2 v[25:26], v3, s[4:5]
	s_add_i32 s15, s24, -8
	s_add_u32 s4, s4, 8
	s_addc_u32 s5, s5, 0
.LBB3_734:                              ;   in Loop: Header=BB3_695 Depth=1
	s_cmp_gt_u32 s15, 7
	s_cbranch_scc1 .LBB3_738
; %bb.735:                              ;   in Loop: Header=BB3_695 Depth=1
	s_cmp_eq_u32 s15, 0
	s_cbranch_scc1 .LBB3_739
; %bb.736:                              ;   in Loop: Header=BB3_695 Depth=1
	v_mov_b32_e32 v27, 0
	s_mov_b64 s[20:21], 0
	v_mov_b32_e32 v28, 0
	s_mov_b64 s[22:23], 0
.LBB3_737:                              ;   Parent Loop BB3_695 Depth=1
                                        ; =>  This Inner Loop Header: Depth=2
	s_add_u32 s24, s4, s22
	s_addc_u32 s25, s5, s23
	global_load_ubyte v2, v3, s[24:25]
	s_add_u32 s22, s22, 1
	s_addc_u32 s23, s23, 0
	s_waitcnt vmcnt(0)
	v_and_b32_e32 v2, 0xffff, v2
	v_lshlrev_b64 v[6:7], s20, v[2:3]
	s_add_u32 s20, s20, 8
	s_addc_u32 s21, s21, 0
	v_or_b32_e32 v27, v6, v27
	s_cmp_lg_u32 s15, s22
	v_or_b32_e32 v28, v7, v28
	s_cbranch_scc1 .LBB3_737
	s_branch .LBB3_740
.LBB3_738:                              ;   in Loop: Header=BB3_695 Depth=1
                                        ; implicit-def: $vgpr27_vgpr28
                                        ; implicit-def: $sgpr24
	s_branch .LBB3_741
.LBB3_739:                              ;   in Loop: Header=BB3_695 Depth=1
	v_mov_b32_e32 v27, 0
	v_mov_b32_e32 v28, 0
.LBB3_740:                              ;   in Loop: Header=BB3_695 Depth=1
	s_mov_b32 s24, 0
	s_cbranch_execnz .LBB3_742
.LBB3_741:                              ;   in Loop: Header=BB3_695 Depth=1
	global_load_dwordx2 v[27:28], v3, s[4:5]
	s_add_i32 s24, s15, -8
	s_add_u32 s4, s4, 8
	s_addc_u32 s5, s5, 0
.LBB3_742:                              ;   in Loop: Header=BB3_695 Depth=1
	s_cmp_gt_u32 s24, 7
	s_cbranch_scc1 .LBB3_746
; %bb.743:                              ;   in Loop: Header=BB3_695 Depth=1
	s_cmp_eq_u32 s24, 0
	s_cbranch_scc1 .LBB3_747
; %bb.744:                              ;   in Loop: Header=BB3_695 Depth=1
	v_mov_b32_e32 v29, 0
	s_mov_b64 s[20:21], 0
	v_mov_b32_e32 v30, 0
	s_mov_b64 s[22:23], s[4:5]
.LBB3_745:                              ;   Parent Loop BB3_695 Depth=1
                                        ; =>  This Inner Loop Header: Depth=2
	global_load_ubyte v2, v3, s[22:23]
	s_add_i32 s24, s24, -1
	s_waitcnt vmcnt(0)
	v_and_b32_e32 v2, 0xffff, v2
	v_lshlrev_b64 v[6:7], s20, v[2:3]
	s_add_u32 s20, s20, 8
	s_addc_u32 s21, s21, 0
	s_add_u32 s22, s22, 1
	s_addc_u32 s23, s23, 0
	v_or_b32_e32 v29, v6, v29
	s_cmp_lg_u32 s24, 0
	v_or_b32_e32 v30, v7, v30
	s_cbranch_scc1 .LBB3_745
	s_branch .LBB3_748
.LBB3_746:                              ;   in Loop: Header=BB3_695 Depth=1
	s_branch .LBB3_749
.LBB3_747:                              ;   in Loop: Header=BB3_695 Depth=1
	v_mov_b32_e32 v29, 0
	v_mov_b32_e32 v30, 0
.LBB3_748:                              ;   in Loop: Header=BB3_695 Depth=1
	s_cbranch_execnz .LBB3_750
.LBB3_749:                              ;   in Loop: Header=BB3_695 Depth=1
	global_load_dwordx2 v[29:30], v3, s[4:5]
.LBB3_750:                              ;   in Loop: Header=BB3_695 Depth=1
	v_readfirstlane_b32 s4, v51
	v_mov_b32_e32 v6, 0
	v_mov_b32_e32 v7, 0
	v_cmp_eq_u32_e64 s[4:5], s4, v51
	s_and_saveexec_b64 s[20:21], s[4:5]
	s_cbranch_execz .LBB3_756
; %bb.751:                              ;   in Loop: Header=BB3_695 Depth=1
	global_load_dwordx2 v[33:34], v3, s[36:37] offset:24 glc
	s_waitcnt vmcnt(0)
	buffer_wbinvl1_vol
	global_load_dwordx2 v[6:7], v3, s[36:37] offset:40
	global_load_dwordx2 v[11:12], v3, s[36:37]
	s_waitcnt vmcnt(1)
	v_and_b32_e32 v2, v6, v33
	v_and_b32_e32 v6, v7, v34
	v_mul_lo_u32 v6, v6, 24
	v_mul_hi_u32 v7, v2, 24
	v_mul_lo_u32 v2, v2, 24
	v_add_u32_e32 v7, v7, v6
	s_waitcnt vmcnt(0)
	v_add_co_u32_e32 v6, vcc, v11, v2
	v_addc_co_u32_e32 v7, vcc, v12, v7, vcc
	global_load_dwordx2 v[31:32], v[6:7], off glc
	s_waitcnt vmcnt(0)
	global_atomic_cmpswap_x2 v[6:7], v3, v[31:34], s[36:37] offset:24 glc
	s_waitcnt vmcnt(0)
	buffer_wbinvl1_vol
	v_cmp_ne_u64_e32 vcc, v[6:7], v[33:34]
	s_and_saveexec_b64 s[22:23], vcc
	s_cbranch_execz .LBB3_755
; %bb.752:                              ;   in Loop: Header=BB3_695 Depth=1
	s_mov_b64 s[24:25], 0
.LBB3_753:                              ;   Parent Loop BB3_695 Depth=1
                                        ; =>  This Inner Loop Header: Depth=2
	s_sleep 1
	global_load_dwordx2 v[11:12], v3, s[36:37] offset:40
	global_load_dwordx2 v[15:16], v3, s[36:37]
	v_mov_b32_e32 v34, v7
	v_mov_b32_e32 v33, v6
	s_waitcnt vmcnt(1)
	v_and_b32_e32 v2, v11, v33
	s_waitcnt vmcnt(0)
	v_mad_u64_u32 v[6:7], s[26:27], v2, 24, v[15:16]
	v_and_b32_e32 v11, v12, v34
	v_mov_b32_e32 v2, v7
	v_mad_u64_u32 v[11:12], s[26:27], v11, 24, v[2:3]
	v_mov_b32_e32 v7, v11
	global_load_dwordx2 v[31:32], v[6:7], off glc
	s_waitcnt vmcnt(0)
	global_atomic_cmpswap_x2 v[6:7], v3, v[31:34], s[36:37] offset:24 glc
	s_waitcnt vmcnt(0)
	buffer_wbinvl1_vol
	v_cmp_eq_u64_e32 vcc, v[6:7], v[33:34]
	s_or_b64 s[24:25], vcc, s[24:25]
	s_andn2_b64 exec, exec, s[24:25]
	s_cbranch_execnz .LBB3_753
; %bb.754:                              ;   in Loop: Header=BB3_695 Depth=1
	s_or_b64 exec, exec, s[24:25]
.LBB3_755:                              ;   in Loop: Header=BB3_695 Depth=1
	s_or_b64 exec, exec, s[22:23]
.LBB3_756:                              ;   in Loop: Header=BB3_695 Depth=1
	s_or_b64 exec, exec, s[20:21]
	global_load_dwordx2 v[11:12], v3, s[36:37] offset:40
	global_load_dwordx4 v[31:34], v3, s[36:37]
	v_readfirstlane_b32 s20, v6
	v_readfirstlane_b32 s21, v7
	s_mov_b64 s[22:23], exec
	s_waitcnt vmcnt(1)
	v_readfirstlane_b32 s24, v11
	v_readfirstlane_b32 s25, v12
	s_and_b64 s[24:25], s[20:21], s[24:25]
	s_mul_i32 s15, s25, 24
	s_mul_hi_u32 s26, s24, 24
	s_mul_i32 s27, s24, 24
	s_add_i32 s15, s26, s15
	v_mov_b32_e32 v2, s15
	s_waitcnt vmcnt(0)
	v_add_co_u32_e32 v6, vcc, s27, v31
	v_addc_co_u32_e32 v7, vcc, v32, v2, vcc
	s_and_saveexec_b64 s[26:27], s[4:5]
	s_cbranch_execz .LBB3_758
; %bb.757:                              ;   in Loop: Header=BB3_695 Depth=1
	v_mov_b32_e32 v11, s22
	v_mov_b32_e32 v12, s23
	global_store_dwordx4 v[6:7], v[11:14], off offset:8
.LBB3_758:                              ;   in Loop: Header=BB3_695 Depth=1
	s_or_b64 exec, exec, s[26:27]
	s_lshl_b64 s[22:23], s[24:25], 12
	v_mov_b32_e32 v2, s23
	v_add_co_u32_e32 v33, vcc, s22, v33
	v_addc_co_u32_e32 v34, vcc, v34, v2, vcc
	v_cmp_gt_u64_e64 vcc, s[16:17], 56
	v_or_b32_e32 v2, 0, v10
	v_or_b32_e32 v11, v9, v35
	s_lshl_b32 s15, s18, 2
	v_cndmask_b32_e32 v16, v2, v10, vcc
	v_cndmask_b32_e32 v2, v11, v9, vcc
	s_add_i32 s15, s15, 28
	s_and_b32 s15, s15, 0x1e0
	v_and_b32_e32 v2, 0xffffff1f, v2
	v_or_b32_e32 v15, s15, v2
	v_readfirstlane_b32 s22, v33
	v_readfirstlane_b32 s23, v34
	s_nop 4
	global_store_dwordx4 v50, v[15:18], s[22:23]
	global_store_dwordx4 v50, v[19:22], s[22:23] offset:16
	global_store_dwordx4 v50, v[23:26], s[22:23] offset:32
	global_store_dwordx4 v50, v[27:30], s[22:23] offset:48
	s_and_saveexec_b64 s[22:23], s[4:5]
	s_cbranch_execz .LBB3_766
; %bb.759:                              ;   in Loop: Header=BB3_695 Depth=1
	global_load_dwordx2 v[19:20], v3, s[36:37] offset:32 glc
	global_load_dwordx2 v[9:10], v3, s[36:37] offset:40
	v_mov_b32_e32 v17, s20
	v_mov_b32_e32 v18, s21
	s_waitcnt vmcnt(0)
	v_readfirstlane_b32 s24, v9
	v_readfirstlane_b32 s25, v10
	s_and_b64 s[24:25], s[24:25], s[20:21]
	s_mul_i32 s15, s25, 24
	s_mul_hi_u32 s25, s24, 24
	s_mul_i32 s24, s24, 24
	s_add_i32 s15, s25, s15
	v_mov_b32_e32 v2, s15
	v_add_co_u32_e32 v15, vcc, s24, v31
	v_addc_co_u32_e32 v16, vcc, v32, v2, vcc
	global_store_dwordx2 v[15:16], v[19:20], off
	s_waitcnt vmcnt(0)
	global_atomic_cmpswap_x2 v[11:12], v3, v[17:20], s[36:37] offset:32 glc
	s_waitcnt vmcnt(0)
	v_cmp_ne_u64_e32 vcc, v[11:12], v[19:20]
	s_and_saveexec_b64 s[24:25], vcc
	s_cbranch_execz .LBB3_762
; %bb.760:                              ;   in Loop: Header=BB3_695 Depth=1
	s_mov_b64 s[26:27], 0
.LBB3_761:                              ;   Parent Loop BB3_695 Depth=1
                                        ; =>  This Inner Loop Header: Depth=2
	s_sleep 1
	global_store_dwordx2 v[15:16], v[11:12], off
	v_mov_b32_e32 v9, s20
	v_mov_b32_e32 v10, s21
	s_waitcnt vmcnt(0)
	global_atomic_cmpswap_x2 v[9:10], v3, v[9:12], s[36:37] offset:32 glc
	s_waitcnt vmcnt(0)
	v_cmp_eq_u64_e32 vcc, v[9:10], v[11:12]
	v_mov_b32_e32 v12, v10
	s_or_b64 s[26:27], vcc, s[26:27]
	v_mov_b32_e32 v11, v9
	s_andn2_b64 exec, exec, s[26:27]
	s_cbranch_execnz .LBB3_761
.LBB3_762:                              ;   in Loop: Header=BB3_695 Depth=1
	s_or_b64 exec, exec, s[24:25]
	global_load_dwordx2 v[9:10], v3, s[36:37] offset:16
	s_mov_b64 s[26:27], exec
	v_mbcnt_lo_u32_b32 v2, s26, 0
	v_mbcnt_hi_u32_b32 v2, s27, v2
	v_cmp_eq_u32_e32 vcc, 0, v2
	s_and_saveexec_b64 s[24:25], vcc
	s_cbranch_execz .LBB3_764
; %bb.763:                              ;   in Loop: Header=BB3_695 Depth=1
	s_bcnt1_i32_b64 s15, s[26:27]
	v_mov_b32_e32 v2, s15
	s_waitcnt vmcnt(0)
	global_atomic_add_x2 v[9:10], v[2:3], off offset:8
.LBB3_764:                              ;   in Loop: Header=BB3_695 Depth=1
	s_or_b64 exec, exec, s[24:25]
	s_waitcnt vmcnt(0)
	global_load_dwordx2 v[11:12], v[9:10], off offset:16
	s_waitcnt vmcnt(0)
	v_cmp_eq_u64_e32 vcc, 0, v[11:12]
	s_cbranch_vccnz .LBB3_766
; %bb.765:                              ;   in Loop: Header=BB3_695 Depth=1
	global_load_dword v2, v[9:10], off offset:24
	s_waitcnt vmcnt(0)
	global_store_dwordx2 v[11:12], v[2:3], off
	v_and_b32_e32 v2, 0xffffff, v2
	v_readfirstlane_b32 m0, v2
	s_sendmsg sendmsg(MSG_INTERRUPT)
.LBB3_766:                              ;   in Loop: Header=BB3_695 Depth=1
	s_or_b64 exec, exec, s[22:23]
	v_add_co_u32_e32 v9, vcc, v33, v50
	v_addc_co_u32_e32 v10, vcc, 0, v34, vcc
	s_branch .LBB3_770
.LBB3_767:                              ;   in Loop: Header=BB3_770 Depth=2
	s_or_b64 exec, exec, s[22:23]
	v_readfirstlane_b32 s15, v2
	s_cmp_eq_u32 s15, 0
	s_cbranch_scc1 .LBB3_769
; %bb.768:                              ;   in Loop: Header=BB3_770 Depth=2
	s_sleep 1
	s_cbranch_execnz .LBB3_770
	s_branch .LBB3_772
.LBB3_769:                              ;   in Loop: Header=BB3_695 Depth=1
	s_branch .LBB3_772
.LBB3_770:                              ;   Parent Loop BB3_695 Depth=1
                                        ; =>  This Inner Loop Header: Depth=2
	v_mov_b32_e32 v2, 1
	s_and_saveexec_b64 s[22:23], s[4:5]
	s_cbranch_execz .LBB3_767
; %bb.771:                              ;   in Loop: Header=BB3_770 Depth=2
	global_load_dword v2, v[6:7], off offset:20 glc
	s_waitcnt vmcnt(0)
	buffer_wbinvl1_vol
	v_and_b32_e32 v2, 1, v2
	s_branch .LBB3_767
.LBB3_772:                              ;   in Loop: Header=BB3_695 Depth=1
	global_load_dwordx4 v[9:12], v[9:10], off
	s_and_saveexec_b64 s[22:23], s[4:5]
	s_cbranch_execz .LBB3_694
; %bb.773:                              ;   in Loop: Header=BB3_695 Depth=1
	global_load_dwordx2 v[6:7], v3, s[36:37] offset:40
	global_load_dwordx2 v[11:12], v3, s[36:37] offset:24 glc
	global_load_dwordx2 v[18:19], v3, s[36:37]
	v_mov_b32_e32 v2, s21
	s_waitcnt vmcnt(2)
	v_add_co_u32_e32 v17, vcc, 1, v6
	v_addc_co_u32_e32 v20, vcc, 0, v7, vcc
	v_add_co_u32_e32 v15, vcc, s20, v17
	v_addc_co_u32_e32 v16, vcc, v20, v2, vcc
	v_cmp_eq_u64_e32 vcc, 0, v[15:16]
	v_cndmask_b32_e32 v16, v16, v20, vcc
	v_cndmask_b32_e32 v15, v15, v17, vcc
	v_and_b32_e32 v2, v16, v7
	v_and_b32_e32 v6, v15, v6
	v_mul_lo_u32 v2, v2, 24
	v_mul_hi_u32 v7, v6, 24
	v_mul_lo_u32 v6, v6, 24
	s_waitcnt vmcnt(1)
	v_mov_b32_e32 v17, v11
	v_add_u32_e32 v2, v7, v2
	s_waitcnt vmcnt(0)
	v_add_co_u32_e32 v6, vcc, v18, v6
	v_addc_co_u32_e32 v7, vcc, v19, v2, vcc
	global_store_dwordx2 v[6:7], v[11:12], off
	v_mov_b32_e32 v18, v12
	s_waitcnt vmcnt(0)
	global_atomic_cmpswap_x2 v[17:18], v3, v[15:18], s[36:37] offset:24 glc
	s_waitcnt vmcnt(0)
	v_cmp_ne_u64_e32 vcc, v[17:18], v[11:12]
	s_and_b64 exec, exec, vcc
	s_cbranch_execz .LBB3_694
; %bb.774:                              ;   in Loop: Header=BB3_695 Depth=1
	s_mov_b64 s[4:5], 0
.LBB3_775:                              ;   Parent Loop BB3_695 Depth=1
                                        ; =>  This Inner Loop Header: Depth=2
	s_sleep 1
	global_store_dwordx2 v[6:7], v[17:18], off
	s_waitcnt vmcnt(0)
	global_atomic_cmpswap_x2 v[11:12], v3, v[15:18], s[36:37] offset:24 glc
	s_waitcnt vmcnt(0)
	v_cmp_eq_u64_e32 vcc, v[11:12], v[17:18]
	v_mov_b32_e32 v18, v12
	s_or_b64 s[4:5], vcc, s[4:5]
	v_mov_b32_e32 v17, v11
	s_andn2_b64 exec, exec, s[4:5]
	s_cbranch_execnz .LBB3_775
	s_branch .LBB3_694
.LBB3_776:
	s_branch .LBB3_804
.LBB3_777:
                                        ; implicit-def: $vgpr9_vgpr10
	s_cbranch_execz .LBB3_804
; %bb.778:
	v_readfirstlane_b32 s4, v51
	v_mov_b32_e32 v6, 0
	v_mov_b32_e32 v7, 0
	v_cmp_eq_u32_e64 s[4:5], s4, v51
	s_and_saveexec_b64 s[10:11], s[4:5]
	s_cbranch_execz .LBB3_784
; %bb.779:
	v_mov_b32_e32 v2, 0
	global_load_dwordx2 v[11:12], v2, s[36:37] offset:24 glc
	s_waitcnt vmcnt(0)
	buffer_wbinvl1_vol
	global_load_dwordx2 v[6:7], v2, s[36:37] offset:40
	global_load_dwordx2 v[9:10], v2, s[36:37]
	s_waitcnt vmcnt(1)
	v_and_b32_e32 v3, v6, v11
	v_and_b32_e32 v6, v7, v12
	v_mul_lo_u32 v6, v6, 24
	v_mul_hi_u32 v7, v3, 24
	v_mul_lo_u32 v3, v3, 24
	v_add_u32_e32 v7, v7, v6
	s_waitcnt vmcnt(0)
	v_add_co_u32_e32 v6, vcc, v9, v3
	v_addc_co_u32_e32 v7, vcc, v10, v7, vcc
	global_load_dwordx2 v[9:10], v[6:7], off glc
	s_waitcnt vmcnt(0)
	global_atomic_cmpswap_x2 v[6:7], v2, v[9:12], s[36:37] offset:24 glc
	s_waitcnt vmcnt(0)
	buffer_wbinvl1_vol
	v_cmp_ne_u64_e32 vcc, v[6:7], v[11:12]
	s_and_saveexec_b64 s[16:17], vcc
	s_cbranch_execz .LBB3_783
; %bb.780:
	s_mov_b64 s[18:19], 0
.LBB3_781:                              ; =>This Inner Loop Header: Depth=1
	s_sleep 1
	global_load_dwordx2 v[9:10], v2, s[36:37] offset:40
	global_load_dwordx2 v[13:14], v2, s[36:37]
	v_mov_b32_e32 v12, v7
	v_mov_b32_e32 v11, v6
	s_waitcnt vmcnt(1)
	v_and_b32_e32 v3, v9, v11
	s_waitcnt vmcnt(0)
	v_mad_u64_u32 v[6:7], s[20:21], v3, 24, v[13:14]
	v_and_b32_e32 v9, v10, v12
	v_mov_b32_e32 v3, v7
	v_mad_u64_u32 v[9:10], s[20:21], v9, 24, v[3:4]
	v_mov_b32_e32 v7, v9
	global_load_dwordx2 v[9:10], v[6:7], off glc
	s_waitcnt vmcnt(0)
	global_atomic_cmpswap_x2 v[6:7], v2, v[9:12], s[36:37] offset:24 glc
	s_waitcnt vmcnt(0)
	buffer_wbinvl1_vol
	v_cmp_eq_u64_e32 vcc, v[6:7], v[11:12]
	s_or_b64 s[18:19], vcc, s[18:19]
	s_andn2_b64 exec, exec, s[18:19]
	s_cbranch_execnz .LBB3_781
; %bb.782:
	s_or_b64 exec, exec, s[18:19]
.LBB3_783:
	s_or_b64 exec, exec, s[16:17]
.LBB3_784:
	s_or_b64 exec, exec, s[10:11]
	v_mov_b32_e32 v2, 0
	global_load_dwordx2 v[13:14], v2, s[36:37] offset:40
	global_load_dwordx4 v[9:12], v2, s[36:37]
	v_readfirstlane_b32 s10, v6
	v_readfirstlane_b32 s11, v7
	s_mov_b64 s[16:17], exec
	s_waitcnt vmcnt(1)
	v_readfirstlane_b32 s18, v13
	v_readfirstlane_b32 s19, v14
	s_and_b64 s[18:19], s[10:11], s[18:19]
	s_mul_i32 s15, s19, 24
	s_mul_hi_u32 s20, s18, 24
	s_mul_i32 s21, s18, 24
	s_add_i32 s15, s20, s15
	v_mov_b32_e32 v3, s15
	s_waitcnt vmcnt(0)
	v_add_co_u32_e32 v6, vcc, s21, v9
	v_addc_co_u32_e32 v7, vcc, v10, v3, vcc
	s_and_saveexec_b64 s[20:21], s[4:5]
	s_cbranch_execz .LBB3_786
; %bb.785:
	v_mov_b32_e32 v13, s16
	v_mov_b32_e32 v14, s17
	;; [unrolled: 1-line block ×4, first 2 shown]
	global_store_dwordx4 v[6:7], v[13:16], off offset:8
.LBB3_786:
	s_or_b64 exec, exec, s[20:21]
	s_lshl_b64 s[16:17], s[18:19], 12
	v_mov_b32_e32 v3, s17
	v_add_co_u32_e32 v13, vcc, s16, v11
	v_addc_co_u32_e32 v14, vcc, v12, v3, vcc
	s_movk_i32 s15, 0xff1f
	v_and_or_b32 v0, v0, s15, 32
	s_mov_b32 s16, 0
	v_mov_b32_e32 v3, v2
	v_readfirstlane_b32 s20, v13
	v_readfirstlane_b32 s21, v14
	v_add_co_u32_e32 v11, vcc, v13, v50
	s_mov_b32 s17, s16
	s_mov_b32 s18, s16
	;; [unrolled: 1-line block ×3, first 2 shown]
	s_nop 0
	global_store_dwordx4 v50, v[0:3], s[20:21]
	v_addc_co_u32_e32 v12, vcc, 0, v14, vcc
	v_mov_b32_e32 v0, s16
	v_mov_b32_e32 v1, s17
	;; [unrolled: 1-line block ×4, first 2 shown]
	global_store_dwordx4 v50, v[0:3], s[20:21] offset:16
	global_store_dwordx4 v50, v[0:3], s[20:21] offset:32
	global_store_dwordx4 v50, v[0:3], s[20:21] offset:48
	s_and_saveexec_b64 s[16:17], s[4:5]
	s_cbranch_execz .LBB3_794
; %bb.787:
	v_mov_b32_e32 v13, 0
	global_load_dwordx2 v[16:17], v13, s[36:37] offset:32 glc
	global_load_dwordx2 v[0:1], v13, s[36:37] offset:40
	v_mov_b32_e32 v14, s10
	v_mov_b32_e32 v15, s11
	s_waitcnt vmcnt(0)
	v_readfirstlane_b32 s18, v0
	v_readfirstlane_b32 s19, v1
	s_and_b64 s[18:19], s[18:19], s[10:11]
	s_mul_i32 s15, s19, 24
	s_mul_hi_u32 s19, s18, 24
	s_mul_i32 s18, s18, 24
	s_add_i32 s15, s19, s15
	v_mov_b32_e32 v0, s15
	v_add_co_u32_e32 v9, vcc, s18, v9
	v_addc_co_u32_e32 v10, vcc, v10, v0, vcc
	global_store_dwordx2 v[9:10], v[16:17], off
	s_waitcnt vmcnt(0)
	global_atomic_cmpswap_x2 v[2:3], v13, v[14:17], s[36:37] offset:32 glc
	s_waitcnt vmcnt(0)
	v_cmp_ne_u64_e32 vcc, v[2:3], v[16:17]
	s_and_saveexec_b64 s[18:19], vcc
	s_cbranch_execz .LBB3_790
; %bb.788:
	s_mov_b64 s[20:21], 0
.LBB3_789:                              ; =>This Inner Loop Header: Depth=1
	s_sleep 1
	global_store_dwordx2 v[9:10], v[2:3], off
	v_mov_b32_e32 v0, s10
	v_mov_b32_e32 v1, s11
	s_waitcnt vmcnt(0)
	global_atomic_cmpswap_x2 v[0:1], v13, v[0:3], s[36:37] offset:32 glc
	s_waitcnt vmcnt(0)
	v_cmp_eq_u64_e32 vcc, v[0:1], v[2:3]
	v_mov_b32_e32 v3, v1
	s_or_b64 s[20:21], vcc, s[20:21]
	v_mov_b32_e32 v2, v0
	s_andn2_b64 exec, exec, s[20:21]
	s_cbranch_execnz .LBB3_789
.LBB3_790:
	s_or_b64 exec, exec, s[18:19]
	v_mov_b32_e32 v3, 0
	global_load_dwordx2 v[0:1], v3, s[36:37] offset:16
	s_mov_b64 s[18:19], exec
	v_mbcnt_lo_u32_b32 v2, s18, 0
	v_mbcnt_hi_u32_b32 v2, s19, v2
	v_cmp_eq_u32_e32 vcc, 0, v2
	s_and_saveexec_b64 s[20:21], vcc
	s_cbranch_execz .LBB3_792
; %bb.791:
	s_bcnt1_i32_b64 s15, s[18:19]
	v_mov_b32_e32 v2, s15
	s_waitcnt vmcnt(0)
	global_atomic_add_x2 v[0:1], v[2:3], off offset:8
.LBB3_792:
	s_or_b64 exec, exec, s[20:21]
	s_waitcnt vmcnt(0)
	global_load_dwordx2 v[2:3], v[0:1], off offset:16
	s_waitcnt vmcnt(0)
	v_cmp_eq_u64_e32 vcc, 0, v[2:3]
	s_cbranch_vccnz .LBB3_794
; %bb.793:
	global_load_dword v0, v[0:1], off offset:24
	v_mov_b32_e32 v1, 0
	s_waitcnt vmcnt(0)
	global_store_dwordx2 v[2:3], v[0:1], off
	v_and_b32_e32 v0, 0xffffff, v0
	v_readfirstlane_b32 m0, v0
	s_sendmsg sendmsg(MSG_INTERRUPT)
.LBB3_794:
	s_or_b64 exec, exec, s[16:17]
	s_branch .LBB3_798
.LBB3_795:                              ;   in Loop: Header=BB3_798 Depth=1
	s_or_b64 exec, exec, s[16:17]
	v_readfirstlane_b32 s15, v0
	s_cmp_eq_u32 s15, 0
	s_cbranch_scc1 .LBB3_797
; %bb.796:                              ;   in Loop: Header=BB3_798 Depth=1
	s_sleep 1
	s_cbranch_execnz .LBB3_798
	s_branch .LBB3_800
.LBB3_797:
	s_branch .LBB3_800
.LBB3_798:                              ; =>This Inner Loop Header: Depth=1
	v_mov_b32_e32 v0, 1
	s_and_saveexec_b64 s[16:17], s[4:5]
	s_cbranch_execz .LBB3_795
; %bb.799:                              ;   in Loop: Header=BB3_798 Depth=1
	global_load_dword v0, v[6:7], off offset:20 glc
	s_waitcnt vmcnt(0)
	buffer_wbinvl1_vol
	v_and_b32_e32 v0, 1, v0
	s_branch .LBB3_795
.LBB3_800:
	global_load_dwordx2 v[9:10], v[11:12], off
	s_and_saveexec_b64 s[16:17], s[4:5]
	s_cbranch_execz .LBB3_803
; %bb.801:
	v_mov_b32_e32 v11, 0
	global_load_dwordx2 v[2:3], v11, s[36:37] offset:40
	global_load_dwordx2 v[12:13], v11, s[36:37] offset:24 glc
	global_load_dwordx2 v[6:7], v11, s[36:37]
	v_mov_b32_e32 v1, s11
	s_mov_b64 s[4:5], 0
	s_waitcnt vmcnt(2)
	v_add_co_u32_e32 v14, vcc, 1, v2
	v_addc_co_u32_e32 v15, vcc, 0, v3, vcc
	v_add_co_u32_e32 v0, vcc, s10, v14
	v_addc_co_u32_e32 v1, vcc, v15, v1, vcc
	v_cmp_eq_u64_e32 vcc, 0, v[0:1]
	v_cndmask_b32_e32 v1, v1, v15, vcc
	v_cndmask_b32_e32 v0, v0, v14, vcc
	v_and_b32_e32 v3, v1, v3
	v_and_b32_e32 v2, v0, v2
	v_mul_lo_u32 v3, v3, 24
	v_mul_hi_u32 v14, v2, 24
	v_mul_lo_u32 v15, v2, 24
	s_waitcnt vmcnt(1)
	v_mov_b32_e32 v2, v12
	v_add_u32_e32 v3, v14, v3
	s_waitcnt vmcnt(0)
	v_add_co_u32_e32 v6, vcc, v6, v15
	v_addc_co_u32_e32 v7, vcc, v7, v3, vcc
	global_store_dwordx2 v[6:7], v[12:13], off
	v_mov_b32_e32 v3, v13
	s_waitcnt vmcnt(0)
	global_atomic_cmpswap_x2 v[2:3], v11, v[0:3], s[36:37] offset:24 glc
	s_waitcnt vmcnt(0)
	v_cmp_ne_u64_e32 vcc, v[2:3], v[12:13]
	s_and_b64 exec, exec, vcc
	s_cbranch_execz .LBB3_803
.LBB3_802:                              ; =>This Inner Loop Header: Depth=1
	s_sleep 1
	global_store_dwordx2 v[6:7], v[2:3], off
	s_waitcnt vmcnt(0)
	global_atomic_cmpswap_x2 v[12:13], v11, v[0:3], s[36:37] offset:24 glc
	s_waitcnt vmcnt(0)
	v_cmp_eq_u64_e32 vcc, v[12:13], v[2:3]
	v_mov_b32_e32 v2, v12
	s_or_b64 s[4:5], vcc, s[4:5]
	v_mov_b32_e32 v3, v13
	s_andn2_b64 exec, exec, s[4:5]
	s_cbranch_execnz .LBB3_802
.LBB3_803:
	s_or_b64 exec, exec, s[16:17]
.LBB3_804:
	v_readfirstlane_b32 s4, v51
	v_mov_b32_e32 v6, 0
	v_mov_b32_e32 v7, 0
	v_cmp_eq_u32_e64 s[4:5], s4, v51
	s_and_saveexec_b64 s[10:11], s[4:5]
	s_cbranch_execz .LBB3_810
; %bb.805:
	s_waitcnt vmcnt(0)
	v_mov_b32_e32 v0, 0
	global_load_dwordx2 v[13:14], v0, s[36:37] offset:24 glc
	s_waitcnt vmcnt(0)
	buffer_wbinvl1_vol
	global_load_dwordx2 v[1:2], v0, s[36:37] offset:40
	global_load_dwordx2 v[6:7], v0, s[36:37]
	s_waitcnt vmcnt(1)
	v_and_b32_e32 v1, v1, v13
	v_and_b32_e32 v2, v2, v14
	v_mul_lo_u32 v2, v2, 24
	v_mul_hi_u32 v3, v1, 24
	v_mul_lo_u32 v1, v1, 24
	v_add_u32_e32 v2, v3, v2
	s_waitcnt vmcnt(0)
	v_add_co_u32_e32 v1, vcc, v6, v1
	v_addc_co_u32_e32 v2, vcc, v7, v2, vcc
	global_load_dwordx2 v[11:12], v[1:2], off glc
	s_waitcnt vmcnt(0)
	global_atomic_cmpswap_x2 v[6:7], v0, v[11:14], s[36:37] offset:24 glc
	s_waitcnt vmcnt(0)
	buffer_wbinvl1_vol
	v_cmp_ne_u64_e32 vcc, v[6:7], v[13:14]
	s_and_saveexec_b64 s[16:17], vcc
	s_cbranch_execz .LBB3_809
; %bb.806:
	s_mov_b64 s[18:19], 0
.LBB3_807:                              ; =>This Inner Loop Header: Depth=1
	s_sleep 1
	global_load_dwordx2 v[1:2], v0, s[36:37] offset:40
	global_load_dwordx2 v[11:12], v0, s[36:37]
	v_mov_b32_e32 v14, v7
	v_mov_b32_e32 v13, v6
	s_waitcnt vmcnt(1)
	v_and_b32_e32 v1, v1, v13
	s_waitcnt vmcnt(0)
	v_mad_u64_u32 v[6:7], s[20:21], v1, 24, v[11:12]
	v_and_b32_e32 v2, v2, v14
	v_mov_b32_e32 v1, v7
	v_mad_u64_u32 v[1:2], s[20:21], v2, 24, v[1:2]
	v_mov_b32_e32 v7, v1
	global_load_dwordx2 v[11:12], v[6:7], off glc
	s_waitcnt vmcnt(0)
	global_atomic_cmpswap_x2 v[6:7], v0, v[11:14], s[36:37] offset:24 glc
	s_waitcnt vmcnt(0)
	buffer_wbinvl1_vol
	v_cmp_eq_u64_e32 vcc, v[6:7], v[13:14]
	s_or_b64 s[18:19], vcc, s[18:19]
	s_andn2_b64 exec, exec, s[18:19]
	s_cbranch_execnz .LBB3_807
; %bb.808:
	s_or_b64 exec, exec, s[18:19]
.LBB3_809:
	s_or_b64 exec, exec, s[16:17]
.LBB3_810:
	s_or_b64 exec, exec, s[10:11]
	s_waitcnt vmcnt(0)
	v_mov_b32_e32 v12, 0
	global_load_dwordx2 v[13:14], v12, s[36:37] offset:40
	global_load_dwordx4 v[0:3], v12, s[36:37]
	v_readfirstlane_b32 s10, v6
	v_readfirstlane_b32 s11, v7
	s_mov_b64 s[16:17], exec
	s_waitcnt vmcnt(1)
	v_readfirstlane_b32 s18, v13
	v_readfirstlane_b32 s19, v14
	s_and_b64 s[18:19], s[10:11], s[18:19]
	s_mul_i32 s15, s19, 24
	s_mul_hi_u32 s20, s18, 24
	s_mul_i32 s21, s18, 24
	s_add_i32 s15, s20, s15
	v_mov_b32_e32 v7, s15
	s_waitcnt vmcnt(0)
	v_add_co_u32_e32 v6, vcc, s21, v0
	v_addc_co_u32_e32 v7, vcc, v1, v7, vcc
	s_and_saveexec_b64 s[20:21], s[4:5]
	s_cbranch_execz .LBB3_812
; %bb.811:
	v_mov_b32_e32 v13, s16
	v_mov_b32_e32 v14, s17
	;; [unrolled: 1-line block ×4, first 2 shown]
	global_store_dwordx4 v[6:7], v[13:16], off offset:8
.LBB3_812:
	s_or_b64 exec, exec, s[20:21]
	s_lshl_b64 s[16:17], s[18:19], 12
	v_mov_b32_e32 v11, s17
	v_add_co_u32_e32 v2, vcc, s16, v2
	v_addc_co_u32_e32 v3, vcc, v3, v11, vcc
	s_movk_i32 s15, 0xff1d
	v_and_or_b32 v9, v9, s15, 34
	s_mov_b32 s16, 0
	v_mov_b32_e32 v11, 58
	v_readfirstlane_b32 s20, v2
	v_readfirstlane_b32 s21, v3
	s_mov_b32 s17, s16
	s_mov_b32 s18, s16
	;; [unrolled: 1-line block ×3, first 2 shown]
	s_nop 1
	global_store_dwordx4 v50, v[9:12], s[20:21]
	s_nop 0
	v_mov_b32_e32 v9, s16
	v_mov_b32_e32 v10, s17
	v_mov_b32_e32 v11, s18
	v_mov_b32_e32 v12, s19
	global_store_dwordx4 v50, v[9:12], s[20:21] offset:16
	global_store_dwordx4 v50, v[9:12], s[20:21] offset:32
	;; [unrolled: 1-line block ×3, first 2 shown]
	s_and_saveexec_b64 s[16:17], s[4:5]
	s_cbranch_execz .LBB3_820
; %bb.813:
	v_mov_b32_e32 v11, 0
	global_load_dwordx2 v[14:15], v11, s[36:37] offset:32 glc
	global_load_dwordx2 v[2:3], v11, s[36:37] offset:40
	v_mov_b32_e32 v12, s10
	v_mov_b32_e32 v13, s11
	s_waitcnt vmcnt(0)
	v_readfirstlane_b32 s18, v2
	v_readfirstlane_b32 s19, v3
	s_and_b64 s[18:19], s[18:19], s[10:11]
	s_mul_i32 s15, s19, 24
	s_mul_hi_u32 s19, s18, 24
	s_mul_i32 s18, s18, 24
	s_add_i32 s15, s19, s15
	v_mov_b32_e32 v2, s15
	v_add_co_u32_e32 v9, vcc, s18, v0
	v_addc_co_u32_e32 v10, vcc, v1, v2, vcc
	global_store_dwordx2 v[9:10], v[14:15], off
	s_waitcnt vmcnt(0)
	global_atomic_cmpswap_x2 v[2:3], v11, v[12:15], s[36:37] offset:32 glc
	s_waitcnt vmcnt(0)
	v_cmp_ne_u64_e32 vcc, v[2:3], v[14:15]
	s_and_saveexec_b64 s[18:19], vcc
	s_cbranch_execz .LBB3_816
; %bb.814:
	s_mov_b64 s[20:21], 0
.LBB3_815:                              ; =>This Inner Loop Header: Depth=1
	s_sleep 1
	global_store_dwordx2 v[9:10], v[2:3], off
	v_mov_b32_e32 v0, s10
	v_mov_b32_e32 v1, s11
	s_waitcnt vmcnt(0)
	global_atomic_cmpswap_x2 v[0:1], v11, v[0:3], s[36:37] offset:32 glc
	s_waitcnt vmcnt(0)
	v_cmp_eq_u64_e32 vcc, v[0:1], v[2:3]
	v_mov_b32_e32 v3, v1
	s_or_b64 s[20:21], vcc, s[20:21]
	v_mov_b32_e32 v2, v0
	s_andn2_b64 exec, exec, s[20:21]
	s_cbranch_execnz .LBB3_815
.LBB3_816:
	s_or_b64 exec, exec, s[18:19]
	v_mov_b32_e32 v3, 0
	global_load_dwordx2 v[0:1], v3, s[36:37] offset:16
	s_mov_b64 s[18:19], exec
	v_mbcnt_lo_u32_b32 v2, s18, 0
	v_mbcnt_hi_u32_b32 v2, s19, v2
	v_cmp_eq_u32_e32 vcc, 0, v2
	s_and_saveexec_b64 s[20:21], vcc
	s_cbranch_execz .LBB3_818
; %bb.817:
	s_bcnt1_i32_b64 s15, s[18:19]
	v_mov_b32_e32 v2, s15
	s_waitcnt vmcnt(0)
	global_atomic_add_x2 v[0:1], v[2:3], off offset:8
.LBB3_818:
	s_or_b64 exec, exec, s[20:21]
	s_waitcnt vmcnt(0)
	global_load_dwordx2 v[2:3], v[0:1], off offset:16
	s_waitcnt vmcnt(0)
	v_cmp_eq_u64_e32 vcc, 0, v[2:3]
	s_cbranch_vccnz .LBB3_820
; %bb.819:
	global_load_dword v0, v[0:1], off offset:24
	v_mov_b32_e32 v1, 0
	s_waitcnt vmcnt(0)
	global_store_dwordx2 v[2:3], v[0:1], off
	v_and_b32_e32 v0, 0xffffff, v0
	v_readfirstlane_b32 m0, v0
	s_sendmsg sendmsg(MSG_INTERRUPT)
.LBB3_820:
	s_or_b64 exec, exec, s[16:17]
	s_branch .LBB3_824
.LBB3_821:                              ;   in Loop: Header=BB3_824 Depth=1
	s_or_b64 exec, exec, s[16:17]
	v_readfirstlane_b32 s15, v0
	s_cmp_eq_u32 s15, 0
	s_cbranch_scc1 .LBB3_823
; %bb.822:                              ;   in Loop: Header=BB3_824 Depth=1
	s_sleep 1
	s_cbranch_execnz .LBB3_824
	s_branch .LBB3_826
.LBB3_823:
	s_branch .LBB3_826
.LBB3_824:                              ; =>This Inner Loop Header: Depth=1
	v_mov_b32_e32 v0, 1
	s_and_saveexec_b64 s[16:17], s[4:5]
	s_cbranch_execz .LBB3_821
; %bb.825:                              ;   in Loop: Header=BB3_824 Depth=1
	global_load_dword v0, v[6:7], off offset:20 glc
	s_waitcnt vmcnt(0)
	buffer_wbinvl1_vol
	v_and_b32_e32 v0, 1, v0
	s_branch .LBB3_821
.LBB3_826:
	s_and_saveexec_b64 s[16:17], s[4:5]
	s_cbranch_execz .LBB3_829
; %bb.827:
	v_mov_b32_e32 v9, 0
	global_load_dwordx2 v[2:3], v9, s[36:37] offset:40
	global_load_dwordx2 v[10:11], v9, s[36:37] offset:24 glc
	global_load_dwordx2 v[6:7], v9, s[36:37]
	v_mov_b32_e32 v1, s11
	s_mov_b64 s[4:5], 0
	s_waitcnt vmcnt(2)
	v_add_co_u32_e32 v12, vcc, 1, v2
	v_addc_co_u32_e32 v13, vcc, 0, v3, vcc
	v_add_co_u32_e32 v0, vcc, s10, v12
	v_addc_co_u32_e32 v1, vcc, v13, v1, vcc
	v_cmp_eq_u64_e32 vcc, 0, v[0:1]
	v_cndmask_b32_e32 v1, v1, v13, vcc
	v_cndmask_b32_e32 v0, v0, v12, vcc
	v_and_b32_e32 v3, v1, v3
	v_and_b32_e32 v2, v0, v2
	v_mul_lo_u32 v3, v3, 24
	v_mul_hi_u32 v12, v2, 24
	v_mul_lo_u32 v13, v2, 24
	s_waitcnt vmcnt(1)
	v_mov_b32_e32 v2, v10
	v_add_u32_e32 v3, v12, v3
	s_waitcnt vmcnt(0)
	v_add_co_u32_e32 v6, vcc, v6, v13
	v_addc_co_u32_e32 v7, vcc, v7, v3, vcc
	global_store_dwordx2 v[6:7], v[10:11], off
	v_mov_b32_e32 v3, v11
	s_waitcnt vmcnt(0)
	global_atomic_cmpswap_x2 v[2:3], v9, v[0:3], s[36:37] offset:24 glc
	s_waitcnt vmcnt(0)
	v_cmp_ne_u64_e32 vcc, v[2:3], v[10:11]
	s_and_b64 exec, exec, vcc
	s_cbranch_execz .LBB3_829
.LBB3_828:                              ; =>This Inner Loop Header: Depth=1
	s_sleep 1
	global_store_dwordx2 v[6:7], v[2:3], off
	s_waitcnt vmcnt(0)
	global_atomic_cmpswap_x2 v[10:11], v9, v[0:3], s[36:37] offset:24 glc
	s_waitcnt vmcnt(0)
	v_cmp_eq_u64_e32 vcc, v[10:11], v[2:3]
	v_mov_b32_e32 v2, v10
	s_or_b64 s[4:5], vcc, s[4:5]
	v_mov_b32_e32 v3, v11
	s_andn2_b64 exec, exec, s[4:5]
	s_cbranch_execnz .LBB3_828
.LBB3_829:
	s_or_b64 exec, exec, s[16:17]
	v_readfirstlane_b32 s4, v51
	v_mov_b32_e32 v6, 0
	v_mov_b32_e32 v7, 0
	v_cmp_eq_u32_e64 s[4:5], s4, v51
	s_and_saveexec_b64 s[10:11], s[4:5]
	s_cbranch_execz .LBB3_835
; %bb.830:
	v_mov_b32_e32 v0, 0
	global_load_dwordx2 v[11:12], v0, s[36:37] offset:24 glc
	s_waitcnt vmcnt(0)
	buffer_wbinvl1_vol
	global_load_dwordx2 v[1:2], v0, s[36:37] offset:40
	global_load_dwordx2 v[6:7], v0, s[36:37]
	s_waitcnt vmcnt(1)
	v_and_b32_e32 v1, v1, v11
	v_and_b32_e32 v2, v2, v12
	v_mul_lo_u32 v2, v2, 24
	v_mul_hi_u32 v3, v1, 24
	v_mul_lo_u32 v1, v1, 24
	v_add_u32_e32 v2, v3, v2
	s_waitcnt vmcnt(0)
	v_add_co_u32_e32 v1, vcc, v6, v1
	v_addc_co_u32_e32 v2, vcc, v7, v2, vcc
	global_load_dwordx2 v[9:10], v[1:2], off glc
	s_waitcnt vmcnt(0)
	global_atomic_cmpswap_x2 v[6:7], v0, v[9:12], s[36:37] offset:24 glc
	s_waitcnt vmcnt(0)
	buffer_wbinvl1_vol
	v_cmp_ne_u64_e32 vcc, v[6:7], v[11:12]
	s_and_saveexec_b64 s[16:17], vcc
	s_cbranch_execz .LBB3_834
; %bb.831:
	s_mov_b64 s[18:19], 0
.LBB3_832:                              ; =>This Inner Loop Header: Depth=1
	s_sleep 1
	global_load_dwordx2 v[1:2], v0, s[36:37] offset:40
	global_load_dwordx2 v[9:10], v0, s[36:37]
	v_mov_b32_e32 v12, v7
	v_mov_b32_e32 v11, v6
	s_waitcnt vmcnt(1)
	v_and_b32_e32 v1, v1, v11
	s_waitcnt vmcnt(0)
	v_mad_u64_u32 v[6:7], s[20:21], v1, 24, v[9:10]
	v_and_b32_e32 v2, v2, v12
	v_mov_b32_e32 v1, v7
	v_mad_u64_u32 v[1:2], s[20:21], v2, 24, v[1:2]
	v_mov_b32_e32 v7, v1
	global_load_dwordx2 v[9:10], v[6:7], off glc
	s_waitcnt vmcnt(0)
	global_atomic_cmpswap_x2 v[6:7], v0, v[9:12], s[36:37] offset:24 glc
	s_waitcnt vmcnt(0)
	buffer_wbinvl1_vol
	v_cmp_eq_u64_e32 vcc, v[6:7], v[11:12]
	s_or_b64 s[18:19], vcc, s[18:19]
	s_andn2_b64 exec, exec, s[18:19]
	s_cbranch_execnz .LBB3_832
; %bb.833:
	s_or_b64 exec, exec, s[18:19]
.LBB3_834:
	s_or_b64 exec, exec, s[16:17]
.LBB3_835:
	s_or_b64 exec, exec, s[10:11]
	v_mov_b32_e32 v10, 0
	global_load_dwordx2 v[11:12], v10, s[36:37] offset:40
	global_load_dwordx4 v[0:3], v10, s[36:37]
	v_readfirstlane_b32 s10, v6
	v_readfirstlane_b32 s11, v7
	s_mov_b64 s[16:17], exec
	s_waitcnt vmcnt(1)
	v_readfirstlane_b32 s18, v11
	v_readfirstlane_b32 s19, v12
	s_and_b64 s[18:19], s[10:11], s[18:19]
	s_mul_i32 s15, s19, 24
	s_mul_hi_u32 s20, s18, 24
	s_mul_i32 s21, s18, 24
	s_add_i32 s15, s20, s15
	v_mov_b32_e32 v7, s15
	s_waitcnt vmcnt(0)
	v_add_co_u32_e32 v6, vcc, s21, v0
	v_addc_co_u32_e32 v7, vcc, v1, v7, vcc
	s_and_saveexec_b64 s[20:21], s[4:5]
	s_cbranch_execz .LBB3_837
; %bb.836:
	v_mov_b32_e32 v11, s16
	v_mov_b32_e32 v12, s17
	;; [unrolled: 1-line block ×4, first 2 shown]
	global_store_dwordx4 v[6:7], v[11:14], off offset:8
.LBB3_837:
	s_or_b64 exec, exec, s[20:21]
	s_lshl_b64 s[16:17], s[18:19], 12
	v_mov_b32_e32 v9, s17
	v_add_co_u32_e32 v2, vcc, s16, v2
	v_addc_co_u32_e32 v3, vcc, v3, v9, vcc
	s_mov_b32 s16, 0
	v_mov_b32_e32 v9, 33
	v_mov_b32_e32 v11, v10
	;; [unrolled: 1-line block ×3, first 2 shown]
	v_readfirstlane_b32 s20, v2
	v_readfirstlane_b32 s21, v3
	v_add_co_u32_e32 v13, vcc, v2, v50
	s_mov_b32 s17, s16
	s_mov_b32 s18, s16
	;; [unrolled: 1-line block ×3, first 2 shown]
	s_nop 0
	global_store_dwordx4 v50, v[9:12], s[20:21]
	v_addc_co_u32_e32 v14, vcc, 0, v3, vcc
	v_mov_b32_e32 v9, s16
	v_mov_b32_e32 v10, s17
	;; [unrolled: 1-line block ×4, first 2 shown]
	global_store_dwordx4 v50, v[9:12], s[20:21] offset:16
	global_store_dwordx4 v50, v[9:12], s[20:21] offset:32
	;; [unrolled: 1-line block ×3, first 2 shown]
	s_and_saveexec_b64 s[16:17], s[4:5]
	s_cbranch_execz .LBB3_845
; %bb.838:
	v_mov_b32_e32 v11, 0
	global_load_dwordx2 v[17:18], v11, s[36:37] offset:32 glc
	global_load_dwordx2 v[2:3], v11, s[36:37] offset:40
	v_mov_b32_e32 v15, s10
	v_mov_b32_e32 v16, s11
	s_waitcnt vmcnt(0)
	v_readfirstlane_b32 s18, v2
	v_readfirstlane_b32 s19, v3
	s_and_b64 s[18:19], s[18:19], s[10:11]
	s_mul_i32 s15, s19, 24
	s_mul_hi_u32 s19, s18, 24
	s_mul_i32 s18, s18, 24
	s_add_i32 s15, s19, s15
	v_mov_b32_e32 v2, s15
	v_add_co_u32_e32 v9, vcc, s18, v0
	v_addc_co_u32_e32 v10, vcc, v1, v2, vcc
	global_store_dwordx2 v[9:10], v[17:18], off
	s_waitcnt vmcnt(0)
	global_atomic_cmpswap_x2 v[2:3], v11, v[15:18], s[36:37] offset:32 glc
	s_waitcnt vmcnt(0)
	v_cmp_ne_u64_e32 vcc, v[2:3], v[17:18]
	s_and_saveexec_b64 s[18:19], vcc
	s_cbranch_execz .LBB3_841
; %bb.839:
	s_mov_b64 s[20:21], 0
.LBB3_840:                              ; =>This Inner Loop Header: Depth=1
	s_sleep 1
	global_store_dwordx2 v[9:10], v[2:3], off
	v_mov_b32_e32 v0, s10
	v_mov_b32_e32 v1, s11
	s_waitcnt vmcnt(0)
	global_atomic_cmpswap_x2 v[0:1], v11, v[0:3], s[36:37] offset:32 glc
	s_waitcnt vmcnt(0)
	v_cmp_eq_u64_e32 vcc, v[0:1], v[2:3]
	v_mov_b32_e32 v3, v1
	s_or_b64 s[20:21], vcc, s[20:21]
	v_mov_b32_e32 v2, v0
	s_andn2_b64 exec, exec, s[20:21]
	s_cbranch_execnz .LBB3_840
.LBB3_841:
	s_or_b64 exec, exec, s[18:19]
	v_mov_b32_e32 v3, 0
	global_load_dwordx2 v[0:1], v3, s[36:37] offset:16
	s_mov_b64 s[18:19], exec
	v_mbcnt_lo_u32_b32 v2, s18, 0
	v_mbcnt_hi_u32_b32 v2, s19, v2
	v_cmp_eq_u32_e32 vcc, 0, v2
	s_and_saveexec_b64 s[20:21], vcc
	s_cbranch_execz .LBB3_843
; %bb.842:
	s_bcnt1_i32_b64 s15, s[18:19]
	v_mov_b32_e32 v2, s15
	s_waitcnt vmcnt(0)
	global_atomic_add_x2 v[0:1], v[2:3], off offset:8
.LBB3_843:
	s_or_b64 exec, exec, s[20:21]
	s_waitcnt vmcnt(0)
	global_load_dwordx2 v[2:3], v[0:1], off offset:16
	s_waitcnt vmcnt(0)
	v_cmp_eq_u64_e32 vcc, 0, v[2:3]
	s_cbranch_vccnz .LBB3_845
; %bb.844:
	global_load_dword v0, v[0:1], off offset:24
	v_mov_b32_e32 v1, 0
	s_waitcnt vmcnt(0)
	global_store_dwordx2 v[2:3], v[0:1], off
	v_and_b32_e32 v0, 0xffffff, v0
	v_readfirstlane_b32 m0, v0
	s_sendmsg sendmsg(MSG_INTERRUPT)
.LBB3_845:
	s_or_b64 exec, exec, s[16:17]
	s_branch .LBB3_849
.LBB3_846:                              ;   in Loop: Header=BB3_849 Depth=1
	s_or_b64 exec, exec, s[16:17]
	v_readfirstlane_b32 s15, v0
	s_cmp_eq_u32 s15, 0
	s_cbranch_scc1 .LBB3_848
; %bb.847:                              ;   in Loop: Header=BB3_849 Depth=1
	s_sleep 1
	s_cbranch_execnz .LBB3_849
	s_branch .LBB3_851
.LBB3_848:
	s_branch .LBB3_851
.LBB3_849:                              ; =>This Inner Loop Header: Depth=1
	v_mov_b32_e32 v0, 1
	s_and_saveexec_b64 s[16:17], s[4:5]
	s_cbranch_execz .LBB3_846
; %bb.850:                              ;   in Loop: Header=BB3_849 Depth=1
	global_load_dword v0, v[6:7], off offset:20 glc
	s_waitcnt vmcnt(0)
	buffer_wbinvl1_vol
	v_and_b32_e32 v0, 1, v0
	s_branch .LBB3_846
.LBB3_851:
	global_load_dwordx2 v[0:1], v[13:14], off
	s_and_saveexec_b64 s[16:17], s[4:5]
	s_cbranch_execz .LBB3_854
; %bb.852:
	v_mov_b32_e32 v6, 0
	global_load_dwordx2 v[2:3], v6, s[36:37] offset:40
	global_load_dwordx2 v[13:14], v6, s[36:37] offset:24 glc
	global_load_dwordx2 v[15:16], v6, s[36:37]
	v_mov_b32_e32 v7, s11
	s_mov_b64 s[4:5], 0
	s_waitcnt vmcnt(2)
	v_add_co_u32_e32 v11, vcc, 1, v2
	v_addc_co_u32_e32 v12, vcc, 0, v3, vcc
	v_add_co_u32_e32 v9, vcc, s10, v11
	v_addc_co_u32_e32 v10, vcc, v12, v7, vcc
	v_cmp_eq_u64_e32 vcc, 0, v[9:10]
	v_cndmask_b32_e32 v10, v10, v12, vcc
	v_cndmask_b32_e32 v9, v9, v11, vcc
	v_and_b32_e32 v3, v10, v3
	v_and_b32_e32 v2, v9, v2
	v_mul_lo_u32 v3, v3, 24
	v_mul_hi_u32 v7, v2, 24
	v_mul_lo_u32 v2, v2, 24
	s_waitcnt vmcnt(1)
	v_mov_b32_e32 v11, v13
	v_mov_b32_e32 v12, v14
	v_add_u32_e32 v3, v7, v3
	s_waitcnt vmcnt(0)
	v_add_co_u32_e32 v2, vcc, v15, v2
	v_addc_co_u32_e32 v3, vcc, v16, v3, vcc
	global_store_dwordx2 v[2:3], v[13:14], off
	s_waitcnt vmcnt(0)
	global_atomic_cmpswap_x2 v[11:12], v6, v[9:12], s[36:37] offset:24 glc
	s_waitcnt vmcnt(0)
	v_cmp_ne_u64_e32 vcc, v[11:12], v[13:14]
	s_and_b64 exec, exec, vcc
	s_cbranch_execz .LBB3_854
.LBB3_853:                              ; =>This Inner Loop Header: Depth=1
	s_sleep 1
	global_store_dwordx2 v[2:3], v[11:12], off
	s_waitcnt vmcnt(0)
	global_atomic_cmpswap_x2 v[13:14], v6, v[9:12], s[36:37] offset:24 glc
	s_waitcnt vmcnt(0)
	v_cmp_eq_u64_e32 vcc, v[13:14], v[11:12]
	v_mov_b32_e32 v11, v13
	s_or_b64 s[4:5], vcc, s[4:5]
	v_mov_b32_e32 v12, v14
	s_andn2_b64 exec, exec, s[4:5]
	s_cbranch_execnz .LBB3_853
.LBB3_854:
	s_or_b64 exec, exec, s[16:17]
	s_getpc_b64 s[10:11]
	s_add_u32 s10, s10, .str.9@rel32@lo+4
	s_addc_u32 s11, s11, .str.9@rel32@hi+12
	s_cmp_lg_u64 s[10:11], 0
	s_cbranch_scc0 .LBB3_939
; %bb.855:
	s_waitcnt vmcnt(0)
	v_and_b32_e32 v35, 2, v0
	v_mov_b32_e32 v3, 0
	v_and_b32_e32 v9, -3, v0
	v_mov_b32_e32 v10, v1
	s_mov_b64 s[16:17], 4
	v_mov_b32_e32 v13, 2
	v_mov_b32_e32 v14, 1
	s_branch .LBB3_857
.LBB3_856:                              ;   in Loop: Header=BB3_857 Depth=1
	s_or_b64 exec, exec, s[22:23]
	s_sub_u32 s16, s16, s18
	s_subb_u32 s17, s17, s19
	s_add_u32 s10, s10, s18
	s_addc_u32 s11, s11, s19
	s_cmp_lg_u64 s[16:17], 0
	s_cbranch_scc0 .LBB3_938
.LBB3_857:                              ; =>This Loop Header: Depth=1
                                        ;     Child Loop BB3_860 Depth 2
                                        ;     Child Loop BB3_867 Depth 2
	;; [unrolled: 1-line block ×11, first 2 shown]
	v_cmp_lt_u64_e64 s[4:5], s[16:17], 56
	v_cmp_gt_u64_e64 s[20:21], s[16:17], 7
	s_and_b64 s[4:5], s[4:5], exec
	s_cselect_b32 s19, s17, 0
	s_cselect_b32 s18, s16, 56
	s_and_b64 vcc, exec, s[20:21]
	s_cbranch_vccnz .LBB3_862
; %bb.858:                              ;   in Loop: Header=BB3_857 Depth=1
	v_mov_b32_e32 v17, 0
	s_cmp_eq_u64 s[16:17], 0
	v_mov_b32_e32 v18, 0
	s_mov_b64 s[4:5], 0
	s_cbranch_scc1 .LBB3_861
; %bb.859:                              ;   in Loop: Header=BB3_857 Depth=1
	v_mov_b32_e32 v17, 0
	s_lshl_b64 s[20:21], s[18:19], 3
	s_mov_b64 s[22:23], 0
	v_mov_b32_e32 v18, 0
	s_mov_b64 s[24:25], s[10:11]
.LBB3_860:                              ;   Parent Loop BB3_857 Depth=1
                                        ; =>  This Inner Loop Header: Depth=2
	global_load_ubyte v2, v3, s[24:25]
	s_waitcnt vmcnt(0)
	v_and_b32_e32 v2, 0xffff, v2
	v_lshlrev_b64 v[6:7], s22, v[2:3]
	s_add_u32 s22, s22, 8
	s_addc_u32 s23, s23, 0
	s_add_u32 s24, s24, 1
	s_addc_u32 s25, s25, 0
	v_or_b32_e32 v17, v6, v17
	s_cmp_lg_u32 s20, s22
	v_or_b32_e32 v18, v7, v18
	s_cbranch_scc1 .LBB3_860
.LBB3_861:                              ;   in Loop: Header=BB3_857 Depth=1
	s_mov_b32 s15, 0
	s_andn2_b64 vcc, exec, s[4:5]
	s_mov_b64 s[4:5], s[10:11]
	s_cbranch_vccz .LBB3_863
	s_branch .LBB3_864
.LBB3_862:                              ;   in Loop: Header=BB3_857 Depth=1
                                        ; implicit-def: $vgpr17_vgpr18
                                        ; implicit-def: $sgpr15
	s_mov_b64 s[4:5], s[10:11]
.LBB3_863:                              ;   in Loop: Header=BB3_857 Depth=1
	global_load_dwordx2 v[17:18], v3, s[10:11]
	s_add_i32 s15, s18, -8
	s_add_u32 s4, s10, 8
	s_addc_u32 s5, s11, 0
.LBB3_864:                              ;   in Loop: Header=BB3_857 Depth=1
	s_cmp_gt_u32 s15, 7
	s_cbranch_scc1 .LBB3_868
; %bb.865:                              ;   in Loop: Header=BB3_857 Depth=1
	s_cmp_eq_u32 s15, 0
	s_cbranch_scc1 .LBB3_869
; %bb.866:                              ;   in Loop: Header=BB3_857 Depth=1
	v_mov_b32_e32 v19, 0
	s_mov_b64 s[20:21], 0
	v_mov_b32_e32 v20, 0
	s_mov_b64 s[22:23], 0
.LBB3_867:                              ;   Parent Loop BB3_857 Depth=1
                                        ; =>  This Inner Loop Header: Depth=2
	s_add_u32 s24, s4, s22
	s_addc_u32 s25, s5, s23
	global_load_ubyte v2, v3, s[24:25]
	s_add_u32 s22, s22, 1
	s_addc_u32 s23, s23, 0
	s_waitcnt vmcnt(0)
	v_and_b32_e32 v2, 0xffff, v2
	v_lshlrev_b64 v[6:7], s20, v[2:3]
	s_add_u32 s20, s20, 8
	s_addc_u32 s21, s21, 0
	v_or_b32_e32 v19, v6, v19
	s_cmp_lg_u32 s15, s22
	v_or_b32_e32 v20, v7, v20
	s_cbranch_scc1 .LBB3_867
	s_branch .LBB3_870
.LBB3_868:                              ;   in Loop: Header=BB3_857 Depth=1
                                        ; implicit-def: $vgpr19_vgpr20
                                        ; implicit-def: $sgpr24
	s_branch .LBB3_871
.LBB3_869:                              ;   in Loop: Header=BB3_857 Depth=1
	v_mov_b32_e32 v19, 0
	v_mov_b32_e32 v20, 0
.LBB3_870:                              ;   in Loop: Header=BB3_857 Depth=1
	s_mov_b32 s24, 0
	s_cbranch_execnz .LBB3_872
.LBB3_871:                              ;   in Loop: Header=BB3_857 Depth=1
	global_load_dwordx2 v[19:20], v3, s[4:5]
	s_add_i32 s24, s15, -8
	s_add_u32 s4, s4, 8
	s_addc_u32 s5, s5, 0
.LBB3_872:                              ;   in Loop: Header=BB3_857 Depth=1
	s_cmp_gt_u32 s24, 7
	s_cbranch_scc1 .LBB3_876
; %bb.873:                              ;   in Loop: Header=BB3_857 Depth=1
	s_cmp_eq_u32 s24, 0
	s_cbranch_scc1 .LBB3_877
; %bb.874:                              ;   in Loop: Header=BB3_857 Depth=1
	v_mov_b32_e32 v21, 0
	s_mov_b64 s[20:21], 0
	v_mov_b32_e32 v22, 0
	s_mov_b64 s[22:23], 0
.LBB3_875:                              ;   Parent Loop BB3_857 Depth=1
                                        ; =>  This Inner Loop Header: Depth=2
	s_add_u32 s26, s4, s22
	s_addc_u32 s27, s5, s23
	global_load_ubyte v2, v3, s[26:27]
	s_add_u32 s22, s22, 1
	s_addc_u32 s23, s23, 0
	s_waitcnt vmcnt(0)
	v_and_b32_e32 v2, 0xffff, v2
	v_lshlrev_b64 v[6:7], s20, v[2:3]
	s_add_u32 s20, s20, 8
	s_addc_u32 s21, s21, 0
	v_or_b32_e32 v21, v6, v21
	s_cmp_lg_u32 s24, s22
	v_or_b32_e32 v22, v7, v22
	s_cbranch_scc1 .LBB3_875
	s_branch .LBB3_878
.LBB3_876:                              ;   in Loop: Header=BB3_857 Depth=1
                                        ; implicit-def: $sgpr15
	s_branch .LBB3_879
.LBB3_877:                              ;   in Loop: Header=BB3_857 Depth=1
	v_mov_b32_e32 v21, 0
	v_mov_b32_e32 v22, 0
.LBB3_878:                              ;   in Loop: Header=BB3_857 Depth=1
	s_mov_b32 s15, 0
	s_cbranch_execnz .LBB3_880
.LBB3_879:                              ;   in Loop: Header=BB3_857 Depth=1
	global_load_dwordx2 v[21:22], v3, s[4:5]
	s_add_i32 s15, s24, -8
	s_add_u32 s4, s4, 8
	s_addc_u32 s5, s5, 0
.LBB3_880:                              ;   in Loop: Header=BB3_857 Depth=1
	s_cmp_gt_u32 s15, 7
	s_cbranch_scc1 .LBB3_884
; %bb.881:                              ;   in Loop: Header=BB3_857 Depth=1
	s_cmp_eq_u32 s15, 0
	s_cbranch_scc1 .LBB3_885
; %bb.882:                              ;   in Loop: Header=BB3_857 Depth=1
	v_mov_b32_e32 v23, 0
	s_mov_b64 s[20:21], 0
	v_mov_b32_e32 v24, 0
	s_mov_b64 s[22:23], 0
.LBB3_883:                              ;   Parent Loop BB3_857 Depth=1
                                        ; =>  This Inner Loop Header: Depth=2
	s_add_u32 s24, s4, s22
	s_addc_u32 s25, s5, s23
	global_load_ubyte v2, v3, s[24:25]
	s_add_u32 s22, s22, 1
	s_addc_u32 s23, s23, 0
	s_waitcnt vmcnt(0)
	v_and_b32_e32 v2, 0xffff, v2
	v_lshlrev_b64 v[6:7], s20, v[2:3]
	s_add_u32 s20, s20, 8
	s_addc_u32 s21, s21, 0
	v_or_b32_e32 v23, v6, v23
	s_cmp_lg_u32 s15, s22
	v_or_b32_e32 v24, v7, v24
	s_cbranch_scc1 .LBB3_883
	s_branch .LBB3_886
.LBB3_884:                              ;   in Loop: Header=BB3_857 Depth=1
                                        ; implicit-def: $vgpr23_vgpr24
                                        ; implicit-def: $sgpr24
	s_branch .LBB3_887
.LBB3_885:                              ;   in Loop: Header=BB3_857 Depth=1
	v_mov_b32_e32 v23, 0
	v_mov_b32_e32 v24, 0
.LBB3_886:                              ;   in Loop: Header=BB3_857 Depth=1
	s_mov_b32 s24, 0
	s_cbranch_execnz .LBB3_888
.LBB3_887:                              ;   in Loop: Header=BB3_857 Depth=1
	global_load_dwordx2 v[23:24], v3, s[4:5]
	s_add_i32 s24, s15, -8
	s_add_u32 s4, s4, 8
	s_addc_u32 s5, s5, 0
.LBB3_888:                              ;   in Loop: Header=BB3_857 Depth=1
	s_cmp_gt_u32 s24, 7
	s_cbranch_scc1 .LBB3_892
; %bb.889:                              ;   in Loop: Header=BB3_857 Depth=1
	s_cmp_eq_u32 s24, 0
	s_cbranch_scc1 .LBB3_893
; %bb.890:                              ;   in Loop: Header=BB3_857 Depth=1
	v_mov_b32_e32 v25, 0
	s_mov_b64 s[20:21], 0
	v_mov_b32_e32 v26, 0
	s_mov_b64 s[22:23], 0
.LBB3_891:                              ;   Parent Loop BB3_857 Depth=1
                                        ; =>  This Inner Loop Header: Depth=2
	s_add_u32 s26, s4, s22
	s_addc_u32 s27, s5, s23
	global_load_ubyte v2, v3, s[26:27]
	s_add_u32 s22, s22, 1
	s_addc_u32 s23, s23, 0
	s_waitcnt vmcnt(0)
	v_and_b32_e32 v2, 0xffff, v2
	v_lshlrev_b64 v[6:7], s20, v[2:3]
	s_add_u32 s20, s20, 8
	s_addc_u32 s21, s21, 0
	v_or_b32_e32 v25, v6, v25
	s_cmp_lg_u32 s24, s22
	v_or_b32_e32 v26, v7, v26
	s_cbranch_scc1 .LBB3_891
	s_branch .LBB3_894
.LBB3_892:                              ;   in Loop: Header=BB3_857 Depth=1
                                        ; implicit-def: $sgpr15
	s_branch .LBB3_895
.LBB3_893:                              ;   in Loop: Header=BB3_857 Depth=1
	v_mov_b32_e32 v25, 0
	v_mov_b32_e32 v26, 0
.LBB3_894:                              ;   in Loop: Header=BB3_857 Depth=1
	s_mov_b32 s15, 0
	s_cbranch_execnz .LBB3_896
.LBB3_895:                              ;   in Loop: Header=BB3_857 Depth=1
	global_load_dwordx2 v[25:26], v3, s[4:5]
	s_add_i32 s15, s24, -8
	s_add_u32 s4, s4, 8
	s_addc_u32 s5, s5, 0
.LBB3_896:                              ;   in Loop: Header=BB3_857 Depth=1
	s_cmp_gt_u32 s15, 7
	s_cbranch_scc1 .LBB3_900
; %bb.897:                              ;   in Loop: Header=BB3_857 Depth=1
	s_cmp_eq_u32 s15, 0
	s_cbranch_scc1 .LBB3_901
; %bb.898:                              ;   in Loop: Header=BB3_857 Depth=1
	v_mov_b32_e32 v27, 0
	s_mov_b64 s[20:21], 0
	v_mov_b32_e32 v28, 0
	s_mov_b64 s[22:23], 0
.LBB3_899:                              ;   Parent Loop BB3_857 Depth=1
                                        ; =>  This Inner Loop Header: Depth=2
	s_add_u32 s24, s4, s22
	s_addc_u32 s25, s5, s23
	global_load_ubyte v2, v3, s[24:25]
	s_add_u32 s22, s22, 1
	s_addc_u32 s23, s23, 0
	s_waitcnt vmcnt(0)
	v_and_b32_e32 v2, 0xffff, v2
	v_lshlrev_b64 v[6:7], s20, v[2:3]
	s_add_u32 s20, s20, 8
	s_addc_u32 s21, s21, 0
	v_or_b32_e32 v27, v6, v27
	s_cmp_lg_u32 s15, s22
	v_or_b32_e32 v28, v7, v28
	s_cbranch_scc1 .LBB3_899
	s_branch .LBB3_902
.LBB3_900:                              ;   in Loop: Header=BB3_857 Depth=1
                                        ; implicit-def: $vgpr27_vgpr28
                                        ; implicit-def: $sgpr24
	s_branch .LBB3_903
.LBB3_901:                              ;   in Loop: Header=BB3_857 Depth=1
	v_mov_b32_e32 v27, 0
	v_mov_b32_e32 v28, 0
.LBB3_902:                              ;   in Loop: Header=BB3_857 Depth=1
	s_mov_b32 s24, 0
	s_cbranch_execnz .LBB3_904
.LBB3_903:                              ;   in Loop: Header=BB3_857 Depth=1
	global_load_dwordx2 v[27:28], v3, s[4:5]
	s_add_i32 s24, s15, -8
	s_add_u32 s4, s4, 8
	s_addc_u32 s5, s5, 0
.LBB3_904:                              ;   in Loop: Header=BB3_857 Depth=1
	s_cmp_gt_u32 s24, 7
	s_cbranch_scc1 .LBB3_908
; %bb.905:                              ;   in Loop: Header=BB3_857 Depth=1
	s_cmp_eq_u32 s24, 0
	s_cbranch_scc1 .LBB3_909
; %bb.906:                              ;   in Loop: Header=BB3_857 Depth=1
	v_mov_b32_e32 v29, 0
	s_mov_b64 s[20:21], 0
	v_mov_b32_e32 v30, 0
	s_mov_b64 s[22:23], s[4:5]
.LBB3_907:                              ;   Parent Loop BB3_857 Depth=1
                                        ; =>  This Inner Loop Header: Depth=2
	global_load_ubyte v2, v3, s[22:23]
	s_add_i32 s24, s24, -1
	s_waitcnt vmcnt(0)
	v_and_b32_e32 v2, 0xffff, v2
	v_lshlrev_b64 v[6:7], s20, v[2:3]
	s_add_u32 s20, s20, 8
	s_addc_u32 s21, s21, 0
	s_add_u32 s22, s22, 1
	s_addc_u32 s23, s23, 0
	v_or_b32_e32 v29, v6, v29
	s_cmp_lg_u32 s24, 0
	v_or_b32_e32 v30, v7, v30
	s_cbranch_scc1 .LBB3_907
	s_branch .LBB3_910
.LBB3_908:                              ;   in Loop: Header=BB3_857 Depth=1
	s_branch .LBB3_911
.LBB3_909:                              ;   in Loop: Header=BB3_857 Depth=1
	v_mov_b32_e32 v29, 0
	v_mov_b32_e32 v30, 0
.LBB3_910:                              ;   in Loop: Header=BB3_857 Depth=1
	s_cbranch_execnz .LBB3_912
.LBB3_911:                              ;   in Loop: Header=BB3_857 Depth=1
	global_load_dwordx2 v[29:30], v3, s[4:5]
.LBB3_912:                              ;   in Loop: Header=BB3_857 Depth=1
	v_readfirstlane_b32 s4, v51
	v_mov_b32_e32 v6, 0
	v_mov_b32_e32 v7, 0
	v_cmp_eq_u32_e64 s[4:5], s4, v51
	s_and_saveexec_b64 s[20:21], s[4:5]
	s_cbranch_execz .LBB3_918
; %bb.913:                              ;   in Loop: Header=BB3_857 Depth=1
	global_load_dwordx2 v[33:34], v3, s[36:37] offset:24 glc
	s_waitcnt vmcnt(0)
	buffer_wbinvl1_vol
	global_load_dwordx2 v[6:7], v3, s[36:37] offset:40
	global_load_dwordx2 v[11:12], v3, s[36:37]
	s_waitcnt vmcnt(1)
	v_and_b32_e32 v2, v6, v33
	v_and_b32_e32 v6, v7, v34
	v_mul_lo_u32 v6, v6, 24
	v_mul_hi_u32 v7, v2, 24
	v_mul_lo_u32 v2, v2, 24
	v_add_u32_e32 v7, v7, v6
	s_waitcnt vmcnt(0)
	v_add_co_u32_e32 v6, vcc, v11, v2
	v_addc_co_u32_e32 v7, vcc, v12, v7, vcc
	global_load_dwordx2 v[31:32], v[6:7], off glc
	s_waitcnt vmcnt(0)
	global_atomic_cmpswap_x2 v[6:7], v3, v[31:34], s[36:37] offset:24 glc
	s_waitcnt vmcnt(0)
	buffer_wbinvl1_vol
	v_cmp_ne_u64_e32 vcc, v[6:7], v[33:34]
	s_and_saveexec_b64 s[22:23], vcc
	s_cbranch_execz .LBB3_917
; %bb.914:                              ;   in Loop: Header=BB3_857 Depth=1
	s_mov_b64 s[24:25], 0
.LBB3_915:                              ;   Parent Loop BB3_857 Depth=1
                                        ; =>  This Inner Loop Header: Depth=2
	s_sleep 1
	global_load_dwordx2 v[11:12], v3, s[36:37] offset:40
	global_load_dwordx2 v[15:16], v3, s[36:37]
	v_mov_b32_e32 v34, v7
	v_mov_b32_e32 v33, v6
	s_waitcnt vmcnt(1)
	v_and_b32_e32 v2, v11, v33
	s_waitcnt vmcnt(0)
	v_mad_u64_u32 v[6:7], s[26:27], v2, 24, v[15:16]
	v_and_b32_e32 v11, v12, v34
	v_mov_b32_e32 v2, v7
	v_mad_u64_u32 v[11:12], s[26:27], v11, 24, v[2:3]
	v_mov_b32_e32 v7, v11
	global_load_dwordx2 v[31:32], v[6:7], off glc
	s_waitcnt vmcnt(0)
	global_atomic_cmpswap_x2 v[6:7], v3, v[31:34], s[36:37] offset:24 glc
	s_waitcnt vmcnt(0)
	buffer_wbinvl1_vol
	v_cmp_eq_u64_e32 vcc, v[6:7], v[33:34]
	s_or_b64 s[24:25], vcc, s[24:25]
	s_andn2_b64 exec, exec, s[24:25]
	s_cbranch_execnz .LBB3_915
; %bb.916:                              ;   in Loop: Header=BB3_857 Depth=1
	s_or_b64 exec, exec, s[24:25]
.LBB3_917:                              ;   in Loop: Header=BB3_857 Depth=1
	s_or_b64 exec, exec, s[22:23]
.LBB3_918:                              ;   in Loop: Header=BB3_857 Depth=1
	s_or_b64 exec, exec, s[20:21]
	global_load_dwordx2 v[11:12], v3, s[36:37] offset:40
	global_load_dwordx4 v[31:34], v3, s[36:37]
	v_readfirstlane_b32 s20, v6
	v_readfirstlane_b32 s21, v7
	s_mov_b64 s[22:23], exec
	s_waitcnt vmcnt(1)
	v_readfirstlane_b32 s24, v11
	v_readfirstlane_b32 s25, v12
	s_and_b64 s[24:25], s[20:21], s[24:25]
	s_mul_i32 s15, s25, 24
	s_mul_hi_u32 s26, s24, 24
	s_mul_i32 s27, s24, 24
	s_add_i32 s15, s26, s15
	v_mov_b32_e32 v2, s15
	s_waitcnt vmcnt(0)
	v_add_co_u32_e32 v6, vcc, s27, v31
	v_addc_co_u32_e32 v7, vcc, v32, v2, vcc
	s_and_saveexec_b64 s[26:27], s[4:5]
	s_cbranch_execz .LBB3_920
; %bb.919:                              ;   in Loop: Header=BB3_857 Depth=1
	v_mov_b32_e32 v11, s22
	v_mov_b32_e32 v12, s23
	global_store_dwordx4 v[6:7], v[11:14], off offset:8
.LBB3_920:                              ;   in Loop: Header=BB3_857 Depth=1
	s_or_b64 exec, exec, s[26:27]
	s_lshl_b64 s[22:23], s[24:25], 12
	v_mov_b32_e32 v2, s23
	v_add_co_u32_e32 v33, vcc, s22, v33
	v_addc_co_u32_e32 v34, vcc, v34, v2, vcc
	v_cmp_gt_u64_e64 vcc, s[16:17], 56
	v_or_b32_e32 v2, 0, v10
	v_or_b32_e32 v11, v9, v35
	s_lshl_b32 s15, s18, 2
	v_cndmask_b32_e32 v16, v2, v10, vcc
	v_cndmask_b32_e32 v2, v11, v9, vcc
	s_add_i32 s15, s15, 28
	s_and_b32 s15, s15, 0x1e0
	v_and_b32_e32 v2, 0xffffff1f, v2
	v_or_b32_e32 v15, s15, v2
	v_readfirstlane_b32 s22, v33
	v_readfirstlane_b32 s23, v34
	s_nop 4
	global_store_dwordx4 v50, v[15:18], s[22:23]
	global_store_dwordx4 v50, v[19:22], s[22:23] offset:16
	global_store_dwordx4 v50, v[23:26], s[22:23] offset:32
	;; [unrolled: 1-line block ×3, first 2 shown]
	s_and_saveexec_b64 s[22:23], s[4:5]
	s_cbranch_execz .LBB3_928
; %bb.921:                              ;   in Loop: Header=BB3_857 Depth=1
	global_load_dwordx2 v[19:20], v3, s[36:37] offset:32 glc
	global_load_dwordx2 v[9:10], v3, s[36:37] offset:40
	v_mov_b32_e32 v17, s20
	v_mov_b32_e32 v18, s21
	s_waitcnt vmcnt(0)
	v_readfirstlane_b32 s24, v9
	v_readfirstlane_b32 s25, v10
	s_and_b64 s[24:25], s[24:25], s[20:21]
	s_mul_i32 s15, s25, 24
	s_mul_hi_u32 s25, s24, 24
	s_mul_i32 s24, s24, 24
	s_add_i32 s15, s25, s15
	v_mov_b32_e32 v2, s15
	v_add_co_u32_e32 v15, vcc, s24, v31
	v_addc_co_u32_e32 v16, vcc, v32, v2, vcc
	global_store_dwordx2 v[15:16], v[19:20], off
	s_waitcnt vmcnt(0)
	global_atomic_cmpswap_x2 v[11:12], v3, v[17:20], s[36:37] offset:32 glc
	s_waitcnt vmcnt(0)
	v_cmp_ne_u64_e32 vcc, v[11:12], v[19:20]
	s_and_saveexec_b64 s[24:25], vcc
	s_cbranch_execz .LBB3_924
; %bb.922:                              ;   in Loop: Header=BB3_857 Depth=1
	s_mov_b64 s[26:27], 0
.LBB3_923:                              ;   Parent Loop BB3_857 Depth=1
                                        ; =>  This Inner Loop Header: Depth=2
	s_sleep 1
	global_store_dwordx2 v[15:16], v[11:12], off
	v_mov_b32_e32 v9, s20
	v_mov_b32_e32 v10, s21
	s_waitcnt vmcnt(0)
	global_atomic_cmpswap_x2 v[9:10], v3, v[9:12], s[36:37] offset:32 glc
	s_waitcnt vmcnt(0)
	v_cmp_eq_u64_e32 vcc, v[9:10], v[11:12]
	v_mov_b32_e32 v12, v10
	s_or_b64 s[26:27], vcc, s[26:27]
	v_mov_b32_e32 v11, v9
	s_andn2_b64 exec, exec, s[26:27]
	s_cbranch_execnz .LBB3_923
.LBB3_924:                              ;   in Loop: Header=BB3_857 Depth=1
	s_or_b64 exec, exec, s[24:25]
	global_load_dwordx2 v[9:10], v3, s[36:37] offset:16
	s_mov_b64 s[26:27], exec
	v_mbcnt_lo_u32_b32 v2, s26, 0
	v_mbcnt_hi_u32_b32 v2, s27, v2
	v_cmp_eq_u32_e32 vcc, 0, v2
	s_and_saveexec_b64 s[24:25], vcc
	s_cbranch_execz .LBB3_926
; %bb.925:                              ;   in Loop: Header=BB3_857 Depth=1
	s_bcnt1_i32_b64 s15, s[26:27]
	v_mov_b32_e32 v2, s15
	s_waitcnt vmcnt(0)
	global_atomic_add_x2 v[9:10], v[2:3], off offset:8
.LBB3_926:                              ;   in Loop: Header=BB3_857 Depth=1
	s_or_b64 exec, exec, s[24:25]
	s_waitcnt vmcnt(0)
	global_load_dwordx2 v[11:12], v[9:10], off offset:16
	s_waitcnt vmcnt(0)
	v_cmp_eq_u64_e32 vcc, 0, v[11:12]
	s_cbranch_vccnz .LBB3_928
; %bb.927:                              ;   in Loop: Header=BB3_857 Depth=1
	global_load_dword v2, v[9:10], off offset:24
	s_waitcnt vmcnt(0)
	global_store_dwordx2 v[11:12], v[2:3], off
	v_and_b32_e32 v2, 0xffffff, v2
	v_readfirstlane_b32 m0, v2
	s_sendmsg sendmsg(MSG_INTERRUPT)
.LBB3_928:                              ;   in Loop: Header=BB3_857 Depth=1
	s_or_b64 exec, exec, s[22:23]
	v_add_co_u32_e32 v9, vcc, v33, v50
	v_addc_co_u32_e32 v10, vcc, 0, v34, vcc
	s_branch .LBB3_932
.LBB3_929:                              ;   in Loop: Header=BB3_932 Depth=2
	s_or_b64 exec, exec, s[22:23]
	v_readfirstlane_b32 s15, v2
	s_cmp_eq_u32 s15, 0
	s_cbranch_scc1 .LBB3_931
; %bb.930:                              ;   in Loop: Header=BB3_932 Depth=2
	s_sleep 1
	s_cbranch_execnz .LBB3_932
	s_branch .LBB3_934
.LBB3_931:                              ;   in Loop: Header=BB3_857 Depth=1
	s_branch .LBB3_934
.LBB3_932:                              ;   Parent Loop BB3_857 Depth=1
                                        ; =>  This Inner Loop Header: Depth=2
	v_mov_b32_e32 v2, 1
	s_and_saveexec_b64 s[22:23], s[4:5]
	s_cbranch_execz .LBB3_929
; %bb.933:                              ;   in Loop: Header=BB3_932 Depth=2
	global_load_dword v2, v[6:7], off offset:20 glc
	s_waitcnt vmcnt(0)
	buffer_wbinvl1_vol
	v_and_b32_e32 v2, 1, v2
	s_branch .LBB3_929
.LBB3_934:                              ;   in Loop: Header=BB3_857 Depth=1
	global_load_dwordx4 v[9:12], v[9:10], off
	s_and_saveexec_b64 s[22:23], s[4:5]
	s_cbranch_execz .LBB3_856
; %bb.935:                              ;   in Loop: Header=BB3_857 Depth=1
	global_load_dwordx2 v[6:7], v3, s[36:37] offset:40
	global_load_dwordx2 v[11:12], v3, s[36:37] offset:24 glc
	global_load_dwordx2 v[18:19], v3, s[36:37]
	v_mov_b32_e32 v2, s21
	s_waitcnt vmcnt(2)
	v_add_co_u32_e32 v17, vcc, 1, v6
	v_addc_co_u32_e32 v20, vcc, 0, v7, vcc
	v_add_co_u32_e32 v15, vcc, s20, v17
	v_addc_co_u32_e32 v16, vcc, v20, v2, vcc
	v_cmp_eq_u64_e32 vcc, 0, v[15:16]
	v_cndmask_b32_e32 v16, v16, v20, vcc
	v_cndmask_b32_e32 v15, v15, v17, vcc
	v_and_b32_e32 v2, v16, v7
	v_and_b32_e32 v6, v15, v6
	v_mul_lo_u32 v2, v2, 24
	v_mul_hi_u32 v7, v6, 24
	v_mul_lo_u32 v6, v6, 24
	s_waitcnt vmcnt(1)
	v_mov_b32_e32 v17, v11
	v_add_u32_e32 v2, v7, v2
	s_waitcnt vmcnt(0)
	v_add_co_u32_e32 v6, vcc, v18, v6
	v_addc_co_u32_e32 v7, vcc, v19, v2, vcc
	global_store_dwordx2 v[6:7], v[11:12], off
	v_mov_b32_e32 v18, v12
	s_waitcnt vmcnt(0)
	global_atomic_cmpswap_x2 v[17:18], v3, v[15:18], s[36:37] offset:24 glc
	s_waitcnt vmcnt(0)
	v_cmp_ne_u64_e32 vcc, v[17:18], v[11:12]
	s_and_b64 exec, exec, vcc
	s_cbranch_execz .LBB3_856
; %bb.936:                              ;   in Loop: Header=BB3_857 Depth=1
	s_mov_b64 s[4:5], 0
.LBB3_937:                              ;   Parent Loop BB3_857 Depth=1
                                        ; =>  This Inner Loop Header: Depth=2
	s_sleep 1
	global_store_dwordx2 v[6:7], v[17:18], off
	s_waitcnt vmcnt(0)
	global_atomic_cmpswap_x2 v[11:12], v3, v[15:18], s[36:37] offset:24 glc
	s_waitcnt vmcnt(0)
	v_cmp_eq_u64_e32 vcc, v[11:12], v[17:18]
	v_mov_b32_e32 v18, v12
	s_or_b64 s[4:5], vcc, s[4:5]
	v_mov_b32_e32 v17, v11
	s_andn2_b64 exec, exec, s[4:5]
	s_cbranch_execnz .LBB3_937
	s_branch .LBB3_856
.LBB3_938:
	s_branch .LBB3_966
.LBB3_939:
                                        ; implicit-def: $vgpr9_vgpr10
	s_cbranch_execz .LBB3_966
; %bb.940:
	v_readfirstlane_b32 s4, v51
	v_mov_b32_e32 v6, 0
	v_mov_b32_e32 v7, 0
	v_cmp_eq_u32_e64 s[4:5], s4, v51
	s_and_saveexec_b64 s[10:11], s[4:5]
	s_cbranch_execz .LBB3_946
; %bb.941:
	v_mov_b32_e32 v2, 0
	global_load_dwordx2 v[11:12], v2, s[36:37] offset:24 glc
	s_waitcnt vmcnt(0)
	buffer_wbinvl1_vol
	global_load_dwordx2 v[6:7], v2, s[36:37] offset:40
	global_load_dwordx2 v[9:10], v2, s[36:37]
	s_waitcnt vmcnt(1)
	v_and_b32_e32 v3, v6, v11
	v_and_b32_e32 v6, v7, v12
	v_mul_lo_u32 v6, v6, 24
	v_mul_hi_u32 v7, v3, 24
	v_mul_lo_u32 v3, v3, 24
	v_add_u32_e32 v7, v7, v6
	s_waitcnt vmcnt(0)
	v_add_co_u32_e32 v6, vcc, v9, v3
	v_addc_co_u32_e32 v7, vcc, v10, v7, vcc
	global_load_dwordx2 v[9:10], v[6:7], off glc
	s_waitcnt vmcnt(0)
	global_atomic_cmpswap_x2 v[6:7], v2, v[9:12], s[36:37] offset:24 glc
	s_waitcnt vmcnt(0)
	buffer_wbinvl1_vol
	v_cmp_ne_u64_e32 vcc, v[6:7], v[11:12]
	s_and_saveexec_b64 s[16:17], vcc
	s_cbranch_execz .LBB3_945
; %bb.942:
	s_mov_b64 s[18:19], 0
.LBB3_943:                              ; =>This Inner Loop Header: Depth=1
	s_sleep 1
	global_load_dwordx2 v[9:10], v2, s[36:37] offset:40
	global_load_dwordx2 v[13:14], v2, s[36:37]
	v_mov_b32_e32 v12, v7
	v_mov_b32_e32 v11, v6
	s_waitcnt vmcnt(1)
	v_and_b32_e32 v3, v9, v11
	s_waitcnt vmcnt(0)
	v_mad_u64_u32 v[6:7], s[20:21], v3, 24, v[13:14]
	v_and_b32_e32 v9, v10, v12
	v_mov_b32_e32 v3, v7
	v_mad_u64_u32 v[9:10], s[20:21], v9, 24, v[3:4]
	v_mov_b32_e32 v7, v9
	global_load_dwordx2 v[9:10], v[6:7], off glc
	s_waitcnt vmcnt(0)
	global_atomic_cmpswap_x2 v[6:7], v2, v[9:12], s[36:37] offset:24 glc
	s_waitcnt vmcnt(0)
	buffer_wbinvl1_vol
	v_cmp_eq_u64_e32 vcc, v[6:7], v[11:12]
	s_or_b64 s[18:19], vcc, s[18:19]
	s_andn2_b64 exec, exec, s[18:19]
	s_cbranch_execnz .LBB3_943
; %bb.944:
	s_or_b64 exec, exec, s[18:19]
.LBB3_945:
	s_or_b64 exec, exec, s[16:17]
.LBB3_946:
	s_or_b64 exec, exec, s[10:11]
	v_mov_b32_e32 v2, 0
	global_load_dwordx2 v[13:14], v2, s[36:37] offset:40
	global_load_dwordx4 v[9:12], v2, s[36:37]
	v_readfirstlane_b32 s10, v6
	v_readfirstlane_b32 s11, v7
	s_mov_b64 s[16:17], exec
	s_waitcnt vmcnt(1)
	v_readfirstlane_b32 s18, v13
	v_readfirstlane_b32 s19, v14
	s_and_b64 s[18:19], s[10:11], s[18:19]
	s_mul_i32 s15, s19, 24
	s_mul_hi_u32 s20, s18, 24
	s_mul_i32 s21, s18, 24
	s_add_i32 s15, s20, s15
	v_mov_b32_e32 v3, s15
	s_waitcnt vmcnt(0)
	v_add_co_u32_e32 v6, vcc, s21, v9
	v_addc_co_u32_e32 v7, vcc, v10, v3, vcc
	s_and_saveexec_b64 s[20:21], s[4:5]
	s_cbranch_execz .LBB3_948
; %bb.947:
	v_mov_b32_e32 v13, s16
	v_mov_b32_e32 v14, s17
	;; [unrolled: 1-line block ×4, first 2 shown]
	global_store_dwordx4 v[6:7], v[13:16], off offset:8
.LBB3_948:
	s_or_b64 exec, exec, s[20:21]
	s_lshl_b64 s[16:17], s[18:19], 12
	v_mov_b32_e32 v3, s17
	v_add_co_u32_e32 v13, vcc, s16, v11
	v_addc_co_u32_e32 v14, vcc, v12, v3, vcc
	s_movk_i32 s15, 0xff1f
	v_and_or_b32 v0, v0, s15, 32
	s_mov_b32 s16, 0
	v_mov_b32_e32 v3, v2
	v_readfirstlane_b32 s20, v13
	v_readfirstlane_b32 s21, v14
	v_add_co_u32_e32 v11, vcc, v13, v50
	s_mov_b32 s17, s16
	s_mov_b32 s18, s16
	;; [unrolled: 1-line block ×3, first 2 shown]
	s_nop 0
	global_store_dwordx4 v50, v[0:3], s[20:21]
	v_addc_co_u32_e32 v12, vcc, 0, v14, vcc
	v_mov_b32_e32 v0, s16
	v_mov_b32_e32 v1, s17
	;; [unrolled: 1-line block ×4, first 2 shown]
	global_store_dwordx4 v50, v[0:3], s[20:21] offset:16
	global_store_dwordx4 v50, v[0:3], s[20:21] offset:32
	;; [unrolled: 1-line block ×3, first 2 shown]
	s_and_saveexec_b64 s[16:17], s[4:5]
	s_cbranch_execz .LBB3_956
; %bb.949:
	v_mov_b32_e32 v13, 0
	global_load_dwordx2 v[16:17], v13, s[36:37] offset:32 glc
	global_load_dwordx2 v[0:1], v13, s[36:37] offset:40
	v_mov_b32_e32 v14, s10
	v_mov_b32_e32 v15, s11
	s_waitcnt vmcnt(0)
	v_readfirstlane_b32 s18, v0
	v_readfirstlane_b32 s19, v1
	s_and_b64 s[18:19], s[18:19], s[10:11]
	s_mul_i32 s15, s19, 24
	s_mul_hi_u32 s19, s18, 24
	s_mul_i32 s18, s18, 24
	s_add_i32 s15, s19, s15
	v_mov_b32_e32 v0, s15
	v_add_co_u32_e32 v9, vcc, s18, v9
	v_addc_co_u32_e32 v10, vcc, v10, v0, vcc
	global_store_dwordx2 v[9:10], v[16:17], off
	s_waitcnt vmcnt(0)
	global_atomic_cmpswap_x2 v[2:3], v13, v[14:17], s[36:37] offset:32 glc
	s_waitcnt vmcnt(0)
	v_cmp_ne_u64_e32 vcc, v[2:3], v[16:17]
	s_and_saveexec_b64 s[18:19], vcc
	s_cbranch_execz .LBB3_952
; %bb.950:
	s_mov_b64 s[20:21], 0
.LBB3_951:                              ; =>This Inner Loop Header: Depth=1
	s_sleep 1
	global_store_dwordx2 v[9:10], v[2:3], off
	v_mov_b32_e32 v0, s10
	v_mov_b32_e32 v1, s11
	s_waitcnt vmcnt(0)
	global_atomic_cmpswap_x2 v[0:1], v13, v[0:3], s[36:37] offset:32 glc
	s_waitcnt vmcnt(0)
	v_cmp_eq_u64_e32 vcc, v[0:1], v[2:3]
	v_mov_b32_e32 v3, v1
	s_or_b64 s[20:21], vcc, s[20:21]
	v_mov_b32_e32 v2, v0
	s_andn2_b64 exec, exec, s[20:21]
	s_cbranch_execnz .LBB3_951
.LBB3_952:
	s_or_b64 exec, exec, s[18:19]
	v_mov_b32_e32 v3, 0
	global_load_dwordx2 v[0:1], v3, s[36:37] offset:16
	s_mov_b64 s[18:19], exec
	v_mbcnt_lo_u32_b32 v2, s18, 0
	v_mbcnt_hi_u32_b32 v2, s19, v2
	v_cmp_eq_u32_e32 vcc, 0, v2
	s_and_saveexec_b64 s[20:21], vcc
	s_cbranch_execz .LBB3_954
; %bb.953:
	s_bcnt1_i32_b64 s15, s[18:19]
	v_mov_b32_e32 v2, s15
	s_waitcnt vmcnt(0)
	global_atomic_add_x2 v[0:1], v[2:3], off offset:8
.LBB3_954:
	s_or_b64 exec, exec, s[20:21]
	s_waitcnt vmcnt(0)
	global_load_dwordx2 v[2:3], v[0:1], off offset:16
	s_waitcnt vmcnt(0)
	v_cmp_eq_u64_e32 vcc, 0, v[2:3]
	s_cbranch_vccnz .LBB3_956
; %bb.955:
	global_load_dword v0, v[0:1], off offset:24
	v_mov_b32_e32 v1, 0
	s_waitcnt vmcnt(0)
	global_store_dwordx2 v[2:3], v[0:1], off
	v_and_b32_e32 v0, 0xffffff, v0
	v_readfirstlane_b32 m0, v0
	s_sendmsg sendmsg(MSG_INTERRUPT)
.LBB3_956:
	s_or_b64 exec, exec, s[16:17]
	s_branch .LBB3_960
.LBB3_957:                              ;   in Loop: Header=BB3_960 Depth=1
	s_or_b64 exec, exec, s[16:17]
	v_readfirstlane_b32 s15, v0
	s_cmp_eq_u32 s15, 0
	s_cbranch_scc1 .LBB3_959
; %bb.958:                              ;   in Loop: Header=BB3_960 Depth=1
	s_sleep 1
	s_cbranch_execnz .LBB3_960
	s_branch .LBB3_962
.LBB3_959:
	s_branch .LBB3_962
.LBB3_960:                              ; =>This Inner Loop Header: Depth=1
	v_mov_b32_e32 v0, 1
	s_and_saveexec_b64 s[16:17], s[4:5]
	s_cbranch_execz .LBB3_957
; %bb.961:                              ;   in Loop: Header=BB3_960 Depth=1
	global_load_dword v0, v[6:7], off offset:20 glc
	s_waitcnt vmcnt(0)
	buffer_wbinvl1_vol
	v_and_b32_e32 v0, 1, v0
	s_branch .LBB3_957
.LBB3_962:
	global_load_dwordx2 v[9:10], v[11:12], off
	s_and_saveexec_b64 s[16:17], s[4:5]
	s_cbranch_execz .LBB3_965
; %bb.963:
	v_mov_b32_e32 v11, 0
	global_load_dwordx2 v[2:3], v11, s[36:37] offset:40
	global_load_dwordx2 v[12:13], v11, s[36:37] offset:24 glc
	global_load_dwordx2 v[6:7], v11, s[36:37]
	v_mov_b32_e32 v1, s11
	s_mov_b64 s[4:5], 0
	s_waitcnt vmcnt(2)
	v_add_co_u32_e32 v14, vcc, 1, v2
	v_addc_co_u32_e32 v15, vcc, 0, v3, vcc
	v_add_co_u32_e32 v0, vcc, s10, v14
	v_addc_co_u32_e32 v1, vcc, v15, v1, vcc
	v_cmp_eq_u64_e32 vcc, 0, v[0:1]
	v_cndmask_b32_e32 v1, v1, v15, vcc
	v_cndmask_b32_e32 v0, v0, v14, vcc
	v_and_b32_e32 v3, v1, v3
	v_and_b32_e32 v2, v0, v2
	v_mul_lo_u32 v3, v3, 24
	v_mul_hi_u32 v14, v2, 24
	v_mul_lo_u32 v15, v2, 24
	s_waitcnt vmcnt(1)
	v_mov_b32_e32 v2, v12
	v_add_u32_e32 v3, v14, v3
	s_waitcnt vmcnt(0)
	v_add_co_u32_e32 v6, vcc, v6, v15
	v_addc_co_u32_e32 v7, vcc, v7, v3, vcc
	global_store_dwordx2 v[6:7], v[12:13], off
	v_mov_b32_e32 v3, v13
	s_waitcnt vmcnt(0)
	global_atomic_cmpswap_x2 v[2:3], v11, v[0:3], s[36:37] offset:24 glc
	s_waitcnt vmcnt(0)
	v_cmp_ne_u64_e32 vcc, v[2:3], v[12:13]
	s_and_b64 exec, exec, vcc
	s_cbranch_execz .LBB3_965
.LBB3_964:                              ; =>This Inner Loop Header: Depth=1
	s_sleep 1
	global_store_dwordx2 v[6:7], v[2:3], off
	s_waitcnt vmcnt(0)
	global_atomic_cmpswap_x2 v[12:13], v11, v[0:3], s[36:37] offset:24 glc
	s_waitcnt vmcnt(0)
	v_cmp_eq_u64_e32 vcc, v[12:13], v[2:3]
	v_mov_b32_e32 v2, v12
	s_or_b64 s[4:5], vcc, s[4:5]
	v_mov_b32_e32 v3, v13
	s_andn2_b64 exec, exec, s[4:5]
	s_cbranch_execnz .LBB3_964
.LBB3_965:
	s_or_b64 exec, exec, s[16:17]
.LBB3_966:
	v_readfirstlane_b32 s4, v51
	v_mov_b32_e32 v6, 0
	v_mov_b32_e32 v7, 0
	v_cmp_eq_u32_e64 s[4:5], s4, v51
	s_and_saveexec_b64 s[10:11], s[4:5]
	s_cbranch_execz .LBB3_972
; %bb.967:
	s_waitcnt vmcnt(0)
	v_mov_b32_e32 v0, 0
	global_load_dwordx2 v[13:14], v0, s[36:37] offset:24 glc
	s_waitcnt vmcnt(0)
	buffer_wbinvl1_vol
	global_load_dwordx2 v[1:2], v0, s[36:37] offset:40
	global_load_dwordx2 v[6:7], v0, s[36:37]
	s_waitcnt vmcnt(1)
	v_and_b32_e32 v1, v1, v13
	v_and_b32_e32 v2, v2, v14
	v_mul_lo_u32 v2, v2, 24
	v_mul_hi_u32 v3, v1, 24
	v_mul_lo_u32 v1, v1, 24
	v_add_u32_e32 v2, v3, v2
	s_waitcnt vmcnt(0)
	v_add_co_u32_e32 v1, vcc, v6, v1
	v_addc_co_u32_e32 v2, vcc, v7, v2, vcc
	global_load_dwordx2 v[11:12], v[1:2], off glc
	s_waitcnt vmcnt(0)
	global_atomic_cmpswap_x2 v[6:7], v0, v[11:14], s[36:37] offset:24 glc
	s_waitcnt vmcnt(0)
	buffer_wbinvl1_vol
	v_cmp_ne_u64_e32 vcc, v[6:7], v[13:14]
	s_and_saveexec_b64 s[16:17], vcc
	s_cbranch_execz .LBB3_971
; %bb.968:
	s_mov_b64 s[18:19], 0
.LBB3_969:                              ; =>This Inner Loop Header: Depth=1
	s_sleep 1
	global_load_dwordx2 v[1:2], v0, s[36:37] offset:40
	global_load_dwordx2 v[11:12], v0, s[36:37]
	v_mov_b32_e32 v14, v7
	v_mov_b32_e32 v13, v6
	s_waitcnt vmcnt(1)
	v_and_b32_e32 v1, v1, v13
	s_waitcnt vmcnt(0)
	v_mad_u64_u32 v[6:7], s[20:21], v1, 24, v[11:12]
	v_and_b32_e32 v2, v2, v14
	v_mov_b32_e32 v1, v7
	v_mad_u64_u32 v[1:2], s[20:21], v2, 24, v[1:2]
	v_mov_b32_e32 v7, v1
	global_load_dwordx2 v[11:12], v[6:7], off glc
	s_waitcnt vmcnt(0)
	global_atomic_cmpswap_x2 v[6:7], v0, v[11:14], s[36:37] offset:24 glc
	s_waitcnt vmcnt(0)
	buffer_wbinvl1_vol
	v_cmp_eq_u64_e32 vcc, v[6:7], v[13:14]
	s_or_b64 s[18:19], vcc, s[18:19]
	s_andn2_b64 exec, exec, s[18:19]
	s_cbranch_execnz .LBB3_969
; %bb.970:
	s_or_b64 exec, exec, s[18:19]
.LBB3_971:
	s_or_b64 exec, exec, s[16:17]
.LBB3_972:
	s_or_b64 exec, exec, s[10:11]
	v_mov_b32_e32 v13, 0
	global_load_dwordx2 v[11:12], v13, s[36:37] offset:40
	global_load_dwordx4 v[0:3], v13, s[36:37]
	v_readfirstlane_b32 s10, v6
	v_readfirstlane_b32 s11, v7
	s_mov_b64 s[16:17], exec
	s_waitcnt vmcnt(1)
	v_readfirstlane_b32 s18, v11
	v_readfirstlane_b32 s19, v12
	s_and_b64 s[18:19], s[10:11], s[18:19]
	s_mul_i32 s15, s19, 24
	s_mul_hi_u32 s20, s18, 24
	s_mul_i32 s21, s18, 24
	s_add_i32 s15, s20, s15
	v_mov_b32_e32 v7, s15
	s_waitcnt vmcnt(0)
	v_add_co_u32_e32 v6, vcc, s21, v0
	v_addc_co_u32_e32 v7, vcc, v1, v7, vcc
	s_and_saveexec_b64 s[20:21], s[4:5]
	s_cbranch_execz .LBB3_974
; %bb.973:
	v_mov_b32_e32 v11, s16
	v_mov_b32_e32 v12, s17
	;; [unrolled: 1-line block ×4, first 2 shown]
	global_store_dwordx4 v[6:7], v[11:14], off offset:8
.LBB3_974:
	s_or_b64 exec, exec, s[20:21]
	s_lshl_b64 s[16:17], s[18:19], 12
	v_mov_b32_e32 v11, s17
	v_add_co_u32_e32 v2, vcc, s16, v2
	v_addc_co_u32_e32 v3, vcc, v3, v11, vcc
	s_movk_i32 s15, 0xff1d
	v_and_or_b32 v9, v9, s15, 34
	v_ashrrev_i32_e32 v12, 31, v8
	v_mov_b32_e32 v11, v8
	v_readfirstlane_b32 s20, v2
	v_readfirstlane_b32 s21, v3
	s_mov_b32 s16, 0
	s_mov_b32 s17, s16
	;; [unrolled: 1-line block ×4, first 2 shown]
	s_nop 0
	global_store_dwordx4 v50, v[9:12], s[20:21]
	v_mov_b32_e32 v8, s16
	v_mov_b32_e32 v9, s17
	v_mov_b32_e32 v10, s18
	v_mov_b32_e32 v11, s19
	global_store_dwordx4 v50, v[8:11], s[20:21] offset:16
	global_store_dwordx4 v50, v[8:11], s[20:21] offset:32
	;; [unrolled: 1-line block ×3, first 2 shown]
	s_and_saveexec_b64 s[16:17], s[4:5]
	s_cbranch_execz .LBB3_982
; %bb.975:
	v_mov_b32_e32 v10, 0
	global_load_dwordx2 v[13:14], v10, s[36:37] offset:32 glc
	global_load_dwordx2 v[2:3], v10, s[36:37] offset:40
	v_mov_b32_e32 v11, s10
	v_mov_b32_e32 v12, s11
	s_waitcnt vmcnt(0)
	v_readfirstlane_b32 s18, v2
	v_readfirstlane_b32 s19, v3
	s_and_b64 s[18:19], s[18:19], s[10:11]
	s_mul_i32 s15, s19, 24
	s_mul_hi_u32 s19, s18, 24
	s_mul_i32 s18, s18, 24
	s_add_i32 s15, s19, s15
	v_mov_b32_e32 v2, s15
	v_add_co_u32_e32 v8, vcc, s18, v0
	v_addc_co_u32_e32 v9, vcc, v1, v2, vcc
	global_store_dwordx2 v[8:9], v[13:14], off
	s_waitcnt vmcnt(0)
	global_atomic_cmpswap_x2 v[2:3], v10, v[11:14], s[36:37] offset:32 glc
	s_waitcnt vmcnt(0)
	v_cmp_ne_u64_e32 vcc, v[2:3], v[13:14]
	s_and_saveexec_b64 s[18:19], vcc
	s_cbranch_execz .LBB3_978
; %bb.976:
	s_mov_b64 s[20:21], 0
.LBB3_977:                              ; =>This Inner Loop Header: Depth=1
	s_sleep 1
	global_store_dwordx2 v[8:9], v[2:3], off
	v_mov_b32_e32 v0, s10
	v_mov_b32_e32 v1, s11
	s_waitcnt vmcnt(0)
	global_atomic_cmpswap_x2 v[0:1], v10, v[0:3], s[36:37] offset:32 glc
	s_waitcnt vmcnt(0)
	v_cmp_eq_u64_e32 vcc, v[0:1], v[2:3]
	v_mov_b32_e32 v3, v1
	s_or_b64 s[20:21], vcc, s[20:21]
	v_mov_b32_e32 v2, v0
	s_andn2_b64 exec, exec, s[20:21]
	s_cbranch_execnz .LBB3_977
.LBB3_978:
	s_or_b64 exec, exec, s[18:19]
	v_mov_b32_e32 v3, 0
	global_load_dwordx2 v[0:1], v3, s[36:37] offset:16
	s_mov_b64 s[18:19], exec
	v_mbcnt_lo_u32_b32 v2, s18, 0
	v_mbcnt_hi_u32_b32 v2, s19, v2
	v_cmp_eq_u32_e32 vcc, 0, v2
	s_and_saveexec_b64 s[20:21], vcc
	s_cbranch_execz .LBB3_980
; %bb.979:
	s_bcnt1_i32_b64 s15, s[18:19]
	v_mov_b32_e32 v2, s15
	s_waitcnt vmcnt(0)
	global_atomic_add_x2 v[0:1], v[2:3], off offset:8
.LBB3_980:
	s_or_b64 exec, exec, s[20:21]
	s_waitcnt vmcnt(0)
	global_load_dwordx2 v[2:3], v[0:1], off offset:16
	s_waitcnt vmcnt(0)
	v_cmp_eq_u64_e32 vcc, 0, v[2:3]
	s_cbranch_vccnz .LBB3_982
; %bb.981:
	global_load_dword v0, v[0:1], off offset:24
	v_mov_b32_e32 v1, 0
	s_waitcnt vmcnt(0)
	global_store_dwordx2 v[2:3], v[0:1], off
	v_and_b32_e32 v0, 0xffffff, v0
	v_readfirstlane_b32 m0, v0
	s_sendmsg sendmsg(MSG_INTERRUPT)
.LBB3_982:
	s_or_b64 exec, exec, s[16:17]
	s_branch .LBB3_986
.LBB3_983:                              ;   in Loop: Header=BB3_986 Depth=1
	s_or_b64 exec, exec, s[16:17]
	v_readfirstlane_b32 s15, v0
	s_cmp_eq_u32 s15, 0
	s_cbranch_scc1 .LBB3_985
; %bb.984:                              ;   in Loop: Header=BB3_986 Depth=1
	s_sleep 1
	s_cbranch_execnz .LBB3_986
	s_branch .LBB3_988
.LBB3_985:
	s_branch .LBB3_988
.LBB3_986:                              ; =>This Inner Loop Header: Depth=1
	v_mov_b32_e32 v0, 1
	s_and_saveexec_b64 s[16:17], s[4:5]
	s_cbranch_execz .LBB3_983
; %bb.987:                              ;   in Loop: Header=BB3_986 Depth=1
	global_load_dword v0, v[6:7], off offset:20 glc
	s_waitcnt vmcnt(0)
	buffer_wbinvl1_vol
	v_and_b32_e32 v0, 1, v0
	s_branch .LBB3_983
.LBB3_988:
	s_and_saveexec_b64 s[16:17], s[4:5]
	s_cbranch_execz .LBB3_991
; %bb.989:
	v_mov_b32_e32 v8, 0
	global_load_dwordx2 v[2:3], v8, s[36:37] offset:40
	global_load_dwordx2 v[9:10], v8, s[36:37] offset:24 glc
	global_load_dwordx2 v[6:7], v8, s[36:37]
	v_mov_b32_e32 v1, s11
	s_mov_b64 s[4:5], 0
	s_waitcnt vmcnt(2)
	v_add_co_u32_e32 v11, vcc, 1, v2
	v_addc_co_u32_e32 v12, vcc, 0, v3, vcc
	v_add_co_u32_e32 v0, vcc, s10, v11
	v_addc_co_u32_e32 v1, vcc, v12, v1, vcc
	v_cmp_eq_u64_e32 vcc, 0, v[0:1]
	v_cndmask_b32_e32 v1, v1, v12, vcc
	v_cndmask_b32_e32 v0, v0, v11, vcc
	v_and_b32_e32 v3, v1, v3
	v_and_b32_e32 v2, v0, v2
	v_mul_lo_u32 v3, v3, 24
	v_mul_hi_u32 v11, v2, 24
	v_mul_lo_u32 v12, v2, 24
	s_waitcnt vmcnt(1)
	v_mov_b32_e32 v2, v9
	v_add_u32_e32 v3, v11, v3
	s_waitcnt vmcnt(0)
	v_add_co_u32_e32 v6, vcc, v6, v12
	v_addc_co_u32_e32 v7, vcc, v7, v3, vcc
	global_store_dwordx2 v[6:7], v[9:10], off
	v_mov_b32_e32 v3, v10
	s_waitcnt vmcnt(0)
	global_atomic_cmpswap_x2 v[2:3], v8, v[0:3], s[36:37] offset:24 glc
	s_waitcnt vmcnt(0)
	v_cmp_ne_u64_e32 vcc, v[2:3], v[9:10]
	s_and_b64 exec, exec, vcc
	s_cbranch_execz .LBB3_991
.LBB3_990:                              ; =>This Inner Loop Header: Depth=1
	s_sleep 1
	global_store_dwordx2 v[6:7], v[2:3], off
	s_waitcnt vmcnt(0)
	global_atomic_cmpswap_x2 v[9:10], v8, v[0:3], s[36:37] offset:24 glc
	s_waitcnt vmcnt(0)
	v_cmp_eq_u64_e32 vcc, v[9:10], v[2:3]
	v_mov_b32_e32 v2, v9
	s_or_b64 s[4:5], vcc, s[4:5]
	v_mov_b32_e32 v3, v10
	s_andn2_b64 exec, exec, s[4:5]
	s_cbranch_execnz .LBB3_990
.LBB3_991:
	s_or_b64 exec, exec, s[16:17]
	v_readfirstlane_b32 s4, v51
	v_mov_b32_e32 v8, 0
	v_mov_b32_e32 v9, 0
	v_cmp_eq_u32_e64 s[4:5], s4, v51
	s_and_saveexec_b64 s[10:11], s[4:5]
	s_cbranch_execz .LBB3_997
; %bb.992:
	v_mov_b32_e32 v0, 0
	global_load_dwordx2 v[10:11], v0, s[36:37] offset:24 glc
	s_waitcnt vmcnt(0)
	buffer_wbinvl1_vol
	global_load_dwordx2 v[1:2], v0, s[36:37] offset:40
	global_load_dwordx2 v[6:7], v0, s[36:37]
	s_waitcnt vmcnt(1)
	v_and_b32_e32 v1, v1, v10
	v_and_b32_e32 v2, v2, v11
	v_mul_lo_u32 v2, v2, 24
	v_mul_hi_u32 v3, v1, 24
	v_mul_lo_u32 v1, v1, 24
	v_add_u32_e32 v2, v3, v2
	s_waitcnt vmcnt(0)
	v_add_co_u32_e32 v1, vcc, v6, v1
	v_addc_co_u32_e32 v2, vcc, v7, v2, vcc
	global_load_dwordx2 v[8:9], v[1:2], off glc
	s_waitcnt vmcnt(0)
	global_atomic_cmpswap_x2 v[8:9], v0, v[8:11], s[36:37] offset:24 glc
	s_waitcnt vmcnt(0)
	buffer_wbinvl1_vol
	v_cmp_ne_u64_e32 vcc, v[8:9], v[10:11]
	s_and_saveexec_b64 s[16:17], vcc
	s_cbranch_execz .LBB3_996
; %bb.993:
	s_mov_b64 s[18:19], 0
.LBB3_994:                              ; =>This Inner Loop Header: Depth=1
	s_sleep 1
	global_load_dwordx2 v[1:2], v0, s[36:37] offset:40
	global_load_dwordx2 v[6:7], v0, s[36:37]
	v_mov_b32_e32 v11, v9
	v_mov_b32_e32 v10, v8
	s_waitcnt vmcnt(1)
	v_and_b32_e32 v1, v1, v10
	s_waitcnt vmcnt(0)
	v_mad_u64_u32 v[6:7], s[20:21], v1, 24, v[6:7]
	v_and_b32_e32 v2, v2, v11
	v_mov_b32_e32 v1, v7
	v_mad_u64_u32 v[1:2], s[20:21], v2, 24, v[1:2]
	v_mov_b32_e32 v7, v1
	global_load_dwordx2 v[8:9], v[6:7], off glc
	s_waitcnt vmcnt(0)
	global_atomic_cmpswap_x2 v[8:9], v0, v[8:11], s[36:37] offset:24 glc
	s_waitcnt vmcnt(0)
	buffer_wbinvl1_vol
	v_cmp_eq_u64_e32 vcc, v[8:9], v[10:11]
	s_or_b64 s[18:19], vcc, s[18:19]
	s_andn2_b64 exec, exec, s[18:19]
	s_cbranch_execnz .LBB3_994
; %bb.995:
	s_or_b64 exec, exec, s[18:19]
.LBB3_996:
	s_or_b64 exec, exec, s[16:17]
.LBB3_997:
	s_or_b64 exec, exec, s[10:11]
	v_mov_b32_e32 v7, 0
	global_load_dwordx2 v[10:11], v7, s[36:37] offset:40
	global_load_dwordx4 v[0:3], v7, s[36:37]
	v_readfirstlane_b32 s10, v8
	v_readfirstlane_b32 s11, v9
	s_mov_b64 s[16:17], exec
	s_waitcnt vmcnt(1)
	v_readfirstlane_b32 s18, v10
	v_readfirstlane_b32 s19, v11
	s_and_b64 s[18:19], s[10:11], s[18:19]
	s_mul_i32 s15, s19, 24
	s_mul_hi_u32 s20, s18, 24
	s_mul_i32 s21, s18, 24
	s_add_i32 s15, s20, s15
	v_mov_b32_e32 v6, s15
	s_waitcnt vmcnt(0)
	v_add_co_u32_e32 v10, vcc, s21, v0
	v_addc_co_u32_e32 v11, vcc, v1, v6, vcc
	s_and_saveexec_b64 s[20:21], s[4:5]
	s_cbranch_execz .LBB3_999
; %bb.998:
	v_mov_b32_e32 v12, s16
	v_mov_b32_e32 v13, s17
	;; [unrolled: 1-line block ×4, first 2 shown]
	global_store_dwordx4 v[10:11], v[12:15], off offset:8
.LBB3_999:
	s_or_b64 exec, exec, s[20:21]
	s_lshl_b64 s[16:17], s[18:19], 12
	v_mov_b32_e32 v6, s17
	v_add_co_u32_e32 v2, vcc, s16, v2
	v_addc_co_u32_e32 v3, vcc, v3, v6, vcc
	s_mov_b32 s16, 0
	v_mov_b32_e32 v6, 33
	v_mov_b32_e32 v8, v7
	;; [unrolled: 1-line block ×3, first 2 shown]
	v_readfirstlane_b32 s20, v2
	v_readfirstlane_b32 s21, v3
	v_add_co_u32_e32 v12, vcc, v2, v50
	s_mov_b32 s17, s16
	s_mov_b32 s18, s16
	;; [unrolled: 1-line block ×3, first 2 shown]
	s_nop 0
	global_store_dwordx4 v50, v[6:9], s[20:21]
	v_addc_co_u32_e32 v13, vcc, 0, v3, vcc
	v_mov_b32_e32 v6, s16
	v_mov_b32_e32 v7, s17
	;; [unrolled: 1-line block ×4, first 2 shown]
	global_store_dwordx4 v50, v[6:9], s[20:21] offset:16
	global_store_dwordx4 v50, v[6:9], s[20:21] offset:32
	;; [unrolled: 1-line block ×3, first 2 shown]
	s_and_saveexec_b64 s[16:17], s[4:5]
	s_cbranch_execz .LBB3_1007
; %bb.1000:
	v_mov_b32_e32 v8, 0
	global_load_dwordx2 v[16:17], v8, s[36:37] offset:32 glc
	global_load_dwordx2 v[2:3], v8, s[36:37] offset:40
	v_mov_b32_e32 v14, s10
	v_mov_b32_e32 v15, s11
	s_waitcnt vmcnt(0)
	v_readfirstlane_b32 s18, v2
	v_readfirstlane_b32 s19, v3
	s_and_b64 s[18:19], s[18:19], s[10:11]
	s_mul_i32 s15, s19, 24
	s_mul_hi_u32 s19, s18, 24
	s_mul_i32 s18, s18, 24
	s_add_i32 s15, s19, s15
	v_mov_b32_e32 v2, s15
	v_add_co_u32_e32 v6, vcc, s18, v0
	v_addc_co_u32_e32 v7, vcc, v1, v2, vcc
	global_store_dwordx2 v[6:7], v[16:17], off
	s_waitcnt vmcnt(0)
	global_atomic_cmpswap_x2 v[2:3], v8, v[14:17], s[36:37] offset:32 glc
	s_waitcnt vmcnt(0)
	v_cmp_ne_u64_e32 vcc, v[2:3], v[16:17]
	s_and_saveexec_b64 s[18:19], vcc
	s_cbranch_execz .LBB3_1003
; %bb.1001:
	s_mov_b64 s[20:21], 0
.LBB3_1002:                             ; =>This Inner Loop Header: Depth=1
	s_sleep 1
	global_store_dwordx2 v[6:7], v[2:3], off
	v_mov_b32_e32 v0, s10
	v_mov_b32_e32 v1, s11
	s_waitcnt vmcnt(0)
	global_atomic_cmpswap_x2 v[0:1], v8, v[0:3], s[36:37] offset:32 glc
	s_waitcnt vmcnt(0)
	v_cmp_eq_u64_e32 vcc, v[0:1], v[2:3]
	v_mov_b32_e32 v3, v1
	s_or_b64 s[20:21], vcc, s[20:21]
	v_mov_b32_e32 v2, v0
	s_andn2_b64 exec, exec, s[20:21]
	s_cbranch_execnz .LBB3_1002
.LBB3_1003:
	s_or_b64 exec, exec, s[18:19]
	v_mov_b32_e32 v3, 0
	global_load_dwordx2 v[0:1], v3, s[36:37] offset:16
	s_mov_b64 s[18:19], exec
	v_mbcnt_lo_u32_b32 v2, s18, 0
	v_mbcnt_hi_u32_b32 v2, s19, v2
	v_cmp_eq_u32_e32 vcc, 0, v2
	s_and_saveexec_b64 s[20:21], vcc
	s_cbranch_execz .LBB3_1005
; %bb.1004:
	s_bcnt1_i32_b64 s15, s[18:19]
	v_mov_b32_e32 v2, s15
	s_waitcnt vmcnt(0)
	global_atomic_add_x2 v[0:1], v[2:3], off offset:8
.LBB3_1005:
	s_or_b64 exec, exec, s[20:21]
	s_waitcnt vmcnt(0)
	global_load_dwordx2 v[2:3], v[0:1], off offset:16
	s_waitcnt vmcnt(0)
	v_cmp_eq_u64_e32 vcc, 0, v[2:3]
	s_cbranch_vccnz .LBB3_1007
; %bb.1006:
	global_load_dword v0, v[0:1], off offset:24
	v_mov_b32_e32 v1, 0
	s_waitcnt vmcnt(0)
	global_store_dwordx2 v[2:3], v[0:1], off
	v_and_b32_e32 v0, 0xffffff, v0
	v_readfirstlane_b32 m0, v0
	s_sendmsg sendmsg(MSG_INTERRUPT)
.LBB3_1007:
	s_or_b64 exec, exec, s[16:17]
	s_branch .LBB3_1011
.LBB3_1008:                             ;   in Loop: Header=BB3_1011 Depth=1
	s_or_b64 exec, exec, s[16:17]
	v_readfirstlane_b32 s15, v0
	s_cmp_eq_u32 s15, 0
	s_cbranch_scc1 .LBB3_1010
; %bb.1009:                             ;   in Loop: Header=BB3_1011 Depth=1
	s_sleep 1
	s_cbranch_execnz .LBB3_1011
	s_branch .LBB3_1013
.LBB3_1010:
	s_branch .LBB3_1013
.LBB3_1011:                             ; =>This Inner Loop Header: Depth=1
	v_mov_b32_e32 v0, 1
	s_and_saveexec_b64 s[16:17], s[4:5]
	s_cbranch_execz .LBB3_1008
; %bb.1012:                             ;   in Loop: Header=BB3_1011 Depth=1
	global_load_dword v0, v[10:11], off offset:20 glc
	s_waitcnt vmcnt(0)
	buffer_wbinvl1_vol
	v_and_b32_e32 v0, 1, v0
	s_branch .LBB3_1008
.LBB3_1013:
	global_load_dwordx2 v[0:1], v[12:13], off
	s_and_saveexec_b64 s[16:17], s[4:5]
	s_cbranch_execz .LBB3_1016
; %bb.1014:
	v_mov_b32_e32 v10, 0
	global_load_dwordx2 v[2:3], v10, s[36:37] offset:40
	global_load_dwordx2 v[11:12], v10, s[36:37] offset:24 glc
	global_load_dwordx2 v[13:14], v10, s[36:37]
	v_mov_b32_e32 v7, s11
	s_mov_b64 s[4:5], 0
	s_waitcnt vmcnt(2)
	v_add_co_u32_e32 v8, vcc, 1, v2
	v_addc_co_u32_e32 v9, vcc, 0, v3, vcc
	v_add_co_u32_e32 v6, vcc, s10, v8
	v_addc_co_u32_e32 v7, vcc, v9, v7, vcc
	v_cmp_eq_u64_e32 vcc, 0, v[6:7]
	v_cndmask_b32_e32 v7, v7, v9, vcc
	v_cndmask_b32_e32 v6, v6, v8, vcc
	v_and_b32_e32 v3, v7, v3
	v_and_b32_e32 v2, v6, v2
	v_mul_lo_u32 v3, v3, 24
	v_mul_hi_u32 v9, v2, 24
	v_mul_lo_u32 v2, v2, 24
	s_waitcnt vmcnt(1)
	v_mov_b32_e32 v8, v11
	v_add_u32_e32 v3, v9, v3
	s_waitcnt vmcnt(0)
	v_add_co_u32_e32 v2, vcc, v13, v2
	v_addc_co_u32_e32 v3, vcc, v14, v3, vcc
	global_store_dwordx2 v[2:3], v[11:12], off
	v_mov_b32_e32 v9, v12
	s_waitcnt vmcnt(0)
	global_atomic_cmpswap_x2 v[8:9], v10, v[6:9], s[36:37] offset:24 glc
	s_waitcnt vmcnt(0)
	v_cmp_ne_u64_e32 vcc, v[8:9], v[11:12]
	s_and_b64 exec, exec, vcc
	s_cbranch_execz .LBB3_1016
.LBB3_1015:                             ; =>This Inner Loop Header: Depth=1
	s_sleep 1
	global_store_dwordx2 v[2:3], v[8:9], off
	s_waitcnt vmcnt(0)
	global_atomic_cmpswap_x2 v[11:12], v10, v[6:9], s[36:37] offset:24 glc
	s_waitcnt vmcnt(0)
	v_cmp_eq_u64_e32 vcc, v[11:12], v[8:9]
	v_mov_b32_e32 v8, v11
	s_or_b64 s[4:5], vcc, s[4:5]
	v_mov_b32_e32 v9, v12
	s_andn2_b64 exec, exec, s[4:5]
	s_cbranch_execnz .LBB3_1015
.LBB3_1016:
	s_or_b64 exec, exec, s[16:17]
	s_and_b64 vcc, exec, s[38:39]
	s_cbranch_vccz .LBB3_1101
; %bb.1017:
	s_waitcnt vmcnt(0)
	v_and_b32_e32 v34, 2, v0
	v_mov_b32_e32 v3, 0
	v_and_b32_e32 v6, -3, v0
	v_mov_b32_e32 v7, v1
	s_mov_b64 s[16:17], 3
	v_mov_b32_e32 v10, 2
	v_mov_b32_e32 v11, 1
	s_getpc_b64 s[10:11]
	s_add_u32 s10, s10, .str.8@rel32@lo+4
	s_addc_u32 s11, s11, .str.8@rel32@hi+12
	s_branch .LBB3_1019
.LBB3_1018:                             ;   in Loop: Header=BB3_1019 Depth=1
	s_or_b64 exec, exec, s[22:23]
	s_sub_u32 s16, s16, s18
	s_subb_u32 s17, s17, s19
	s_add_u32 s10, s10, s18
	s_addc_u32 s11, s11, s19
	s_cmp_lg_u64 s[16:17], 0
	s_cbranch_scc0 .LBB3_1100
.LBB3_1019:                             ; =>This Loop Header: Depth=1
                                        ;     Child Loop BB3_1022 Depth 2
                                        ;     Child Loop BB3_1029 Depth 2
	;; [unrolled: 1-line block ×11, first 2 shown]
	v_cmp_lt_u64_e64 s[4:5], s[16:17], 56
	v_cmp_gt_u64_e64 s[20:21], s[16:17], 7
	s_and_b64 s[4:5], s[4:5], exec
	s_cselect_b32 s19, s17, 0
	s_cselect_b32 s18, s16, 56
	s_and_b64 vcc, exec, s[20:21]
	s_cbranch_vccnz .LBB3_1024
; %bb.1020:                             ;   in Loop: Header=BB3_1019 Depth=1
	v_mov_b32_e32 v14, 0
	s_cmp_eq_u64 s[16:17], 0
	v_mov_b32_e32 v15, 0
	s_mov_b64 s[4:5], 0
	s_cbranch_scc1 .LBB3_1023
; %bb.1021:                             ;   in Loop: Header=BB3_1019 Depth=1
	v_mov_b32_e32 v14, 0
	s_lshl_b64 s[20:21], s[18:19], 3
	s_mov_b64 s[22:23], 0
	v_mov_b32_e32 v15, 0
	s_mov_b64 s[24:25], s[10:11]
.LBB3_1022:                             ;   Parent Loop BB3_1019 Depth=1
                                        ; =>  This Inner Loop Header: Depth=2
	global_load_ubyte v2, v3, s[24:25]
	s_waitcnt vmcnt(0)
	v_and_b32_e32 v2, 0xffff, v2
	v_lshlrev_b64 v[8:9], s22, v[2:3]
	s_add_u32 s22, s22, 8
	s_addc_u32 s23, s23, 0
	s_add_u32 s24, s24, 1
	s_addc_u32 s25, s25, 0
	v_or_b32_e32 v14, v8, v14
	s_cmp_lg_u32 s20, s22
	v_or_b32_e32 v15, v9, v15
	s_cbranch_scc1 .LBB3_1022
.LBB3_1023:                             ;   in Loop: Header=BB3_1019 Depth=1
	s_mov_b32 s15, 0
	s_andn2_b64 vcc, exec, s[4:5]
	s_mov_b64 s[4:5], s[10:11]
	s_cbranch_vccz .LBB3_1025
	s_branch .LBB3_1026
.LBB3_1024:                             ;   in Loop: Header=BB3_1019 Depth=1
                                        ; implicit-def: $vgpr14_vgpr15
                                        ; implicit-def: $sgpr15
	s_mov_b64 s[4:5], s[10:11]
.LBB3_1025:                             ;   in Loop: Header=BB3_1019 Depth=1
	global_load_dwordx2 v[14:15], v3, s[10:11]
	s_add_i32 s15, s18, -8
	s_add_u32 s4, s10, 8
	s_addc_u32 s5, s11, 0
.LBB3_1026:                             ;   in Loop: Header=BB3_1019 Depth=1
	s_cmp_gt_u32 s15, 7
	s_cbranch_scc1 .LBB3_1030
; %bb.1027:                             ;   in Loop: Header=BB3_1019 Depth=1
	s_cmp_eq_u32 s15, 0
	s_cbranch_scc1 .LBB3_1031
; %bb.1028:                             ;   in Loop: Header=BB3_1019 Depth=1
	v_mov_b32_e32 v16, 0
	s_mov_b64 s[20:21], 0
	v_mov_b32_e32 v17, 0
	s_mov_b64 s[22:23], 0
.LBB3_1029:                             ;   Parent Loop BB3_1019 Depth=1
                                        ; =>  This Inner Loop Header: Depth=2
	s_add_u32 s24, s4, s22
	s_addc_u32 s25, s5, s23
	global_load_ubyte v2, v3, s[24:25]
	s_add_u32 s22, s22, 1
	s_addc_u32 s23, s23, 0
	s_waitcnt vmcnt(0)
	v_and_b32_e32 v2, 0xffff, v2
	v_lshlrev_b64 v[8:9], s20, v[2:3]
	s_add_u32 s20, s20, 8
	s_addc_u32 s21, s21, 0
	v_or_b32_e32 v16, v8, v16
	s_cmp_lg_u32 s15, s22
	v_or_b32_e32 v17, v9, v17
	s_cbranch_scc1 .LBB3_1029
	s_branch .LBB3_1032
.LBB3_1030:                             ;   in Loop: Header=BB3_1019 Depth=1
                                        ; implicit-def: $vgpr16_vgpr17
                                        ; implicit-def: $sgpr24
	s_branch .LBB3_1033
.LBB3_1031:                             ;   in Loop: Header=BB3_1019 Depth=1
	v_mov_b32_e32 v16, 0
	v_mov_b32_e32 v17, 0
.LBB3_1032:                             ;   in Loop: Header=BB3_1019 Depth=1
	s_mov_b32 s24, 0
	s_cbranch_execnz .LBB3_1034
.LBB3_1033:                             ;   in Loop: Header=BB3_1019 Depth=1
	global_load_dwordx2 v[16:17], v3, s[4:5]
	s_add_i32 s24, s15, -8
	s_add_u32 s4, s4, 8
	s_addc_u32 s5, s5, 0
.LBB3_1034:                             ;   in Loop: Header=BB3_1019 Depth=1
	s_cmp_gt_u32 s24, 7
	s_cbranch_scc1 .LBB3_1038
; %bb.1035:                             ;   in Loop: Header=BB3_1019 Depth=1
	s_cmp_eq_u32 s24, 0
	s_cbranch_scc1 .LBB3_1039
; %bb.1036:                             ;   in Loop: Header=BB3_1019 Depth=1
	v_mov_b32_e32 v18, 0
	s_mov_b64 s[20:21], 0
	v_mov_b32_e32 v19, 0
	s_mov_b64 s[22:23], 0
.LBB3_1037:                             ;   Parent Loop BB3_1019 Depth=1
                                        ; =>  This Inner Loop Header: Depth=2
	s_add_u32 s26, s4, s22
	s_addc_u32 s27, s5, s23
	global_load_ubyte v2, v3, s[26:27]
	s_add_u32 s22, s22, 1
	s_addc_u32 s23, s23, 0
	s_waitcnt vmcnt(0)
	v_and_b32_e32 v2, 0xffff, v2
	v_lshlrev_b64 v[8:9], s20, v[2:3]
	s_add_u32 s20, s20, 8
	s_addc_u32 s21, s21, 0
	v_or_b32_e32 v18, v8, v18
	s_cmp_lg_u32 s24, s22
	v_or_b32_e32 v19, v9, v19
	s_cbranch_scc1 .LBB3_1037
	s_branch .LBB3_1040
.LBB3_1038:                             ;   in Loop: Header=BB3_1019 Depth=1
                                        ; implicit-def: $sgpr15
	s_branch .LBB3_1041
.LBB3_1039:                             ;   in Loop: Header=BB3_1019 Depth=1
	v_mov_b32_e32 v18, 0
	v_mov_b32_e32 v19, 0
.LBB3_1040:                             ;   in Loop: Header=BB3_1019 Depth=1
	s_mov_b32 s15, 0
	s_cbranch_execnz .LBB3_1042
.LBB3_1041:                             ;   in Loop: Header=BB3_1019 Depth=1
	global_load_dwordx2 v[18:19], v3, s[4:5]
	s_add_i32 s15, s24, -8
	s_add_u32 s4, s4, 8
	s_addc_u32 s5, s5, 0
.LBB3_1042:                             ;   in Loop: Header=BB3_1019 Depth=1
	s_cmp_gt_u32 s15, 7
	s_cbranch_scc1 .LBB3_1046
; %bb.1043:                             ;   in Loop: Header=BB3_1019 Depth=1
	s_cmp_eq_u32 s15, 0
	s_cbranch_scc1 .LBB3_1047
; %bb.1044:                             ;   in Loop: Header=BB3_1019 Depth=1
	v_mov_b32_e32 v20, 0
	s_mov_b64 s[20:21], 0
	v_mov_b32_e32 v21, 0
	s_mov_b64 s[22:23], 0
.LBB3_1045:                             ;   Parent Loop BB3_1019 Depth=1
                                        ; =>  This Inner Loop Header: Depth=2
	s_add_u32 s24, s4, s22
	s_addc_u32 s25, s5, s23
	global_load_ubyte v2, v3, s[24:25]
	s_add_u32 s22, s22, 1
	s_addc_u32 s23, s23, 0
	s_waitcnt vmcnt(0)
	v_and_b32_e32 v2, 0xffff, v2
	v_lshlrev_b64 v[8:9], s20, v[2:3]
	s_add_u32 s20, s20, 8
	s_addc_u32 s21, s21, 0
	v_or_b32_e32 v20, v8, v20
	s_cmp_lg_u32 s15, s22
	v_or_b32_e32 v21, v9, v21
	s_cbranch_scc1 .LBB3_1045
	s_branch .LBB3_1048
.LBB3_1046:                             ;   in Loop: Header=BB3_1019 Depth=1
                                        ; implicit-def: $vgpr20_vgpr21
                                        ; implicit-def: $sgpr24
	s_branch .LBB3_1049
.LBB3_1047:                             ;   in Loop: Header=BB3_1019 Depth=1
	v_mov_b32_e32 v20, 0
	v_mov_b32_e32 v21, 0
.LBB3_1048:                             ;   in Loop: Header=BB3_1019 Depth=1
	s_mov_b32 s24, 0
	s_cbranch_execnz .LBB3_1050
.LBB3_1049:                             ;   in Loop: Header=BB3_1019 Depth=1
	global_load_dwordx2 v[20:21], v3, s[4:5]
	s_add_i32 s24, s15, -8
	s_add_u32 s4, s4, 8
	s_addc_u32 s5, s5, 0
.LBB3_1050:                             ;   in Loop: Header=BB3_1019 Depth=1
	s_cmp_gt_u32 s24, 7
	s_cbranch_scc1 .LBB3_1054
; %bb.1051:                             ;   in Loop: Header=BB3_1019 Depth=1
	s_cmp_eq_u32 s24, 0
	s_cbranch_scc1 .LBB3_1055
; %bb.1052:                             ;   in Loop: Header=BB3_1019 Depth=1
	v_mov_b32_e32 v22, 0
	s_mov_b64 s[20:21], 0
	v_mov_b32_e32 v23, 0
	s_mov_b64 s[22:23], 0
.LBB3_1053:                             ;   Parent Loop BB3_1019 Depth=1
                                        ; =>  This Inner Loop Header: Depth=2
	s_add_u32 s26, s4, s22
	s_addc_u32 s27, s5, s23
	global_load_ubyte v2, v3, s[26:27]
	s_add_u32 s22, s22, 1
	s_addc_u32 s23, s23, 0
	s_waitcnt vmcnt(0)
	v_and_b32_e32 v2, 0xffff, v2
	v_lshlrev_b64 v[8:9], s20, v[2:3]
	s_add_u32 s20, s20, 8
	s_addc_u32 s21, s21, 0
	v_or_b32_e32 v22, v8, v22
	s_cmp_lg_u32 s24, s22
	v_or_b32_e32 v23, v9, v23
	s_cbranch_scc1 .LBB3_1053
	s_branch .LBB3_1056
.LBB3_1054:                             ;   in Loop: Header=BB3_1019 Depth=1
                                        ; implicit-def: $sgpr15
	s_branch .LBB3_1057
.LBB3_1055:                             ;   in Loop: Header=BB3_1019 Depth=1
	v_mov_b32_e32 v22, 0
	v_mov_b32_e32 v23, 0
.LBB3_1056:                             ;   in Loop: Header=BB3_1019 Depth=1
	s_mov_b32 s15, 0
	s_cbranch_execnz .LBB3_1058
.LBB3_1057:                             ;   in Loop: Header=BB3_1019 Depth=1
	global_load_dwordx2 v[22:23], v3, s[4:5]
	s_add_i32 s15, s24, -8
	s_add_u32 s4, s4, 8
	s_addc_u32 s5, s5, 0
.LBB3_1058:                             ;   in Loop: Header=BB3_1019 Depth=1
	s_cmp_gt_u32 s15, 7
	s_cbranch_scc1 .LBB3_1062
; %bb.1059:                             ;   in Loop: Header=BB3_1019 Depth=1
	s_cmp_eq_u32 s15, 0
	s_cbranch_scc1 .LBB3_1063
; %bb.1060:                             ;   in Loop: Header=BB3_1019 Depth=1
	v_mov_b32_e32 v24, 0
	s_mov_b64 s[20:21], 0
	v_mov_b32_e32 v25, 0
	s_mov_b64 s[22:23], 0
.LBB3_1061:                             ;   Parent Loop BB3_1019 Depth=1
                                        ; =>  This Inner Loop Header: Depth=2
	s_add_u32 s24, s4, s22
	s_addc_u32 s25, s5, s23
	global_load_ubyte v2, v3, s[24:25]
	s_add_u32 s22, s22, 1
	s_addc_u32 s23, s23, 0
	s_waitcnt vmcnt(0)
	v_and_b32_e32 v2, 0xffff, v2
	v_lshlrev_b64 v[8:9], s20, v[2:3]
	s_add_u32 s20, s20, 8
	s_addc_u32 s21, s21, 0
	v_or_b32_e32 v24, v8, v24
	s_cmp_lg_u32 s15, s22
	v_or_b32_e32 v25, v9, v25
	s_cbranch_scc1 .LBB3_1061
	s_branch .LBB3_1064
.LBB3_1062:                             ;   in Loop: Header=BB3_1019 Depth=1
                                        ; implicit-def: $vgpr24_vgpr25
                                        ; implicit-def: $sgpr24
	s_branch .LBB3_1065
.LBB3_1063:                             ;   in Loop: Header=BB3_1019 Depth=1
	v_mov_b32_e32 v24, 0
	v_mov_b32_e32 v25, 0
.LBB3_1064:                             ;   in Loop: Header=BB3_1019 Depth=1
	s_mov_b32 s24, 0
	s_cbranch_execnz .LBB3_1066
.LBB3_1065:                             ;   in Loop: Header=BB3_1019 Depth=1
	global_load_dwordx2 v[24:25], v3, s[4:5]
	s_add_i32 s24, s15, -8
	s_add_u32 s4, s4, 8
	s_addc_u32 s5, s5, 0
.LBB3_1066:                             ;   in Loop: Header=BB3_1019 Depth=1
	s_cmp_gt_u32 s24, 7
	s_cbranch_scc1 .LBB3_1070
; %bb.1067:                             ;   in Loop: Header=BB3_1019 Depth=1
	s_cmp_eq_u32 s24, 0
	s_cbranch_scc1 .LBB3_1071
; %bb.1068:                             ;   in Loop: Header=BB3_1019 Depth=1
	v_mov_b32_e32 v26, 0
	s_mov_b64 s[20:21], 0
	v_mov_b32_e32 v27, 0
	s_mov_b64 s[22:23], s[4:5]
.LBB3_1069:                             ;   Parent Loop BB3_1019 Depth=1
                                        ; =>  This Inner Loop Header: Depth=2
	global_load_ubyte v2, v3, s[22:23]
	s_add_i32 s24, s24, -1
	s_waitcnt vmcnt(0)
	v_and_b32_e32 v2, 0xffff, v2
	v_lshlrev_b64 v[8:9], s20, v[2:3]
	s_add_u32 s20, s20, 8
	s_addc_u32 s21, s21, 0
	s_add_u32 s22, s22, 1
	s_addc_u32 s23, s23, 0
	v_or_b32_e32 v26, v8, v26
	s_cmp_lg_u32 s24, 0
	v_or_b32_e32 v27, v9, v27
	s_cbranch_scc1 .LBB3_1069
	s_branch .LBB3_1072
.LBB3_1070:                             ;   in Loop: Header=BB3_1019 Depth=1
	s_branch .LBB3_1073
.LBB3_1071:                             ;   in Loop: Header=BB3_1019 Depth=1
	v_mov_b32_e32 v26, 0
	v_mov_b32_e32 v27, 0
.LBB3_1072:                             ;   in Loop: Header=BB3_1019 Depth=1
	s_cbranch_execnz .LBB3_1074
.LBB3_1073:                             ;   in Loop: Header=BB3_1019 Depth=1
	global_load_dwordx2 v[26:27], v3, s[4:5]
.LBB3_1074:                             ;   in Loop: Header=BB3_1019 Depth=1
	v_readfirstlane_b32 s4, v51
	s_waitcnt vmcnt(0)
	v_mov_b32_e32 v8, 0
	v_mov_b32_e32 v9, 0
	v_cmp_eq_u32_e64 s[4:5], s4, v51
	s_and_saveexec_b64 s[20:21], s[4:5]
	s_cbranch_execz .LBB3_1080
; %bb.1075:                             ;   in Loop: Header=BB3_1019 Depth=1
	global_load_dwordx2 v[30:31], v3, s[36:37] offset:24 glc
	s_waitcnt vmcnt(0)
	buffer_wbinvl1_vol
	global_load_dwordx2 v[8:9], v3, s[36:37] offset:40
	global_load_dwordx2 v[12:13], v3, s[36:37]
	s_waitcnt vmcnt(1)
	v_and_b32_e32 v2, v8, v30
	v_and_b32_e32 v8, v9, v31
	v_mul_lo_u32 v8, v8, 24
	v_mul_hi_u32 v9, v2, 24
	v_mul_lo_u32 v2, v2, 24
	v_add_u32_e32 v9, v9, v8
	s_waitcnt vmcnt(0)
	v_add_co_u32_e32 v8, vcc, v12, v2
	v_addc_co_u32_e32 v9, vcc, v13, v9, vcc
	global_load_dwordx2 v[28:29], v[8:9], off glc
	s_waitcnt vmcnt(0)
	global_atomic_cmpswap_x2 v[8:9], v3, v[28:31], s[36:37] offset:24 glc
	s_waitcnt vmcnt(0)
	buffer_wbinvl1_vol
	v_cmp_ne_u64_e32 vcc, v[8:9], v[30:31]
	s_and_saveexec_b64 s[22:23], vcc
	s_cbranch_execz .LBB3_1079
; %bb.1076:                             ;   in Loop: Header=BB3_1019 Depth=1
	s_mov_b64 s[24:25], 0
.LBB3_1077:                             ;   Parent Loop BB3_1019 Depth=1
                                        ; =>  This Inner Loop Header: Depth=2
	s_sleep 1
	global_load_dwordx2 v[12:13], v3, s[36:37] offset:40
	global_load_dwordx2 v[28:29], v3, s[36:37]
	v_mov_b32_e32 v31, v9
	v_mov_b32_e32 v30, v8
	s_waitcnt vmcnt(1)
	v_and_b32_e32 v2, v12, v30
	s_waitcnt vmcnt(0)
	v_mad_u64_u32 v[8:9], s[26:27], v2, 24, v[28:29]
	v_and_b32_e32 v12, v13, v31
	v_mov_b32_e32 v2, v9
	v_mad_u64_u32 v[12:13], s[26:27], v12, 24, v[2:3]
	v_mov_b32_e32 v9, v12
	global_load_dwordx2 v[28:29], v[8:9], off glc
	s_waitcnt vmcnt(0)
	global_atomic_cmpswap_x2 v[8:9], v3, v[28:31], s[36:37] offset:24 glc
	s_waitcnt vmcnt(0)
	buffer_wbinvl1_vol
	v_cmp_eq_u64_e32 vcc, v[8:9], v[30:31]
	s_or_b64 s[24:25], vcc, s[24:25]
	s_andn2_b64 exec, exec, s[24:25]
	s_cbranch_execnz .LBB3_1077
; %bb.1078:                             ;   in Loop: Header=BB3_1019 Depth=1
	s_or_b64 exec, exec, s[24:25]
.LBB3_1079:                             ;   in Loop: Header=BB3_1019 Depth=1
	s_or_b64 exec, exec, s[22:23]
.LBB3_1080:                             ;   in Loop: Header=BB3_1019 Depth=1
	s_or_b64 exec, exec, s[20:21]
	global_load_dwordx2 v[12:13], v3, s[36:37] offset:40
	global_load_dwordx4 v[28:31], v3, s[36:37]
	v_readfirstlane_b32 s20, v8
	v_readfirstlane_b32 s21, v9
	s_mov_b64 s[22:23], exec
	s_waitcnt vmcnt(1)
	v_readfirstlane_b32 s24, v12
	v_readfirstlane_b32 s25, v13
	s_and_b64 s[24:25], s[20:21], s[24:25]
	s_mul_i32 s15, s25, 24
	s_mul_hi_u32 s26, s24, 24
	s_mul_i32 s27, s24, 24
	s_add_i32 s15, s26, s15
	v_mov_b32_e32 v2, s15
	s_waitcnt vmcnt(0)
	v_add_co_u32_e32 v32, vcc, s27, v28
	v_addc_co_u32_e32 v33, vcc, v29, v2, vcc
	s_and_saveexec_b64 s[26:27], s[4:5]
	s_cbranch_execz .LBB3_1082
; %bb.1081:                             ;   in Loop: Header=BB3_1019 Depth=1
	v_mov_b32_e32 v8, s22
	v_mov_b32_e32 v9, s23
	global_store_dwordx4 v[32:33], v[8:11], off offset:8
.LBB3_1082:                             ;   in Loop: Header=BB3_1019 Depth=1
	s_or_b64 exec, exec, s[26:27]
	s_lshl_b64 s[22:23], s[24:25], 12
	v_mov_b32_e32 v2, s23
	v_add_co_u32_e32 v30, vcc, s22, v30
	v_addc_co_u32_e32 v31, vcc, v31, v2, vcc
	v_cmp_gt_u64_e64 vcc, s[16:17], 56
	v_or_b32_e32 v2, 0, v7
	v_or_b32_e32 v8, v6, v34
	s_lshl_b32 s15, s18, 2
	v_cndmask_b32_e32 v13, v2, v7, vcc
	v_cndmask_b32_e32 v2, v8, v6, vcc
	s_add_i32 s15, s15, 28
	s_and_b32 s15, s15, 0x1e0
	v_and_b32_e32 v2, 0xffffff1f, v2
	v_or_b32_e32 v12, s15, v2
	v_readfirstlane_b32 s22, v30
	v_readfirstlane_b32 s23, v31
	s_nop 4
	global_store_dwordx4 v50, v[12:15], s[22:23]
	global_store_dwordx4 v50, v[16:19], s[22:23] offset:16
	global_store_dwordx4 v50, v[20:23], s[22:23] offset:32
	;; [unrolled: 1-line block ×3, first 2 shown]
	s_and_saveexec_b64 s[22:23], s[4:5]
	s_cbranch_execz .LBB3_1090
; %bb.1083:                             ;   in Loop: Header=BB3_1019 Depth=1
	global_load_dwordx2 v[16:17], v3, s[36:37] offset:32 glc
	global_load_dwordx2 v[6:7], v3, s[36:37] offset:40
	v_mov_b32_e32 v14, s20
	v_mov_b32_e32 v15, s21
	s_waitcnt vmcnt(0)
	v_readfirstlane_b32 s24, v6
	v_readfirstlane_b32 s25, v7
	s_and_b64 s[24:25], s[24:25], s[20:21]
	s_mul_i32 s15, s25, 24
	s_mul_hi_u32 s25, s24, 24
	s_mul_i32 s24, s24, 24
	s_add_i32 s15, s25, s15
	v_mov_b32_e32 v2, s15
	v_add_co_u32_e32 v12, vcc, s24, v28
	v_addc_co_u32_e32 v13, vcc, v29, v2, vcc
	global_store_dwordx2 v[12:13], v[16:17], off
	s_waitcnt vmcnt(0)
	global_atomic_cmpswap_x2 v[8:9], v3, v[14:17], s[36:37] offset:32 glc
	s_waitcnt vmcnt(0)
	v_cmp_ne_u64_e32 vcc, v[8:9], v[16:17]
	s_and_saveexec_b64 s[24:25], vcc
	s_cbranch_execz .LBB3_1086
; %bb.1084:                             ;   in Loop: Header=BB3_1019 Depth=1
	s_mov_b64 s[26:27], 0
.LBB3_1085:                             ;   Parent Loop BB3_1019 Depth=1
                                        ; =>  This Inner Loop Header: Depth=2
	s_sleep 1
	global_store_dwordx2 v[12:13], v[8:9], off
	v_mov_b32_e32 v6, s20
	v_mov_b32_e32 v7, s21
	s_waitcnt vmcnt(0)
	global_atomic_cmpswap_x2 v[6:7], v3, v[6:9], s[36:37] offset:32 glc
	s_waitcnt vmcnt(0)
	v_cmp_eq_u64_e32 vcc, v[6:7], v[8:9]
	v_mov_b32_e32 v9, v7
	s_or_b64 s[26:27], vcc, s[26:27]
	v_mov_b32_e32 v8, v6
	s_andn2_b64 exec, exec, s[26:27]
	s_cbranch_execnz .LBB3_1085
.LBB3_1086:                             ;   in Loop: Header=BB3_1019 Depth=1
	s_or_b64 exec, exec, s[24:25]
	global_load_dwordx2 v[6:7], v3, s[36:37] offset:16
	s_mov_b64 s[26:27], exec
	v_mbcnt_lo_u32_b32 v2, s26, 0
	v_mbcnt_hi_u32_b32 v2, s27, v2
	v_cmp_eq_u32_e32 vcc, 0, v2
	s_and_saveexec_b64 s[24:25], vcc
	s_cbranch_execz .LBB3_1088
; %bb.1087:                             ;   in Loop: Header=BB3_1019 Depth=1
	s_bcnt1_i32_b64 s15, s[26:27]
	v_mov_b32_e32 v2, s15
	s_waitcnt vmcnt(0)
	global_atomic_add_x2 v[6:7], v[2:3], off offset:8
.LBB3_1088:                             ;   in Loop: Header=BB3_1019 Depth=1
	s_or_b64 exec, exec, s[24:25]
	s_waitcnt vmcnt(0)
	global_load_dwordx2 v[8:9], v[6:7], off offset:16
	s_waitcnt vmcnt(0)
	v_cmp_eq_u64_e32 vcc, 0, v[8:9]
	s_cbranch_vccnz .LBB3_1090
; %bb.1089:                             ;   in Loop: Header=BB3_1019 Depth=1
	global_load_dword v2, v[6:7], off offset:24
	s_waitcnt vmcnt(0)
	global_store_dwordx2 v[8:9], v[2:3], off
	v_and_b32_e32 v2, 0xffffff, v2
	v_readfirstlane_b32 m0, v2
	s_sendmsg sendmsg(MSG_INTERRUPT)
.LBB3_1090:                             ;   in Loop: Header=BB3_1019 Depth=1
	s_or_b64 exec, exec, s[22:23]
	v_add_co_u32_e32 v6, vcc, v30, v50
	v_addc_co_u32_e32 v7, vcc, 0, v31, vcc
	s_branch .LBB3_1094
.LBB3_1091:                             ;   in Loop: Header=BB3_1094 Depth=2
	s_or_b64 exec, exec, s[22:23]
	v_readfirstlane_b32 s15, v2
	s_cmp_eq_u32 s15, 0
	s_cbranch_scc1 .LBB3_1093
; %bb.1092:                             ;   in Loop: Header=BB3_1094 Depth=2
	s_sleep 1
	s_cbranch_execnz .LBB3_1094
	s_branch .LBB3_1096
.LBB3_1093:                             ;   in Loop: Header=BB3_1019 Depth=1
	s_branch .LBB3_1096
.LBB3_1094:                             ;   Parent Loop BB3_1019 Depth=1
                                        ; =>  This Inner Loop Header: Depth=2
	v_mov_b32_e32 v2, 1
	s_and_saveexec_b64 s[22:23], s[4:5]
	s_cbranch_execz .LBB3_1091
; %bb.1095:                             ;   in Loop: Header=BB3_1094 Depth=2
	global_load_dword v2, v[32:33], off offset:20 glc
	s_waitcnt vmcnt(0)
	buffer_wbinvl1_vol
	v_and_b32_e32 v2, 1, v2
	s_branch .LBB3_1091
.LBB3_1096:                             ;   in Loop: Header=BB3_1019 Depth=1
	global_load_dwordx4 v[6:9], v[6:7], off
	s_and_saveexec_b64 s[22:23], s[4:5]
	s_cbranch_execz .LBB3_1018
; %bb.1097:                             ;   in Loop: Header=BB3_1019 Depth=1
	global_load_dwordx2 v[8:9], v3, s[36:37] offset:40
	global_load_dwordx2 v[16:17], v3, s[36:37] offset:24 glc
	global_load_dwordx2 v[18:19], v3, s[36:37]
	v_mov_b32_e32 v2, s21
	s_waitcnt vmcnt(2)
	v_add_co_u32_e32 v14, vcc, 1, v8
	v_addc_co_u32_e32 v15, vcc, 0, v9, vcc
	v_add_co_u32_e32 v12, vcc, s20, v14
	v_addc_co_u32_e32 v13, vcc, v15, v2, vcc
	v_cmp_eq_u64_e32 vcc, 0, v[12:13]
	v_cndmask_b32_e32 v13, v13, v15, vcc
	v_cndmask_b32_e32 v12, v12, v14, vcc
	v_and_b32_e32 v2, v13, v9
	v_and_b32_e32 v8, v12, v8
	v_mul_lo_u32 v2, v2, 24
	v_mul_hi_u32 v9, v8, 24
	v_mul_lo_u32 v8, v8, 24
	s_waitcnt vmcnt(1)
	v_mov_b32_e32 v14, v16
	v_mov_b32_e32 v15, v17
	v_add_u32_e32 v2, v9, v2
	s_waitcnt vmcnt(0)
	v_add_co_u32_e32 v8, vcc, v18, v8
	v_addc_co_u32_e32 v9, vcc, v19, v2, vcc
	global_store_dwordx2 v[8:9], v[16:17], off
	s_waitcnt vmcnt(0)
	global_atomic_cmpswap_x2 v[14:15], v3, v[12:15], s[36:37] offset:24 glc
	s_waitcnt vmcnt(0)
	v_cmp_ne_u64_e32 vcc, v[14:15], v[16:17]
	s_and_b64 exec, exec, vcc
	s_cbranch_execz .LBB3_1018
; %bb.1098:                             ;   in Loop: Header=BB3_1019 Depth=1
	s_mov_b64 s[4:5], 0
.LBB3_1099:                             ;   Parent Loop BB3_1019 Depth=1
                                        ; =>  This Inner Loop Header: Depth=2
	s_sleep 1
	global_store_dwordx2 v[8:9], v[14:15], off
	s_waitcnt vmcnt(0)
	global_atomic_cmpswap_x2 v[16:17], v3, v[12:15], s[36:37] offset:24 glc
	s_waitcnt vmcnt(0)
	v_cmp_eq_u64_e32 vcc, v[16:17], v[14:15]
	v_mov_b32_e32 v14, v16
	s_or_b64 s[4:5], vcc, s[4:5]
	v_mov_b32_e32 v15, v17
	s_andn2_b64 exec, exec, s[4:5]
	s_cbranch_execnz .LBB3_1099
	s_branch .LBB3_1018
.LBB3_1100:
	s_branch .LBB3_1128
.LBB3_1101:
                                        ; implicit-def: $vgpr6_vgpr7
	s_cbranch_execz .LBB3_1128
; %bb.1102:
	v_readfirstlane_b32 s4, v51
	v_mov_b32_e32 v10, 0
	v_mov_b32_e32 v11, 0
	v_cmp_eq_u32_e64 s[4:5], s4, v51
	s_and_saveexec_b64 s[10:11], s[4:5]
	s_cbranch_execz .LBB3_1108
; %bb.1103:
	v_mov_b32_e32 v2, 0
	global_load_dwordx2 v[8:9], v2, s[36:37] offset:24 glc
	s_waitcnt vmcnt(0)
	buffer_wbinvl1_vol
	global_load_dwordx2 v[6:7], v2, s[36:37] offset:40
	global_load_dwordx2 v[10:11], v2, s[36:37]
	s_waitcnt vmcnt(1)
	v_and_b32_e32 v3, v6, v8
	v_and_b32_e32 v6, v7, v9
	v_mul_lo_u32 v6, v6, 24
	v_mul_hi_u32 v7, v3, 24
	v_mul_lo_u32 v3, v3, 24
	v_add_u32_e32 v7, v7, v6
	s_waitcnt vmcnt(0)
	v_add_co_u32_e32 v6, vcc, v10, v3
	v_addc_co_u32_e32 v7, vcc, v11, v7, vcc
	global_load_dwordx2 v[6:7], v[6:7], off glc
	s_waitcnt vmcnt(0)
	global_atomic_cmpswap_x2 v[10:11], v2, v[6:9], s[36:37] offset:24 glc
	s_waitcnt vmcnt(0)
	buffer_wbinvl1_vol
	v_cmp_ne_u64_e32 vcc, v[10:11], v[8:9]
	s_and_saveexec_b64 s[16:17], vcc
	s_cbranch_execz .LBB3_1107
; %bb.1104:
	s_mov_b64 s[18:19], 0
.LBB3_1105:                             ; =>This Inner Loop Header: Depth=1
	s_sleep 1
	global_load_dwordx2 v[6:7], v2, s[36:37] offset:40
	global_load_dwordx2 v[12:13], v2, s[36:37]
	v_mov_b32_e32 v8, v10
	v_mov_b32_e32 v9, v11
	s_waitcnt vmcnt(1)
	v_and_b32_e32 v3, v6, v8
	s_waitcnt vmcnt(0)
	v_mad_u64_u32 v[10:11], s[20:21], v3, 24, v[12:13]
	v_and_b32_e32 v6, v7, v9
	v_mov_b32_e32 v3, v11
	v_mad_u64_u32 v[6:7], s[20:21], v6, 24, v[3:4]
	v_mov_b32_e32 v11, v6
	global_load_dwordx2 v[6:7], v[10:11], off glc
	s_waitcnt vmcnt(0)
	global_atomic_cmpswap_x2 v[10:11], v2, v[6:9], s[36:37] offset:24 glc
	s_waitcnt vmcnt(0)
	buffer_wbinvl1_vol
	v_cmp_eq_u64_e32 vcc, v[10:11], v[8:9]
	s_or_b64 s[18:19], vcc, s[18:19]
	s_andn2_b64 exec, exec, s[18:19]
	s_cbranch_execnz .LBB3_1105
; %bb.1106:
	s_or_b64 exec, exec, s[18:19]
.LBB3_1107:
	s_or_b64 exec, exec, s[16:17]
.LBB3_1108:
	s_or_b64 exec, exec, s[10:11]
	v_mov_b32_e32 v2, 0
	global_load_dwordx2 v[12:13], v2, s[36:37] offset:40
	global_load_dwordx4 v[6:9], v2, s[36:37]
	v_readfirstlane_b32 s10, v10
	v_readfirstlane_b32 s11, v11
	s_mov_b64 s[16:17], exec
	s_waitcnt vmcnt(1)
	v_readfirstlane_b32 s18, v12
	v_readfirstlane_b32 s19, v13
	s_and_b64 s[18:19], s[10:11], s[18:19]
	s_mul_i32 s15, s19, 24
	s_mul_hi_u32 s20, s18, 24
	s_mul_i32 s21, s18, 24
	s_add_i32 s15, s20, s15
	v_mov_b32_e32 v3, s15
	s_waitcnt vmcnt(0)
	v_add_co_u32_e32 v10, vcc, s21, v6
	v_addc_co_u32_e32 v11, vcc, v7, v3, vcc
	s_and_saveexec_b64 s[20:21], s[4:5]
	s_cbranch_execz .LBB3_1110
; %bb.1109:
	v_mov_b32_e32 v12, s16
	v_mov_b32_e32 v13, s17
	;; [unrolled: 1-line block ×4, first 2 shown]
	global_store_dwordx4 v[10:11], v[12:15], off offset:8
.LBB3_1110:
	s_or_b64 exec, exec, s[20:21]
	s_lshl_b64 s[16:17], s[18:19], 12
	v_mov_b32_e32 v3, s17
	v_add_co_u32_e32 v12, vcc, s16, v8
	v_addc_co_u32_e32 v13, vcc, v9, v3, vcc
	s_movk_i32 s15, 0xff1f
	v_and_or_b32 v0, v0, s15, 32
	s_mov_b32 s16, 0
	v_mov_b32_e32 v3, v2
	v_readfirstlane_b32 s20, v12
	v_readfirstlane_b32 s21, v13
	v_add_co_u32_e32 v8, vcc, v12, v50
	s_mov_b32 s17, s16
	s_mov_b32 s18, s16
	;; [unrolled: 1-line block ×3, first 2 shown]
	s_nop 0
	global_store_dwordx4 v50, v[0:3], s[20:21]
	v_addc_co_u32_e32 v9, vcc, 0, v13, vcc
	v_mov_b32_e32 v0, s16
	v_mov_b32_e32 v1, s17
	;; [unrolled: 1-line block ×4, first 2 shown]
	global_store_dwordx4 v50, v[0:3], s[20:21] offset:16
	global_store_dwordx4 v50, v[0:3], s[20:21] offset:32
	;; [unrolled: 1-line block ×3, first 2 shown]
	s_and_saveexec_b64 s[16:17], s[4:5]
	s_cbranch_execz .LBB3_1118
; %bb.1111:
	v_mov_b32_e32 v12, 0
	global_load_dwordx2 v[15:16], v12, s[36:37] offset:32 glc
	global_load_dwordx2 v[0:1], v12, s[36:37] offset:40
	v_mov_b32_e32 v13, s10
	v_mov_b32_e32 v14, s11
	s_waitcnt vmcnt(0)
	v_readfirstlane_b32 s18, v0
	v_readfirstlane_b32 s19, v1
	s_and_b64 s[18:19], s[18:19], s[10:11]
	s_mul_i32 s15, s19, 24
	s_mul_hi_u32 s19, s18, 24
	s_mul_i32 s18, s18, 24
	s_add_i32 s15, s19, s15
	v_mov_b32_e32 v0, s15
	v_add_co_u32_e32 v6, vcc, s18, v6
	v_addc_co_u32_e32 v7, vcc, v7, v0, vcc
	global_store_dwordx2 v[6:7], v[15:16], off
	s_waitcnt vmcnt(0)
	global_atomic_cmpswap_x2 v[2:3], v12, v[13:16], s[36:37] offset:32 glc
	s_waitcnt vmcnt(0)
	v_cmp_ne_u64_e32 vcc, v[2:3], v[15:16]
	s_and_saveexec_b64 s[18:19], vcc
	s_cbranch_execz .LBB3_1114
; %bb.1112:
	s_mov_b64 s[20:21], 0
.LBB3_1113:                             ; =>This Inner Loop Header: Depth=1
	s_sleep 1
	global_store_dwordx2 v[6:7], v[2:3], off
	v_mov_b32_e32 v0, s10
	v_mov_b32_e32 v1, s11
	s_waitcnt vmcnt(0)
	global_atomic_cmpswap_x2 v[0:1], v12, v[0:3], s[36:37] offset:32 glc
	s_waitcnt vmcnt(0)
	v_cmp_eq_u64_e32 vcc, v[0:1], v[2:3]
	v_mov_b32_e32 v3, v1
	s_or_b64 s[20:21], vcc, s[20:21]
	v_mov_b32_e32 v2, v0
	s_andn2_b64 exec, exec, s[20:21]
	s_cbranch_execnz .LBB3_1113
.LBB3_1114:
	s_or_b64 exec, exec, s[18:19]
	v_mov_b32_e32 v3, 0
	global_load_dwordx2 v[0:1], v3, s[36:37] offset:16
	s_mov_b64 s[18:19], exec
	v_mbcnt_lo_u32_b32 v2, s18, 0
	v_mbcnt_hi_u32_b32 v2, s19, v2
	v_cmp_eq_u32_e32 vcc, 0, v2
	s_and_saveexec_b64 s[20:21], vcc
	s_cbranch_execz .LBB3_1116
; %bb.1115:
	s_bcnt1_i32_b64 s15, s[18:19]
	v_mov_b32_e32 v2, s15
	s_waitcnt vmcnt(0)
	global_atomic_add_x2 v[0:1], v[2:3], off offset:8
.LBB3_1116:
	s_or_b64 exec, exec, s[20:21]
	s_waitcnt vmcnt(0)
	global_load_dwordx2 v[2:3], v[0:1], off offset:16
	s_waitcnt vmcnt(0)
	v_cmp_eq_u64_e32 vcc, 0, v[2:3]
	s_cbranch_vccnz .LBB3_1118
; %bb.1117:
	global_load_dword v0, v[0:1], off offset:24
	v_mov_b32_e32 v1, 0
	s_waitcnt vmcnt(0)
	global_store_dwordx2 v[2:3], v[0:1], off
	v_and_b32_e32 v0, 0xffffff, v0
	v_readfirstlane_b32 m0, v0
	s_sendmsg sendmsg(MSG_INTERRUPT)
.LBB3_1118:
	s_or_b64 exec, exec, s[16:17]
	s_branch .LBB3_1122
.LBB3_1119:                             ;   in Loop: Header=BB3_1122 Depth=1
	s_or_b64 exec, exec, s[16:17]
	v_readfirstlane_b32 s15, v0
	s_cmp_eq_u32 s15, 0
	s_cbranch_scc1 .LBB3_1121
; %bb.1120:                             ;   in Loop: Header=BB3_1122 Depth=1
	s_sleep 1
	s_cbranch_execnz .LBB3_1122
	s_branch .LBB3_1124
.LBB3_1121:
	s_branch .LBB3_1124
.LBB3_1122:                             ; =>This Inner Loop Header: Depth=1
	v_mov_b32_e32 v0, 1
	s_and_saveexec_b64 s[16:17], s[4:5]
	s_cbranch_execz .LBB3_1119
; %bb.1123:                             ;   in Loop: Header=BB3_1122 Depth=1
	global_load_dword v0, v[10:11], off offset:20 glc
	s_waitcnt vmcnt(0)
	buffer_wbinvl1_vol
	v_and_b32_e32 v0, 1, v0
	s_branch .LBB3_1119
.LBB3_1124:
	global_load_dwordx2 v[6:7], v[8:9], off
	s_and_saveexec_b64 s[16:17], s[4:5]
	s_cbranch_execz .LBB3_1127
; %bb.1125:
	v_mov_b32_e32 v10, 0
	global_load_dwordx2 v[2:3], v10, s[36:37] offset:40
	global_load_dwordx2 v[11:12], v10, s[36:37] offset:24 glc
	global_load_dwordx2 v[8:9], v10, s[36:37]
	v_mov_b32_e32 v1, s11
	s_mov_b64 s[4:5], 0
	s_waitcnt vmcnt(2)
	v_add_co_u32_e32 v13, vcc, 1, v2
	v_addc_co_u32_e32 v14, vcc, 0, v3, vcc
	v_add_co_u32_e32 v0, vcc, s10, v13
	v_addc_co_u32_e32 v1, vcc, v14, v1, vcc
	v_cmp_eq_u64_e32 vcc, 0, v[0:1]
	v_cndmask_b32_e32 v1, v1, v14, vcc
	v_cndmask_b32_e32 v0, v0, v13, vcc
	v_and_b32_e32 v3, v1, v3
	v_and_b32_e32 v2, v0, v2
	v_mul_lo_u32 v3, v3, 24
	v_mul_hi_u32 v13, v2, 24
	v_mul_lo_u32 v14, v2, 24
	s_waitcnt vmcnt(1)
	v_mov_b32_e32 v2, v11
	v_add_u32_e32 v3, v13, v3
	s_waitcnt vmcnt(0)
	v_add_co_u32_e32 v8, vcc, v8, v14
	v_addc_co_u32_e32 v9, vcc, v9, v3, vcc
	global_store_dwordx2 v[8:9], v[11:12], off
	v_mov_b32_e32 v3, v12
	s_waitcnt vmcnt(0)
	global_atomic_cmpswap_x2 v[2:3], v10, v[0:3], s[36:37] offset:24 glc
	s_waitcnt vmcnt(0)
	v_cmp_ne_u64_e32 vcc, v[2:3], v[11:12]
	s_and_b64 exec, exec, vcc
	s_cbranch_execz .LBB3_1127
.LBB3_1126:                             ; =>This Inner Loop Header: Depth=1
	s_sleep 1
	global_store_dwordx2 v[8:9], v[2:3], off
	s_waitcnt vmcnt(0)
	global_atomic_cmpswap_x2 v[11:12], v10, v[0:3], s[36:37] offset:24 glc
	s_waitcnt vmcnt(0)
	v_cmp_eq_u64_e32 vcc, v[11:12], v[2:3]
	v_mov_b32_e32 v2, v11
	s_or_b64 s[4:5], vcc, s[4:5]
	v_mov_b32_e32 v3, v12
	s_andn2_b64 exec, exec, s[4:5]
	s_cbranch_execnz .LBB3_1126
.LBB3_1127:
	s_or_b64 exec, exec, s[16:17]
.LBB3_1128:
	v_readfirstlane_b32 s4, v51
	v_mov_b32_e32 v10, 0
	v_mov_b32_e32 v11, 0
	v_cmp_eq_u32_e64 s[4:5], s4, v51
	s_and_saveexec_b64 s[10:11], s[4:5]
	s_cbranch_execz .LBB3_1134
; %bb.1129:
	s_waitcnt vmcnt(0)
	v_mov_b32_e32 v0, 0
	global_load_dwordx2 v[12:13], v0, s[36:37] offset:24 glc
	s_waitcnt vmcnt(0)
	buffer_wbinvl1_vol
	global_load_dwordx2 v[1:2], v0, s[36:37] offset:40
	global_load_dwordx2 v[8:9], v0, s[36:37]
	s_waitcnt vmcnt(1)
	v_and_b32_e32 v1, v1, v12
	v_and_b32_e32 v2, v2, v13
	v_mul_lo_u32 v2, v2, 24
	v_mul_hi_u32 v3, v1, 24
	v_mul_lo_u32 v1, v1, 24
	v_add_u32_e32 v2, v3, v2
	s_waitcnt vmcnt(0)
	v_add_co_u32_e32 v1, vcc, v8, v1
	v_addc_co_u32_e32 v2, vcc, v9, v2, vcc
	global_load_dwordx2 v[10:11], v[1:2], off glc
	s_waitcnt vmcnt(0)
	global_atomic_cmpswap_x2 v[10:11], v0, v[10:13], s[36:37] offset:24 glc
	s_waitcnt vmcnt(0)
	buffer_wbinvl1_vol
	v_cmp_ne_u64_e32 vcc, v[10:11], v[12:13]
	s_and_saveexec_b64 s[16:17], vcc
	s_cbranch_execz .LBB3_1133
; %bb.1130:
	s_mov_b64 s[18:19], 0
.LBB3_1131:                             ; =>This Inner Loop Header: Depth=1
	s_sleep 1
	global_load_dwordx2 v[1:2], v0, s[36:37] offset:40
	global_load_dwordx2 v[8:9], v0, s[36:37]
	v_mov_b32_e32 v13, v11
	v_mov_b32_e32 v12, v10
	s_waitcnt vmcnt(1)
	v_and_b32_e32 v1, v1, v12
	s_waitcnt vmcnt(0)
	v_mad_u64_u32 v[8:9], s[20:21], v1, 24, v[8:9]
	v_and_b32_e32 v2, v2, v13
	v_mov_b32_e32 v1, v9
	v_mad_u64_u32 v[1:2], s[20:21], v2, 24, v[1:2]
	v_mov_b32_e32 v9, v1
	global_load_dwordx2 v[10:11], v[8:9], off glc
	s_waitcnt vmcnt(0)
	global_atomic_cmpswap_x2 v[10:11], v0, v[10:13], s[36:37] offset:24 glc
	s_waitcnt vmcnt(0)
	buffer_wbinvl1_vol
	v_cmp_eq_u64_e32 vcc, v[10:11], v[12:13]
	s_or_b64 s[18:19], vcc, s[18:19]
	s_andn2_b64 exec, exec, s[18:19]
	s_cbranch_execnz .LBB3_1131
; %bb.1132:
	s_or_b64 exec, exec, s[18:19]
.LBB3_1133:
	s_or_b64 exec, exec, s[16:17]
.LBB3_1134:
	s_or_b64 exec, exec, s[10:11]
	s_waitcnt vmcnt(0)
	v_mov_b32_e32 v9, 0
	global_load_dwordx2 v[12:13], v9, s[36:37] offset:40
	global_load_dwordx4 v[0:3], v9, s[36:37]
	v_readfirstlane_b32 s10, v10
	v_readfirstlane_b32 s11, v11
	s_mov_b64 s[16:17], exec
	s_waitcnt vmcnt(1)
	v_readfirstlane_b32 s18, v12
	v_readfirstlane_b32 s19, v13
	s_and_b64 s[18:19], s[10:11], s[18:19]
	s_mul_i32 s15, s19, 24
	s_mul_hi_u32 s20, s18, 24
	s_mul_i32 s21, s18, 24
	s_add_i32 s15, s20, s15
	v_mov_b32_e32 v8, s15
	s_waitcnt vmcnt(0)
	v_add_co_u32_e32 v10, vcc, s21, v0
	v_addc_co_u32_e32 v11, vcc, v1, v8, vcc
	s_and_saveexec_b64 s[20:21], s[4:5]
	s_cbranch_execz .LBB3_1136
; %bb.1135:
	v_mov_b32_e32 v12, s16
	v_mov_b32_e32 v13, s17
	v_mov_b32_e32 v14, 2
	v_mov_b32_e32 v15, 1
	global_store_dwordx4 v[10:11], v[12:15], off offset:8
.LBB3_1136:
	s_or_b64 exec, exec, s[20:21]
	s_lshl_b64 s[16:17], s[18:19], 12
	v_mov_b32_e32 v8, s17
	v_add_co_u32_e32 v2, vcc, s16, v2
	v_addc_co_u32_e32 v3, vcc, v3, v8, vcc
	s_movk_i32 s15, 0xff1d
	v_and_or_b32 v6, v6, s15, 34
	s_mov_b32 s16, 0
	v_mov_b32_e32 v8, 58
	v_readfirstlane_b32 s20, v2
	v_readfirstlane_b32 s21, v3
	s_mov_b32 s17, s16
	s_mov_b32 s18, s16
	s_mov_b32 s19, s16
	s_nop 1
	global_store_dwordx4 v50, v[6:9], s[20:21]
	s_nop 0
	v_mov_b32_e32 v6, s16
	v_mov_b32_e32 v7, s17
	;; [unrolled: 1-line block ×4, first 2 shown]
	global_store_dwordx4 v50, v[6:9], s[20:21] offset:16
	global_store_dwordx4 v50, v[6:9], s[20:21] offset:32
	;; [unrolled: 1-line block ×3, first 2 shown]
	s_and_saveexec_b64 s[16:17], s[4:5]
	s_cbranch_execz .LBB3_1144
; %bb.1137:
	v_mov_b32_e32 v8, 0
	global_load_dwordx2 v[14:15], v8, s[36:37] offset:32 glc
	global_load_dwordx2 v[2:3], v8, s[36:37] offset:40
	v_mov_b32_e32 v12, s10
	v_mov_b32_e32 v13, s11
	s_waitcnt vmcnt(0)
	v_readfirstlane_b32 s18, v2
	v_readfirstlane_b32 s19, v3
	s_and_b64 s[18:19], s[18:19], s[10:11]
	s_mul_i32 s15, s19, 24
	s_mul_hi_u32 s19, s18, 24
	s_mul_i32 s18, s18, 24
	s_add_i32 s15, s19, s15
	v_mov_b32_e32 v2, s15
	v_add_co_u32_e32 v6, vcc, s18, v0
	v_addc_co_u32_e32 v7, vcc, v1, v2, vcc
	global_store_dwordx2 v[6:7], v[14:15], off
	s_waitcnt vmcnt(0)
	global_atomic_cmpswap_x2 v[2:3], v8, v[12:15], s[36:37] offset:32 glc
	s_waitcnt vmcnt(0)
	v_cmp_ne_u64_e32 vcc, v[2:3], v[14:15]
	s_and_saveexec_b64 s[18:19], vcc
	s_cbranch_execz .LBB3_1140
; %bb.1138:
	s_mov_b64 s[20:21], 0
.LBB3_1139:                             ; =>This Inner Loop Header: Depth=1
	s_sleep 1
	global_store_dwordx2 v[6:7], v[2:3], off
	v_mov_b32_e32 v0, s10
	v_mov_b32_e32 v1, s11
	s_waitcnt vmcnt(0)
	global_atomic_cmpswap_x2 v[0:1], v8, v[0:3], s[36:37] offset:32 glc
	s_waitcnt vmcnt(0)
	v_cmp_eq_u64_e32 vcc, v[0:1], v[2:3]
	v_mov_b32_e32 v3, v1
	s_or_b64 s[20:21], vcc, s[20:21]
	v_mov_b32_e32 v2, v0
	s_andn2_b64 exec, exec, s[20:21]
	s_cbranch_execnz .LBB3_1139
.LBB3_1140:
	s_or_b64 exec, exec, s[18:19]
	v_mov_b32_e32 v3, 0
	global_load_dwordx2 v[0:1], v3, s[36:37] offset:16
	s_mov_b64 s[18:19], exec
	v_mbcnt_lo_u32_b32 v2, s18, 0
	v_mbcnt_hi_u32_b32 v2, s19, v2
	v_cmp_eq_u32_e32 vcc, 0, v2
	s_and_saveexec_b64 s[20:21], vcc
	s_cbranch_execz .LBB3_1142
; %bb.1141:
	s_bcnt1_i32_b64 s15, s[18:19]
	v_mov_b32_e32 v2, s15
	s_waitcnt vmcnt(0)
	global_atomic_add_x2 v[0:1], v[2:3], off offset:8
.LBB3_1142:
	s_or_b64 exec, exec, s[20:21]
	s_waitcnt vmcnt(0)
	global_load_dwordx2 v[2:3], v[0:1], off offset:16
	s_waitcnt vmcnt(0)
	v_cmp_eq_u64_e32 vcc, 0, v[2:3]
	s_cbranch_vccnz .LBB3_1144
; %bb.1143:
	global_load_dword v0, v[0:1], off offset:24
	v_mov_b32_e32 v1, 0
	s_waitcnt vmcnt(0)
	global_store_dwordx2 v[2:3], v[0:1], off
	v_and_b32_e32 v0, 0xffffff, v0
	v_readfirstlane_b32 m0, v0
	s_sendmsg sendmsg(MSG_INTERRUPT)
.LBB3_1144:
	s_or_b64 exec, exec, s[16:17]
	s_branch .LBB3_1148
.LBB3_1145:                             ;   in Loop: Header=BB3_1148 Depth=1
	s_or_b64 exec, exec, s[16:17]
	v_readfirstlane_b32 s15, v0
	s_cmp_eq_u32 s15, 0
	s_cbranch_scc1 .LBB3_1147
; %bb.1146:                             ;   in Loop: Header=BB3_1148 Depth=1
	s_sleep 1
	s_cbranch_execnz .LBB3_1148
	s_branch .LBB3_1150
.LBB3_1147:
	s_branch .LBB3_1150
.LBB3_1148:                             ; =>This Inner Loop Header: Depth=1
	v_mov_b32_e32 v0, 1
	s_and_saveexec_b64 s[16:17], s[4:5]
	s_cbranch_execz .LBB3_1145
; %bb.1149:                             ;   in Loop: Header=BB3_1148 Depth=1
	global_load_dword v0, v[10:11], off offset:20 glc
	s_waitcnt vmcnt(0)
	buffer_wbinvl1_vol
	v_and_b32_e32 v0, 1, v0
	s_branch .LBB3_1145
.LBB3_1150:
	s_and_saveexec_b64 s[16:17], s[4:5]
	s_cbranch_execz .LBB3_1153
; %bb.1151:
	v_mov_b32_e32 v8, 0
	global_load_dwordx2 v[2:3], v8, s[36:37] offset:40
	global_load_dwordx2 v[9:10], v8, s[36:37] offset:24 glc
	global_load_dwordx2 v[6:7], v8, s[36:37]
	v_mov_b32_e32 v1, s11
	s_mov_b64 s[4:5], 0
	s_waitcnt vmcnt(2)
	v_add_co_u32_e32 v11, vcc, 1, v2
	v_addc_co_u32_e32 v12, vcc, 0, v3, vcc
	v_add_co_u32_e32 v0, vcc, s10, v11
	v_addc_co_u32_e32 v1, vcc, v12, v1, vcc
	v_cmp_eq_u64_e32 vcc, 0, v[0:1]
	v_cndmask_b32_e32 v1, v1, v12, vcc
	v_cndmask_b32_e32 v0, v0, v11, vcc
	v_and_b32_e32 v3, v1, v3
	v_and_b32_e32 v2, v0, v2
	v_mul_lo_u32 v3, v3, 24
	v_mul_hi_u32 v11, v2, 24
	v_mul_lo_u32 v12, v2, 24
	s_waitcnt vmcnt(1)
	v_mov_b32_e32 v2, v9
	v_add_u32_e32 v3, v11, v3
	s_waitcnt vmcnt(0)
	v_add_co_u32_e32 v6, vcc, v6, v12
	v_addc_co_u32_e32 v7, vcc, v7, v3, vcc
	global_store_dwordx2 v[6:7], v[9:10], off
	v_mov_b32_e32 v3, v10
	s_waitcnt vmcnt(0)
	global_atomic_cmpswap_x2 v[2:3], v8, v[0:3], s[36:37] offset:24 glc
	s_waitcnt vmcnt(0)
	v_cmp_ne_u64_e32 vcc, v[2:3], v[9:10]
	s_and_b64 exec, exec, vcc
	s_cbranch_execz .LBB3_1153
.LBB3_1152:                             ; =>This Inner Loop Header: Depth=1
	s_sleep 1
	global_store_dwordx2 v[6:7], v[2:3], off
	s_waitcnt vmcnt(0)
	global_atomic_cmpswap_x2 v[9:10], v8, v[0:3], s[36:37] offset:24 glc
	s_waitcnt vmcnt(0)
	v_cmp_eq_u64_e32 vcc, v[9:10], v[2:3]
	v_mov_b32_e32 v2, v9
	s_or_b64 s[4:5], vcc, s[4:5]
	v_mov_b32_e32 v3, v10
	s_andn2_b64 exec, exec, s[4:5]
	s_cbranch_execnz .LBB3_1152
.LBB3_1153:
	s_or_b64 exec, exec, s[16:17]
	v_readfirstlane_b32 s4, v51
	v_mov_b32_e32 v8, 0
	v_mov_b32_e32 v9, 0
	v_cmp_eq_u32_e64 s[4:5], s4, v51
	s_and_saveexec_b64 s[10:11], s[4:5]
	s_cbranch_execz .LBB3_1159
; %bb.1154:
	v_mov_b32_e32 v0, 0
	global_load_dwordx2 v[10:11], v0, s[36:37] offset:24 glc
	s_waitcnt vmcnt(0)
	buffer_wbinvl1_vol
	global_load_dwordx2 v[1:2], v0, s[36:37] offset:40
	global_load_dwordx2 v[6:7], v0, s[36:37]
	s_waitcnt vmcnt(1)
	v_and_b32_e32 v1, v1, v10
	v_and_b32_e32 v2, v2, v11
	v_mul_lo_u32 v2, v2, 24
	v_mul_hi_u32 v3, v1, 24
	v_mul_lo_u32 v1, v1, 24
	v_add_u32_e32 v2, v3, v2
	s_waitcnt vmcnt(0)
	v_add_co_u32_e32 v1, vcc, v6, v1
	v_addc_co_u32_e32 v2, vcc, v7, v2, vcc
	global_load_dwordx2 v[8:9], v[1:2], off glc
	s_waitcnt vmcnt(0)
	global_atomic_cmpswap_x2 v[8:9], v0, v[8:11], s[36:37] offset:24 glc
	s_waitcnt vmcnt(0)
	buffer_wbinvl1_vol
	v_cmp_ne_u64_e32 vcc, v[8:9], v[10:11]
	s_and_saveexec_b64 s[16:17], vcc
	s_cbranch_execz .LBB3_1158
; %bb.1155:
	s_mov_b64 s[18:19], 0
.LBB3_1156:                             ; =>This Inner Loop Header: Depth=1
	s_sleep 1
	global_load_dwordx2 v[1:2], v0, s[36:37] offset:40
	global_load_dwordx2 v[6:7], v0, s[36:37]
	v_mov_b32_e32 v11, v9
	v_mov_b32_e32 v10, v8
	s_waitcnt vmcnt(1)
	v_and_b32_e32 v1, v1, v10
	s_waitcnt vmcnt(0)
	v_mad_u64_u32 v[6:7], s[20:21], v1, 24, v[6:7]
	v_and_b32_e32 v2, v2, v11
	v_mov_b32_e32 v1, v7
	v_mad_u64_u32 v[1:2], s[20:21], v2, 24, v[1:2]
	v_mov_b32_e32 v7, v1
	global_load_dwordx2 v[8:9], v[6:7], off glc
	s_waitcnt vmcnt(0)
	global_atomic_cmpswap_x2 v[8:9], v0, v[8:11], s[36:37] offset:24 glc
	s_waitcnt vmcnt(0)
	buffer_wbinvl1_vol
	v_cmp_eq_u64_e32 vcc, v[8:9], v[10:11]
	s_or_b64 s[18:19], vcc, s[18:19]
	s_andn2_b64 exec, exec, s[18:19]
	s_cbranch_execnz .LBB3_1156
; %bb.1157:
	s_or_b64 exec, exec, s[18:19]
.LBB3_1158:
	s_or_b64 exec, exec, s[16:17]
.LBB3_1159:
	s_or_b64 exec, exec, s[10:11]
	v_mov_b32_e32 v7, 0
	global_load_dwordx2 v[10:11], v7, s[36:37] offset:40
	global_load_dwordx4 v[0:3], v7, s[36:37]
	v_readfirstlane_b32 s10, v8
	v_readfirstlane_b32 s11, v9
	s_mov_b64 s[16:17], exec
	s_waitcnt vmcnt(1)
	v_readfirstlane_b32 s18, v10
	v_readfirstlane_b32 s19, v11
	s_and_b64 s[18:19], s[10:11], s[18:19]
	s_mul_i32 s15, s19, 24
	s_mul_hi_u32 s20, s18, 24
	s_mul_i32 s21, s18, 24
	s_add_i32 s15, s20, s15
	v_mov_b32_e32 v6, s15
	s_waitcnt vmcnt(0)
	v_add_co_u32_e32 v10, vcc, s21, v0
	v_addc_co_u32_e32 v11, vcc, v1, v6, vcc
	s_and_saveexec_b64 s[20:21], s[4:5]
	s_cbranch_execz .LBB3_1161
; %bb.1160:
	v_mov_b32_e32 v12, s16
	v_mov_b32_e32 v13, s17
	;; [unrolled: 1-line block ×4, first 2 shown]
	global_store_dwordx4 v[10:11], v[12:15], off offset:8
.LBB3_1161:
	s_or_b64 exec, exec, s[20:21]
	s_lshl_b64 s[16:17], s[18:19], 12
	v_mov_b32_e32 v6, s17
	v_add_co_u32_e32 v2, vcc, s16, v2
	v_addc_co_u32_e32 v3, vcc, v3, v6, vcc
	s_mov_b32 s16, 0
	v_mov_b32_e32 v6, 33
	v_mov_b32_e32 v8, v7
	v_mov_b32_e32 v9, v7
	v_readfirstlane_b32 s20, v2
	v_readfirstlane_b32 s21, v3
	v_add_co_u32_e32 v12, vcc, v2, v50
	s_mov_b32 s17, s16
	s_mov_b32 s18, s16
	s_mov_b32 s19, s16
	s_nop 0
	global_store_dwordx4 v50, v[6:9], s[20:21]
	v_addc_co_u32_e32 v13, vcc, 0, v3, vcc
	v_mov_b32_e32 v6, s16
	v_mov_b32_e32 v7, s17
	;; [unrolled: 1-line block ×4, first 2 shown]
	global_store_dwordx4 v50, v[6:9], s[20:21] offset:16
	global_store_dwordx4 v50, v[6:9], s[20:21] offset:32
	;; [unrolled: 1-line block ×3, first 2 shown]
	s_and_saveexec_b64 s[16:17], s[4:5]
	s_cbranch_execz .LBB3_1169
; %bb.1162:
	v_mov_b32_e32 v8, 0
	global_load_dwordx2 v[16:17], v8, s[36:37] offset:32 glc
	global_load_dwordx2 v[2:3], v8, s[36:37] offset:40
	v_mov_b32_e32 v14, s10
	v_mov_b32_e32 v15, s11
	s_waitcnt vmcnt(0)
	v_readfirstlane_b32 s18, v2
	v_readfirstlane_b32 s19, v3
	s_and_b64 s[18:19], s[18:19], s[10:11]
	s_mul_i32 s15, s19, 24
	s_mul_hi_u32 s19, s18, 24
	s_mul_i32 s18, s18, 24
	s_add_i32 s15, s19, s15
	v_mov_b32_e32 v2, s15
	v_add_co_u32_e32 v6, vcc, s18, v0
	v_addc_co_u32_e32 v7, vcc, v1, v2, vcc
	global_store_dwordx2 v[6:7], v[16:17], off
	s_waitcnt vmcnt(0)
	global_atomic_cmpswap_x2 v[2:3], v8, v[14:17], s[36:37] offset:32 glc
	s_waitcnt vmcnt(0)
	v_cmp_ne_u64_e32 vcc, v[2:3], v[16:17]
	s_and_saveexec_b64 s[18:19], vcc
	s_cbranch_execz .LBB3_1165
; %bb.1163:
	s_mov_b64 s[20:21], 0
.LBB3_1164:                             ; =>This Inner Loop Header: Depth=1
	s_sleep 1
	global_store_dwordx2 v[6:7], v[2:3], off
	v_mov_b32_e32 v0, s10
	v_mov_b32_e32 v1, s11
	s_waitcnt vmcnt(0)
	global_atomic_cmpswap_x2 v[0:1], v8, v[0:3], s[36:37] offset:32 glc
	s_waitcnt vmcnt(0)
	v_cmp_eq_u64_e32 vcc, v[0:1], v[2:3]
	v_mov_b32_e32 v3, v1
	s_or_b64 s[20:21], vcc, s[20:21]
	v_mov_b32_e32 v2, v0
	s_andn2_b64 exec, exec, s[20:21]
	s_cbranch_execnz .LBB3_1164
.LBB3_1165:
	s_or_b64 exec, exec, s[18:19]
	v_mov_b32_e32 v3, 0
	global_load_dwordx2 v[0:1], v3, s[36:37] offset:16
	s_mov_b64 s[18:19], exec
	v_mbcnt_lo_u32_b32 v2, s18, 0
	v_mbcnt_hi_u32_b32 v2, s19, v2
	v_cmp_eq_u32_e32 vcc, 0, v2
	s_and_saveexec_b64 s[20:21], vcc
	s_cbranch_execz .LBB3_1167
; %bb.1166:
	s_bcnt1_i32_b64 s15, s[18:19]
	v_mov_b32_e32 v2, s15
	s_waitcnt vmcnt(0)
	global_atomic_add_x2 v[0:1], v[2:3], off offset:8
.LBB3_1167:
	s_or_b64 exec, exec, s[20:21]
	s_waitcnt vmcnt(0)
	global_load_dwordx2 v[2:3], v[0:1], off offset:16
	s_waitcnt vmcnt(0)
	v_cmp_eq_u64_e32 vcc, 0, v[2:3]
	s_cbranch_vccnz .LBB3_1169
; %bb.1168:
	global_load_dword v0, v[0:1], off offset:24
	v_mov_b32_e32 v1, 0
	s_waitcnt vmcnt(0)
	global_store_dwordx2 v[2:3], v[0:1], off
	v_and_b32_e32 v0, 0xffffff, v0
	v_readfirstlane_b32 m0, v0
	s_sendmsg sendmsg(MSG_INTERRUPT)
.LBB3_1169:
	s_or_b64 exec, exec, s[16:17]
	s_branch .LBB3_1173
.LBB3_1170:                             ;   in Loop: Header=BB3_1173 Depth=1
	s_or_b64 exec, exec, s[16:17]
	v_readfirstlane_b32 s15, v0
	s_cmp_eq_u32 s15, 0
	s_cbranch_scc1 .LBB3_1172
; %bb.1171:                             ;   in Loop: Header=BB3_1173 Depth=1
	s_sleep 1
	s_cbranch_execnz .LBB3_1173
	s_branch .LBB3_1175
.LBB3_1172:
	s_branch .LBB3_1175
.LBB3_1173:                             ; =>This Inner Loop Header: Depth=1
	v_mov_b32_e32 v0, 1
	s_and_saveexec_b64 s[16:17], s[4:5]
	s_cbranch_execz .LBB3_1170
; %bb.1174:                             ;   in Loop: Header=BB3_1173 Depth=1
	global_load_dword v0, v[10:11], off offset:20 glc
	s_waitcnt vmcnt(0)
	buffer_wbinvl1_vol
	v_and_b32_e32 v0, 1, v0
	s_branch .LBB3_1170
.LBB3_1175:
	global_load_dwordx2 v[0:1], v[12:13], off
	s_and_saveexec_b64 s[16:17], s[4:5]
	s_cbranch_execz .LBB3_1178
; %bb.1176:
	v_mov_b32_e32 v10, 0
	global_load_dwordx2 v[2:3], v10, s[36:37] offset:40
	global_load_dwordx2 v[11:12], v10, s[36:37] offset:24 glc
	global_load_dwordx2 v[13:14], v10, s[36:37]
	v_mov_b32_e32 v7, s11
	s_mov_b64 s[4:5], 0
	s_waitcnt vmcnt(2)
	v_add_co_u32_e32 v8, vcc, 1, v2
	v_addc_co_u32_e32 v9, vcc, 0, v3, vcc
	v_add_co_u32_e32 v6, vcc, s10, v8
	v_addc_co_u32_e32 v7, vcc, v9, v7, vcc
	v_cmp_eq_u64_e32 vcc, 0, v[6:7]
	v_cndmask_b32_e32 v7, v7, v9, vcc
	v_cndmask_b32_e32 v6, v6, v8, vcc
	v_and_b32_e32 v3, v7, v3
	v_and_b32_e32 v2, v6, v2
	v_mul_lo_u32 v3, v3, 24
	v_mul_hi_u32 v9, v2, 24
	v_mul_lo_u32 v2, v2, 24
	s_waitcnt vmcnt(1)
	v_mov_b32_e32 v8, v11
	v_add_u32_e32 v3, v9, v3
	s_waitcnt vmcnt(0)
	v_add_co_u32_e32 v2, vcc, v13, v2
	v_addc_co_u32_e32 v3, vcc, v14, v3, vcc
	global_store_dwordx2 v[2:3], v[11:12], off
	v_mov_b32_e32 v9, v12
	s_waitcnt vmcnt(0)
	global_atomic_cmpswap_x2 v[8:9], v10, v[6:9], s[36:37] offset:24 glc
	s_waitcnt vmcnt(0)
	v_cmp_ne_u64_e32 vcc, v[8:9], v[11:12]
	s_and_b64 exec, exec, vcc
	s_cbranch_execz .LBB3_1178
.LBB3_1177:                             ; =>This Inner Loop Header: Depth=1
	s_sleep 1
	global_store_dwordx2 v[2:3], v[8:9], off
	s_waitcnt vmcnt(0)
	global_atomic_cmpswap_x2 v[11:12], v10, v[6:9], s[36:37] offset:24 glc
	s_waitcnt vmcnt(0)
	v_cmp_eq_u64_e32 vcc, v[11:12], v[8:9]
	v_mov_b32_e32 v8, v11
	s_or_b64 s[4:5], vcc, s[4:5]
	v_mov_b32_e32 v9, v12
	s_andn2_b64 exec, exec, s[4:5]
	s_cbranch_execnz .LBB3_1177
.LBB3_1178:
	s_or_b64 exec, exec, s[16:17]
	s_and_b64 vcc, exec, s[38:39]
	s_cbranch_vccz .LBB3_1263
; %bb.1179:
	s_waitcnt vmcnt(0)
	v_and_b32_e32 v34, 2, v0
	v_mov_b32_e32 v3, 0
	v_and_b32_e32 v6, -3, v0
	v_mov_b32_e32 v7, v1
	s_mov_b64 s[16:17], 3
	v_mov_b32_e32 v10, 2
	v_mov_b32_e32 v11, 1
	s_getpc_b64 s[10:11]
	s_add_u32 s10, s10, .str.8@rel32@lo+4
	s_addc_u32 s11, s11, .str.8@rel32@hi+12
	s_branch .LBB3_1181
.LBB3_1180:                             ;   in Loop: Header=BB3_1181 Depth=1
	s_or_b64 exec, exec, s[22:23]
	s_sub_u32 s16, s16, s18
	s_subb_u32 s17, s17, s19
	s_add_u32 s10, s10, s18
	s_addc_u32 s11, s11, s19
	s_cmp_lg_u64 s[16:17], 0
	s_cbranch_scc0 .LBB3_1262
.LBB3_1181:                             ; =>This Loop Header: Depth=1
                                        ;     Child Loop BB3_1184 Depth 2
                                        ;     Child Loop BB3_1191 Depth 2
	;; [unrolled: 1-line block ×11, first 2 shown]
	v_cmp_lt_u64_e64 s[4:5], s[16:17], 56
	v_cmp_gt_u64_e64 s[20:21], s[16:17], 7
	s_and_b64 s[4:5], s[4:5], exec
	s_cselect_b32 s19, s17, 0
	s_cselect_b32 s18, s16, 56
	s_and_b64 vcc, exec, s[20:21]
	s_cbranch_vccnz .LBB3_1186
; %bb.1182:                             ;   in Loop: Header=BB3_1181 Depth=1
	v_mov_b32_e32 v14, 0
	s_cmp_eq_u64 s[16:17], 0
	v_mov_b32_e32 v15, 0
	s_mov_b64 s[4:5], 0
	s_cbranch_scc1 .LBB3_1185
; %bb.1183:                             ;   in Loop: Header=BB3_1181 Depth=1
	v_mov_b32_e32 v14, 0
	s_lshl_b64 s[20:21], s[18:19], 3
	s_mov_b64 s[22:23], 0
	v_mov_b32_e32 v15, 0
	s_mov_b64 s[24:25], s[10:11]
.LBB3_1184:                             ;   Parent Loop BB3_1181 Depth=1
                                        ; =>  This Inner Loop Header: Depth=2
	global_load_ubyte v2, v3, s[24:25]
	s_waitcnt vmcnt(0)
	v_and_b32_e32 v2, 0xffff, v2
	v_lshlrev_b64 v[8:9], s22, v[2:3]
	s_add_u32 s22, s22, 8
	s_addc_u32 s23, s23, 0
	s_add_u32 s24, s24, 1
	s_addc_u32 s25, s25, 0
	v_or_b32_e32 v14, v8, v14
	s_cmp_lg_u32 s20, s22
	v_or_b32_e32 v15, v9, v15
	s_cbranch_scc1 .LBB3_1184
.LBB3_1185:                             ;   in Loop: Header=BB3_1181 Depth=1
	s_mov_b32 s15, 0
	s_andn2_b64 vcc, exec, s[4:5]
	s_mov_b64 s[4:5], s[10:11]
	s_cbranch_vccz .LBB3_1187
	s_branch .LBB3_1188
.LBB3_1186:                             ;   in Loop: Header=BB3_1181 Depth=1
                                        ; implicit-def: $vgpr14_vgpr15
                                        ; implicit-def: $sgpr15
	s_mov_b64 s[4:5], s[10:11]
.LBB3_1187:                             ;   in Loop: Header=BB3_1181 Depth=1
	global_load_dwordx2 v[14:15], v3, s[10:11]
	s_add_i32 s15, s18, -8
	s_add_u32 s4, s10, 8
	s_addc_u32 s5, s11, 0
.LBB3_1188:                             ;   in Loop: Header=BB3_1181 Depth=1
	s_cmp_gt_u32 s15, 7
	s_cbranch_scc1 .LBB3_1192
; %bb.1189:                             ;   in Loop: Header=BB3_1181 Depth=1
	s_cmp_eq_u32 s15, 0
	s_cbranch_scc1 .LBB3_1193
; %bb.1190:                             ;   in Loop: Header=BB3_1181 Depth=1
	v_mov_b32_e32 v16, 0
	s_mov_b64 s[20:21], 0
	v_mov_b32_e32 v17, 0
	s_mov_b64 s[22:23], 0
.LBB3_1191:                             ;   Parent Loop BB3_1181 Depth=1
                                        ; =>  This Inner Loop Header: Depth=2
	s_add_u32 s24, s4, s22
	s_addc_u32 s25, s5, s23
	global_load_ubyte v2, v3, s[24:25]
	s_add_u32 s22, s22, 1
	s_addc_u32 s23, s23, 0
	s_waitcnt vmcnt(0)
	v_and_b32_e32 v2, 0xffff, v2
	v_lshlrev_b64 v[8:9], s20, v[2:3]
	s_add_u32 s20, s20, 8
	s_addc_u32 s21, s21, 0
	v_or_b32_e32 v16, v8, v16
	s_cmp_lg_u32 s15, s22
	v_or_b32_e32 v17, v9, v17
	s_cbranch_scc1 .LBB3_1191
	s_branch .LBB3_1194
.LBB3_1192:                             ;   in Loop: Header=BB3_1181 Depth=1
                                        ; implicit-def: $vgpr16_vgpr17
                                        ; implicit-def: $sgpr24
	s_branch .LBB3_1195
.LBB3_1193:                             ;   in Loop: Header=BB3_1181 Depth=1
	v_mov_b32_e32 v16, 0
	v_mov_b32_e32 v17, 0
.LBB3_1194:                             ;   in Loop: Header=BB3_1181 Depth=1
	s_mov_b32 s24, 0
	s_cbranch_execnz .LBB3_1196
.LBB3_1195:                             ;   in Loop: Header=BB3_1181 Depth=1
	global_load_dwordx2 v[16:17], v3, s[4:5]
	s_add_i32 s24, s15, -8
	s_add_u32 s4, s4, 8
	s_addc_u32 s5, s5, 0
.LBB3_1196:                             ;   in Loop: Header=BB3_1181 Depth=1
	s_cmp_gt_u32 s24, 7
	s_cbranch_scc1 .LBB3_1200
; %bb.1197:                             ;   in Loop: Header=BB3_1181 Depth=1
	s_cmp_eq_u32 s24, 0
	s_cbranch_scc1 .LBB3_1201
; %bb.1198:                             ;   in Loop: Header=BB3_1181 Depth=1
	v_mov_b32_e32 v18, 0
	s_mov_b64 s[20:21], 0
	v_mov_b32_e32 v19, 0
	s_mov_b64 s[22:23], 0
.LBB3_1199:                             ;   Parent Loop BB3_1181 Depth=1
                                        ; =>  This Inner Loop Header: Depth=2
	s_add_u32 s26, s4, s22
	s_addc_u32 s27, s5, s23
	global_load_ubyte v2, v3, s[26:27]
	s_add_u32 s22, s22, 1
	s_addc_u32 s23, s23, 0
	s_waitcnt vmcnt(0)
	v_and_b32_e32 v2, 0xffff, v2
	v_lshlrev_b64 v[8:9], s20, v[2:3]
	s_add_u32 s20, s20, 8
	s_addc_u32 s21, s21, 0
	v_or_b32_e32 v18, v8, v18
	s_cmp_lg_u32 s24, s22
	v_or_b32_e32 v19, v9, v19
	s_cbranch_scc1 .LBB3_1199
	s_branch .LBB3_1202
.LBB3_1200:                             ;   in Loop: Header=BB3_1181 Depth=1
                                        ; implicit-def: $sgpr15
	s_branch .LBB3_1203
.LBB3_1201:                             ;   in Loop: Header=BB3_1181 Depth=1
	v_mov_b32_e32 v18, 0
	v_mov_b32_e32 v19, 0
.LBB3_1202:                             ;   in Loop: Header=BB3_1181 Depth=1
	s_mov_b32 s15, 0
	s_cbranch_execnz .LBB3_1204
.LBB3_1203:                             ;   in Loop: Header=BB3_1181 Depth=1
	global_load_dwordx2 v[18:19], v3, s[4:5]
	s_add_i32 s15, s24, -8
	s_add_u32 s4, s4, 8
	s_addc_u32 s5, s5, 0
.LBB3_1204:                             ;   in Loop: Header=BB3_1181 Depth=1
	s_cmp_gt_u32 s15, 7
	s_cbranch_scc1 .LBB3_1208
; %bb.1205:                             ;   in Loop: Header=BB3_1181 Depth=1
	s_cmp_eq_u32 s15, 0
	s_cbranch_scc1 .LBB3_1209
; %bb.1206:                             ;   in Loop: Header=BB3_1181 Depth=1
	v_mov_b32_e32 v20, 0
	s_mov_b64 s[20:21], 0
	v_mov_b32_e32 v21, 0
	s_mov_b64 s[22:23], 0
.LBB3_1207:                             ;   Parent Loop BB3_1181 Depth=1
                                        ; =>  This Inner Loop Header: Depth=2
	s_add_u32 s24, s4, s22
	s_addc_u32 s25, s5, s23
	global_load_ubyte v2, v3, s[24:25]
	s_add_u32 s22, s22, 1
	s_addc_u32 s23, s23, 0
	s_waitcnt vmcnt(0)
	v_and_b32_e32 v2, 0xffff, v2
	v_lshlrev_b64 v[8:9], s20, v[2:3]
	s_add_u32 s20, s20, 8
	s_addc_u32 s21, s21, 0
	v_or_b32_e32 v20, v8, v20
	s_cmp_lg_u32 s15, s22
	v_or_b32_e32 v21, v9, v21
	s_cbranch_scc1 .LBB3_1207
	s_branch .LBB3_1210
.LBB3_1208:                             ;   in Loop: Header=BB3_1181 Depth=1
                                        ; implicit-def: $vgpr20_vgpr21
                                        ; implicit-def: $sgpr24
	s_branch .LBB3_1211
.LBB3_1209:                             ;   in Loop: Header=BB3_1181 Depth=1
	v_mov_b32_e32 v20, 0
	v_mov_b32_e32 v21, 0
.LBB3_1210:                             ;   in Loop: Header=BB3_1181 Depth=1
	s_mov_b32 s24, 0
	s_cbranch_execnz .LBB3_1212
.LBB3_1211:                             ;   in Loop: Header=BB3_1181 Depth=1
	global_load_dwordx2 v[20:21], v3, s[4:5]
	s_add_i32 s24, s15, -8
	s_add_u32 s4, s4, 8
	s_addc_u32 s5, s5, 0
.LBB3_1212:                             ;   in Loop: Header=BB3_1181 Depth=1
	s_cmp_gt_u32 s24, 7
	s_cbranch_scc1 .LBB3_1216
; %bb.1213:                             ;   in Loop: Header=BB3_1181 Depth=1
	s_cmp_eq_u32 s24, 0
	s_cbranch_scc1 .LBB3_1217
; %bb.1214:                             ;   in Loop: Header=BB3_1181 Depth=1
	v_mov_b32_e32 v22, 0
	s_mov_b64 s[20:21], 0
	v_mov_b32_e32 v23, 0
	s_mov_b64 s[22:23], 0
.LBB3_1215:                             ;   Parent Loop BB3_1181 Depth=1
                                        ; =>  This Inner Loop Header: Depth=2
	s_add_u32 s26, s4, s22
	s_addc_u32 s27, s5, s23
	global_load_ubyte v2, v3, s[26:27]
	s_add_u32 s22, s22, 1
	s_addc_u32 s23, s23, 0
	s_waitcnt vmcnt(0)
	v_and_b32_e32 v2, 0xffff, v2
	v_lshlrev_b64 v[8:9], s20, v[2:3]
	s_add_u32 s20, s20, 8
	s_addc_u32 s21, s21, 0
	v_or_b32_e32 v22, v8, v22
	s_cmp_lg_u32 s24, s22
	v_or_b32_e32 v23, v9, v23
	s_cbranch_scc1 .LBB3_1215
	s_branch .LBB3_1218
.LBB3_1216:                             ;   in Loop: Header=BB3_1181 Depth=1
                                        ; implicit-def: $sgpr15
	s_branch .LBB3_1219
.LBB3_1217:                             ;   in Loop: Header=BB3_1181 Depth=1
	v_mov_b32_e32 v22, 0
	v_mov_b32_e32 v23, 0
.LBB3_1218:                             ;   in Loop: Header=BB3_1181 Depth=1
	s_mov_b32 s15, 0
	s_cbranch_execnz .LBB3_1220
.LBB3_1219:                             ;   in Loop: Header=BB3_1181 Depth=1
	global_load_dwordx2 v[22:23], v3, s[4:5]
	s_add_i32 s15, s24, -8
	s_add_u32 s4, s4, 8
	s_addc_u32 s5, s5, 0
.LBB3_1220:                             ;   in Loop: Header=BB3_1181 Depth=1
	s_cmp_gt_u32 s15, 7
	s_cbranch_scc1 .LBB3_1224
; %bb.1221:                             ;   in Loop: Header=BB3_1181 Depth=1
	s_cmp_eq_u32 s15, 0
	s_cbranch_scc1 .LBB3_1225
; %bb.1222:                             ;   in Loop: Header=BB3_1181 Depth=1
	v_mov_b32_e32 v24, 0
	s_mov_b64 s[20:21], 0
	v_mov_b32_e32 v25, 0
	s_mov_b64 s[22:23], 0
.LBB3_1223:                             ;   Parent Loop BB3_1181 Depth=1
                                        ; =>  This Inner Loop Header: Depth=2
	s_add_u32 s24, s4, s22
	s_addc_u32 s25, s5, s23
	global_load_ubyte v2, v3, s[24:25]
	s_add_u32 s22, s22, 1
	s_addc_u32 s23, s23, 0
	s_waitcnt vmcnt(0)
	v_and_b32_e32 v2, 0xffff, v2
	v_lshlrev_b64 v[8:9], s20, v[2:3]
	s_add_u32 s20, s20, 8
	s_addc_u32 s21, s21, 0
	v_or_b32_e32 v24, v8, v24
	s_cmp_lg_u32 s15, s22
	v_or_b32_e32 v25, v9, v25
	s_cbranch_scc1 .LBB3_1223
	s_branch .LBB3_1226
.LBB3_1224:                             ;   in Loop: Header=BB3_1181 Depth=1
                                        ; implicit-def: $vgpr24_vgpr25
                                        ; implicit-def: $sgpr24
	s_branch .LBB3_1227
.LBB3_1225:                             ;   in Loop: Header=BB3_1181 Depth=1
	v_mov_b32_e32 v24, 0
	v_mov_b32_e32 v25, 0
.LBB3_1226:                             ;   in Loop: Header=BB3_1181 Depth=1
	s_mov_b32 s24, 0
	s_cbranch_execnz .LBB3_1228
.LBB3_1227:                             ;   in Loop: Header=BB3_1181 Depth=1
	global_load_dwordx2 v[24:25], v3, s[4:5]
	s_add_i32 s24, s15, -8
	s_add_u32 s4, s4, 8
	s_addc_u32 s5, s5, 0
.LBB3_1228:                             ;   in Loop: Header=BB3_1181 Depth=1
	s_cmp_gt_u32 s24, 7
	s_cbranch_scc1 .LBB3_1232
; %bb.1229:                             ;   in Loop: Header=BB3_1181 Depth=1
	s_cmp_eq_u32 s24, 0
	s_cbranch_scc1 .LBB3_1233
; %bb.1230:                             ;   in Loop: Header=BB3_1181 Depth=1
	v_mov_b32_e32 v26, 0
	s_mov_b64 s[20:21], 0
	v_mov_b32_e32 v27, 0
	s_mov_b64 s[22:23], s[4:5]
.LBB3_1231:                             ;   Parent Loop BB3_1181 Depth=1
                                        ; =>  This Inner Loop Header: Depth=2
	global_load_ubyte v2, v3, s[22:23]
	s_add_i32 s24, s24, -1
	s_waitcnt vmcnt(0)
	v_and_b32_e32 v2, 0xffff, v2
	v_lshlrev_b64 v[8:9], s20, v[2:3]
	s_add_u32 s20, s20, 8
	s_addc_u32 s21, s21, 0
	s_add_u32 s22, s22, 1
	s_addc_u32 s23, s23, 0
	v_or_b32_e32 v26, v8, v26
	s_cmp_lg_u32 s24, 0
	v_or_b32_e32 v27, v9, v27
	s_cbranch_scc1 .LBB3_1231
	s_branch .LBB3_1234
.LBB3_1232:                             ;   in Loop: Header=BB3_1181 Depth=1
	s_branch .LBB3_1235
.LBB3_1233:                             ;   in Loop: Header=BB3_1181 Depth=1
	v_mov_b32_e32 v26, 0
	v_mov_b32_e32 v27, 0
.LBB3_1234:                             ;   in Loop: Header=BB3_1181 Depth=1
	s_cbranch_execnz .LBB3_1236
.LBB3_1235:                             ;   in Loop: Header=BB3_1181 Depth=1
	global_load_dwordx2 v[26:27], v3, s[4:5]
.LBB3_1236:                             ;   in Loop: Header=BB3_1181 Depth=1
	v_readfirstlane_b32 s4, v51
	s_waitcnt vmcnt(0)
	v_mov_b32_e32 v8, 0
	v_mov_b32_e32 v9, 0
	v_cmp_eq_u32_e64 s[4:5], s4, v51
	s_and_saveexec_b64 s[20:21], s[4:5]
	s_cbranch_execz .LBB3_1242
; %bb.1237:                             ;   in Loop: Header=BB3_1181 Depth=1
	global_load_dwordx2 v[30:31], v3, s[36:37] offset:24 glc
	s_waitcnt vmcnt(0)
	buffer_wbinvl1_vol
	global_load_dwordx2 v[8:9], v3, s[36:37] offset:40
	global_load_dwordx2 v[12:13], v3, s[36:37]
	s_waitcnt vmcnt(1)
	v_and_b32_e32 v2, v8, v30
	v_and_b32_e32 v8, v9, v31
	v_mul_lo_u32 v8, v8, 24
	v_mul_hi_u32 v9, v2, 24
	v_mul_lo_u32 v2, v2, 24
	v_add_u32_e32 v9, v9, v8
	s_waitcnt vmcnt(0)
	v_add_co_u32_e32 v8, vcc, v12, v2
	v_addc_co_u32_e32 v9, vcc, v13, v9, vcc
	global_load_dwordx2 v[28:29], v[8:9], off glc
	s_waitcnt vmcnt(0)
	global_atomic_cmpswap_x2 v[8:9], v3, v[28:31], s[36:37] offset:24 glc
	s_waitcnt vmcnt(0)
	buffer_wbinvl1_vol
	v_cmp_ne_u64_e32 vcc, v[8:9], v[30:31]
	s_and_saveexec_b64 s[22:23], vcc
	s_cbranch_execz .LBB3_1241
; %bb.1238:                             ;   in Loop: Header=BB3_1181 Depth=1
	s_mov_b64 s[24:25], 0
.LBB3_1239:                             ;   Parent Loop BB3_1181 Depth=1
                                        ; =>  This Inner Loop Header: Depth=2
	s_sleep 1
	global_load_dwordx2 v[12:13], v3, s[36:37] offset:40
	global_load_dwordx2 v[28:29], v3, s[36:37]
	v_mov_b32_e32 v31, v9
	v_mov_b32_e32 v30, v8
	s_waitcnt vmcnt(1)
	v_and_b32_e32 v2, v12, v30
	s_waitcnt vmcnt(0)
	v_mad_u64_u32 v[8:9], s[26:27], v2, 24, v[28:29]
	v_and_b32_e32 v12, v13, v31
	v_mov_b32_e32 v2, v9
	v_mad_u64_u32 v[12:13], s[26:27], v12, 24, v[2:3]
	v_mov_b32_e32 v9, v12
	global_load_dwordx2 v[28:29], v[8:9], off glc
	s_waitcnt vmcnt(0)
	global_atomic_cmpswap_x2 v[8:9], v3, v[28:31], s[36:37] offset:24 glc
	s_waitcnt vmcnt(0)
	buffer_wbinvl1_vol
	v_cmp_eq_u64_e32 vcc, v[8:9], v[30:31]
	s_or_b64 s[24:25], vcc, s[24:25]
	s_andn2_b64 exec, exec, s[24:25]
	s_cbranch_execnz .LBB3_1239
; %bb.1240:                             ;   in Loop: Header=BB3_1181 Depth=1
	s_or_b64 exec, exec, s[24:25]
.LBB3_1241:                             ;   in Loop: Header=BB3_1181 Depth=1
	s_or_b64 exec, exec, s[22:23]
.LBB3_1242:                             ;   in Loop: Header=BB3_1181 Depth=1
	s_or_b64 exec, exec, s[20:21]
	global_load_dwordx2 v[12:13], v3, s[36:37] offset:40
	global_load_dwordx4 v[28:31], v3, s[36:37]
	v_readfirstlane_b32 s20, v8
	v_readfirstlane_b32 s21, v9
	s_mov_b64 s[22:23], exec
	s_waitcnt vmcnt(1)
	v_readfirstlane_b32 s24, v12
	v_readfirstlane_b32 s25, v13
	s_and_b64 s[24:25], s[20:21], s[24:25]
	s_mul_i32 s15, s25, 24
	s_mul_hi_u32 s26, s24, 24
	s_mul_i32 s27, s24, 24
	s_add_i32 s15, s26, s15
	v_mov_b32_e32 v2, s15
	s_waitcnt vmcnt(0)
	v_add_co_u32_e32 v32, vcc, s27, v28
	v_addc_co_u32_e32 v33, vcc, v29, v2, vcc
	s_and_saveexec_b64 s[26:27], s[4:5]
	s_cbranch_execz .LBB3_1244
; %bb.1243:                             ;   in Loop: Header=BB3_1181 Depth=1
	v_mov_b32_e32 v8, s22
	v_mov_b32_e32 v9, s23
	global_store_dwordx4 v[32:33], v[8:11], off offset:8
.LBB3_1244:                             ;   in Loop: Header=BB3_1181 Depth=1
	s_or_b64 exec, exec, s[26:27]
	s_lshl_b64 s[22:23], s[24:25], 12
	v_mov_b32_e32 v2, s23
	v_add_co_u32_e32 v30, vcc, s22, v30
	v_addc_co_u32_e32 v31, vcc, v31, v2, vcc
	v_cmp_gt_u64_e64 vcc, s[16:17], 56
	v_or_b32_e32 v2, 0, v7
	v_or_b32_e32 v8, v6, v34
	s_lshl_b32 s15, s18, 2
	v_cndmask_b32_e32 v13, v2, v7, vcc
	v_cndmask_b32_e32 v2, v8, v6, vcc
	s_add_i32 s15, s15, 28
	s_and_b32 s15, s15, 0x1e0
	v_and_b32_e32 v2, 0xffffff1f, v2
	v_or_b32_e32 v12, s15, v2
	v_readfirstlane_b32 s22, v30
	v_readfirstlane_b32 s23, v31
	s_nop 4
	global_store_dwordx4 v50, v[12:15], s[22:23]
	global_store_dwordx4 v50, v[16:19], s[22:23] offset:16
	global_store_dwordx4 v50, v[20:23], s[22:23] offset:32
	global_store_dwordx4 v50, v[24:27], s[22:23] offset:48
	s_and_saveexec_b64 s[22:23], s[4:5]
	s_cbranch_execz .LBB3_1252
; %bb.1245:                             ;   in Loop: Header=BB3_1181 Depth=1
	global_load_dwordx2 v[16:17], v3, s[36:37] offset:32 glc
	global_load_dwordx2 v[6:7], v3, s[36:37] offset:40
	v_mov_b32_e32 v14, s20
	v_mov_b32_e32 v15, s21
	s_waitcnt vmcnt(0)
	v_readfirstlane_b32 s24, v6
	v_readfirstlane_b32 s25, v7
	s_and_b64 s[24:25], s[24:25], s[20:21]
	s_mul_i32 s15, s25, 24
	s_mul_hi_u32 s25, s24, 24
	s_mul_i32 s24, s24, 24
	s_add_i32 s15, s25, s15
	v_mov_b32_e32 v2, s15
	v_add_co_u32_e32 v12, vcc, s24, v28
	v_addc_co_u32_e32 v13, vcc, v29, v2, vcc
	global_store_dwordx2 v[12:13], v[16:17], off
	s_waitcnt vmcnt(0)
	global_atomic_cmpswap_x2 v[8:9], v3, v[14:17], s[36:37] offset:32 glc
	s_waitcnt vmcnt(0)
	v_cmp_ne_u64_e32 vcc, v[8:9], v[16:17]
	s_and_saveexec_b64 s[24:25], vcc
	s_cbranch_execz .LBB3_1248
; %bb.1246:                             ;   in Loop: Header=BB3_1181 Depth=1
	s_mov_b64 s[26:27], 0
.LBB3_1247:                             ;   Parent Loop BB3_1181 Depth=1
                                        ; =>  This Inner Loop Header: Depth=2
	s_sleep 1
	global_store_dwordx2 v[12:13], v[8:9], off
	v_mov_b32_e32 v6, s20
	v_mov_b32_e32 v7, s21
	s_waitcnt vmcnt(0)
	global_atomic_cmpswap_x2 v[6:7], v3, v[6:9], s[36:37] offset:32 glc
	s_waitcnt vmcnt(0)
	v_cmp_eq_u64_e32 vcc, v[6:7], v[8:9]
	v_mov_b32_e32 v9, v7
	s_or_b64 s[26:27], vcc, s[26:27]
	v_mov_b32_e32 v8, v6
	s_andn2_b64 exec, exec, s[26:27]
	s_cbranch_execnz .LBB3_1247
.LBB3_1248:                             ;   in Loop: Header=BB3_1181 Depth=1
	s_or_b64 exec, exec, s[24:25]
	global_load_dwordx2 v[6:7], v3, s[36:37] offset:16
	s_mov_b64 s[26:27], exec
	v_mbcnt_lo_u32_b32 v2, s26, 0
	v_mbcnt_hi_u32_b32 v2, s27, v2
	v_cmp_eq_u32_e32 vcc, 0, v2
	s_and_saveexec_b64 s[24:25], vcc
	s_cbranch_execz .LBB3_1250
; %bb.1249:                             ;   in Loop: Header=BB3_1181 Depth=1
	s_bcnt1_i32_b64 s15, s[26:27]
	v_mov_b32_e32 v2, s15
	s_waitcnt vmcnt(0)
	global_atomic_add_x2 v[6:7], v[2:3], off offset:8
.LBB3_1250:                             ;   in Loop: Header=BB3_1181 Depth=1
	s_or_b64 exec, exec, s[24:25]
	s_waitcnt vmcnt(0)
	global_load_dwordx2 v[8:9], v[6:7], off offset:16
	s_waitcnt vmcnt(0)
	v_cmp_eq_u64_e32 vcc, 0, v[8:9]
	s_cbranch_vccnz .LBB3_1252
; %bb.1251:                             ;   in Loop: Header=BB3_1181 Depth=1
	global_load_dword v2, v[6:7], off offset:24
	s_waitcnt vmcnt(0)
	global_store_dwordx2 v[8:9], v[2:3], off
	v_and_b32_e32 v2, 0xffffff, v2
	v_readfirstlane_b32 m0, v2
	s_sendmsg sendmsg(MSG_INTERRUPT)
.LBB3_1252:                             ;   in Loop: Header=BB3_1181 Depth=1
	s_or_b64 exec, exec, s[22:23]
	v_add_co_u32_e32 v6, vcc, v30, v50
	v_addc_co_u32_e32 v7, vcc, 0, v31, vcc
	s_branch .LBB3_1256
.LBB3_1253:                             ;   in Loop: Header=BB3_1256 Depth=2
	s_or_b64 exec, exec, s[22:23]
	v_readfirstlane_b32 s15, v2
	s_cmp_eq_u32 s15, 0
	s_cbranch_scc1 .LBB3_1255
; %bb.1254:                             ;   in Loop: Header=BB3_1256 Depth=2
	s_sleep 1
	s_cbranch_execnz .LBB3_1256
	s_branch .LBB3_1258
.LBB3_1255:                             ;   in Loop: Header=BB3_1181 Depth=1
	s_branch .LBB3_1258
.LBB3_1256:                             ;   Parent Loop BB3_1181 Depth=1
                                        ; =>  This Inner Loop Header: Depth=2
	v_mov_b32_e32 v2, 1
	s_and_saveexec_b64 s[22:23], s[4:5]
	s_cbranch_execz .LBB3_1253
; %bb.1257:                             ;   in Loop: Header=BB3_1256 Depth=2
	global_load_dword v2, v[32:33], off offset:20 glc
	s_waitcnt vmcnt(0)
	buffer_wbinvl1_vol
	v_and_b32_e32 v2, 1, v2
	s_branch .LBB3_1253
.LBB3_1258:                             ;   in Loop: Header=BB3_1181 Depth=1
	global_load_dwordx4 v[6:9], v[6:7], off
	s_and_saveexec_b64 s[22:23], s[4:5]
	s_cbranch_execz .LBB3_1180
; %bb.1259:                             ;   in Loop: Header=BB3_1181 Depth=1
	global_load_dwordx2 v[8:9], v3, s[36:37] offset:40
	global_load_dwordx2 v[16:17], v3, s[36:37] offset:24 glc
	global_load_dwordx2 v[18:19], v3, s[36:37]
	v_mov_b32_e32 v2, s21
	s_waitcnt vmcnt(2)
	v_add_co_u32_e32 v14, vcc, 1, v8
	v_addc_co_u32_e32 v15, vcc, 0, v9, vcc
	v_add_co_u32_e32 v12, vcc, s20, v14
	v_addc_co_u32_e32 v13, vcc, v15, v2, vcc
	v_cmp_eq_u64_e32 vcc, 0, v[12:13]
	v_cndmask_b32_e32 v13, v13, v15, vcc
	v_cndmask_b32_e32 v12, v12, v14, vcc
	v_and_b32_e32 v2, v13, v9
	v_and_b32_e32 v8, v12, v8
	v_mul_lo_u32 v2, v2, 24
	v_mul_hi_u32 v9, v8, 24
	v_mul_lo_u32 v8, v8, 24
	s_waitcnt vmcnt(1)
	v_mov_b32_e32 v14, v16
	v_mov_b32_e32 v15, v17
	v_add_u32_e32 v2, v9, v2
	s_waitcnt vmcnt(0)
	v_add_co_u32_e32 v8, vcc, v18, v8
	v_addc_co_u32_e32 v9, vcc, v19, v2, vcc
	global_store_dwordx2 v[8:9], v[16:17], off
	s_waitcnt vmcnt(0)
	global_atomic_cmpswap_x2 v[14:15], v3, v[12:15], s[36:37] offset:24 glc
	s_waitcnt vmcnt(0)
	v_cmp_ne_u64_e32 vcc, v[14:15], v[16:17]
	s_and_b64 exec, exec, vcc
	s_cbranch_execz .LBB3_1180
; %bb.1260:                             ;   in Loop: Header=BB3_1181 Depth=1
	s_mov_b64 s[4:5], 0
.LBB3_1261:                             ;   Parent Loop BB3_1181 Depth=1
                                        ; =>  This Inner Loop Header: Depth=2
	s_sleep 1
	global_store_dwordx2 v[8:9], v[14:15], off
	s_waitcnt vmcnt(0)
	global_atomic_cmpswap_x2 v[16:17], v3, v[12:15], s[36:37] offset:24 glc
	s_waitcnt vmcnt(0)
	v_cmp_eq_u64_e32 vcc, v[16:17], v[14:15]
	v_mov_b32_e32 v14, v16
	s_or_b64 s[4:5], vcc, s[4:5]
	v_mov_b32_e32 v15, v17
	s_andn2_b64 exec, exec, s[4:5]
	s_cbranch_execnz .LBB3_1261
	s_branch .LBB3_1180
.LBB3_1262:
	s_branch .LBB3_1290
.LBB3_1263:
                                        ; implicit-def: $vgpr6_vgpr7
	s_cbranch_execz .LBB3_1290
; %bb.1264:
	v_readfirstlane_b32 s4, v51
	v_mov_b32_e32 v10, 0
	v_mov_b32_e32 v11, 0
	v_cmp_eq_u32_e64 s[4:5], s4, v51
	s_and_saveexec_b64 s[10:11], s[4:5]
	s_cbranch_execz .LBB3_1270
; %bb.1265:
	v_mov_b32_e32 v2, 0
	global_load_dwordx2 v[8:9], v2, s[36:37] offset:24 glc
	s_waitcnt vmcnt(0)
	buffer_wbinvl1_vol
	global_load_dwordx2 v[6:7], v2, s[36:37] offset:40
	global_load_dwordx2 v[10:11], v2, s[36:37]
	s_waitcnt vmcnt(1)
	v_and_b32_e32 v3, v6, v8
	v_and_b32_e32 v6, v7, v9
	v_mul_lo_u32 v6, v6, 24
	v_mul_hi_u32 v7, v3, 24
	v_mul_lo_u32 v3, v3, 24
	v_add_u32_e32 v7, v7, v6
	s_waitcnt vmcnt(0)
	v_add_co_u32_e32 v6, vcc, v10, v3
	v_addc_co_u32_e32 v7, vcc, v11, v7, vcc
	global_load_dwordx2 v[6:7], v[6:7], off glc
	s_waitcnt vmcnt(0)
	global_atomic_cmpswap_x2 v[10:11], v2, v[6:9], s[36:37] offset:24 glc
	s_waitcnt vmcnt(0)
	buffer_wbinvl1_vol
	v_cmp_ne_u64_e32 vcc, v[10:11], v[8:9]
	s_and_saveexec_b64 s[16:17], vcc
	s_cbranch_execz .LBB3_1269
; %bb.1266:
	s_mov_b64 s[18:19], 0
.LBB3_1267:                             ; =>This Inner Loop Header: Depth=1
	s_sleep 1
	global_load_dwordx2 v[6:7], v2, s[36:37] offset:40
	global_load_dwordx2 v[12:13], v2, s[36:37]
	v_mov_b32_e32 v8, v10
	v_mov_b32_e32 v9, v11
	s_waitcnt vmcnt(1)
	v_and_b32_e32 v3, v6, v8
	s_waitcnt vmcnt(0)
	v_mad_u64_u32 v[10:11], s[20:21], v3, 24, v[12:13]
	v_and_b32_e32 v6, v7, v9
	v_mov_b32_e32 v3, v11
	v_mad_u64_u32 v[6:7], s[20:21], v6, 24, v[3:4]
	v_mov_b32_e32 v11, v6
	global_load_dwordx2 v[6:7], v[10:11], off glc
	s_waitcnt vmcnt(0)
	global_atomic_cmpswap_x2 v[10:11], v2, v[6:9], s[36:37] offset:24 glc
	s_waitcnt vmcnt(0)
	buffer_wbinvl1_vol
	v_cmp_eq_u64_e32 vcc, v[10:11], v[8:9]
	s_or_b64 s[18:19], vcc, s[18:19]
	s_andn2_b64 exec, exec, s[18:19]
	s_cbranch_execnz .LBB3_1267
; %bb.1268:
	s_or_b64 exec, exec, s[18:19]
.LBB3_1269:
	s_or_b64 exec, exec, s[16:17]
.LBB3_1270:
	s_or_b64 exec, exec, s[10:11]
	v_mov_b32_e32 v2, 0
	global_load_dwordx2 v[12:13], v2, s[36:37] offset:40
	global_load_dwordx4 v[6:9], v2, s[36:37]
	v_readfirstlane_b32 s10, v10
	v_readfirstlane_b32 s11, v11
	s_mov_b64 s[16:17], exec
	s_waitcnt vmcnt(1)
	v_readfirstlane_b32 s18, v12
	v_readfirstlane_b32 s19, v13
	s_and_b64 s[18:19], s[10:11], s[18:19]
	s_mul_i32 s15, s19, 24
	s_mul_hi_u32 s20, s18, 24
	s_mul_i32 s21, s18, 24
	s_add_i32 s15, s20, s15
	v_mov_b32_e32 v3, s15
	s_waitcnt vmcnt(0)
	v_add_co_u32_e32 v10, vcc, s21, v6
	v_addc_co_u32_e32 v11, vcc, v7, v3, vcc
	s_and_saveexec_b64 s[20:21], s[4:5]
	s_cbranch_execz .LBB3_1272
; %bb.1271:
	v_mov_b32_e32 v12, s16
	v_mov_b32_e32 v13, s17
	;; [unrolled: 1-line block ×4, first 2 shown]
	global_store_dwordx4 v[10:11], v[12:15], off offset:8
.LBB3_1272:
	s_or_b64 exec, exec, s[20:21]
	s_lshl_b64 s[16:17], s[18:19], 12
	v_mov_b32_e32 v3, s17
	v_add_co_u32_e32 v12, vcc, s16, v8
	v_addc_co_u32_e32 v13, vcc, v9, v3, vcc
	s_movk_i32 s15, 0xff1f
	v_and_or_b32 v0, v0, s15, 32
	s_mov_b32 s16, 0
	v_mov_b32_e32 v3, v2
	v_readfirstlane_b32 s20, v12
	v_readfirstlane_b32 s21, v13
	v_add_co_u32_e32 v8, vcc, v12, v50
	s_mov_b32 s17, s16
	s_mov_b32 s18, s16
	;; [unrolled: 1-line block ×3, first 2 shown]
	s_nop 0
	global_store_dwordx4 v50, v[0:3], s[20:21]
	v_addc_co_u32_e32 v9, vcc, 0, v13, vcc
	v_mov_b32_e32 v0, s16
	v_mov_b32_e32 v1, s17
	;; [unrolled: 1-line block ×4, first 2 shown]
	global_store_dwordx4 v50, v[0:3], s[20:21] offset:16
	global_store_dwordx4 v50, v[0:3], s[20:21] offset:32
	;; [unrolled: 1-line block ×3, first 2 shown]
	s_and_saveexec_b64 s[16:17], s[4:5]
	s_cbranch_execz .LBB3_1280
; %bb.1273:
	v_mov_b32_e32 v12, 0
	global_load_dwordx2 v[15:16], v12, s[36:37] offset:32 glc
	global_load_dwordx2 v[0:1], v12, s[36:37] offset:40
	v_mov_b32_e32 v13, s10
	v_mov_b32_e32 v14, s11
	s_waitcnt vmcnt(0)
	v_readfirstlane_b32 s18, v0
	v_readfirstlane_b32 s19, v1
	s_and_b64 s[18:19], s[18:19], s[10:11]
	s_mul_i32 s15, s19, 24
	s_mul_hi_u32 s19, s18, 24
	s_mul_i32 s18, s18, 24
	s_add_i32 s15, s19, s15
	v_mov_b32_e32 v0, s15
	v_add_co_u32_e32 v6, vcc, s18, v6
	v_addc_co_u32_e32 v7, vcc, v7, v0, vcc
	global_store_dwordx2 v[6:7], v[15:16], off
	s_waitcnt vmcnt(0)
	global_atomic_cmpswap_x2 v[2:3], v12, v[13:16], s[36:37] offset:32 glc
	s_waitcnt vmcnt(0)
	v_cmp_ne_u64_e32 vcc, v[2:3], v[15:16]
	s_and_saveexec_b64 s[18:19], vcc
	s_cbranch_execz .LBB3_1276
; %bb.1274:
	s_mov_b64 s[20:21], 0
.LBB3_1275:                             ; =>This Inner Loop Header: Depth=1
	s_sleep 1
	global_store_dwordx2 v[6:7], v[2:3], off
	v_mov_b32_e32 v0, s10
	v_mov_b32_e32 v1, s11
	s_waitcnt vmcnt(0)
	global_atomic_cmpswap_x2 v[0:1], v12, v[0:3], s[36:37] offset:32 glc
	s_waitcnt vmcnt(0)
	v_cmp_eq_u64_e32 vcc, v[0:1], v[2:3]
	v_mov_b32_e32 v3, v1
	s_or_b64 s[20:21], vcc, s[20:21]
	v_mov_b32_e32 v2, v0
	s_andn2_b64 exec, exec, s[20:21]
	s_cbranch_execnz .LBB3_1275
.LBB3_1276:
	s_or_b64 exec, exec, s[18:19]
	v_mov_b32_e32 v3, 0
	global_load_dwordx2 v[0:1], v3, s[36:37] offset:16
	s_mov_b64 s[18:19], exec
	v_mbcnt_lo_u32_b32 v2, s18, 0
	v_mbcnt_hi_u32_b32 v2, s19, v2
	v_cmp_eq_u32_e32 vcc, 0, v2
	s_and_saveexec_b64 s[20:21], vcc
	s_cbranch_execz .LBB3_1278
; %bb.1277:
	s_bcnt1_i32_b64 s15, s[18:19]
	v_mov_b32_e32 v2, s15
	s_waitcnt vmcnt(0)
	global_atomic_add_x2 v[0:1], v[2:3], off offset:8
.LBB3_1278:
	s_or_b64 exec, exec, s[20:21]
	s_waitcnt vmcnt(0)
	global_load_dwordx2 v[2:3], v[0:1], off offset:16
	s_waitcnt vmcnt(0)
	v_cmp_eq_u64_e32 vcc, 0, v[2:3]
	s_cbranch_vccnz .LBB3_1280
; %bb.1279:
	global_load_dword v0, v[0:1], off offset:24
	v_mov_b32_e32 v1, 0
	s_waitcnt vmcnt(0)
	global_store_dwordx2 v[2:3], v[0:1], off
	v_and_b32_e32 v0, 0xffffff, v0
	v_readfirstlane_b32 m0, v0
	s_sendmsg sendmsg(MSG_INTERRUPT)
.LBB3_1280:
	s_or_b64 exec, exec, s[16:17]
	s_branch .LBB3_1284
.LBB3_1281:                             ;   in Loop: Header=BB3_1284 Depth=1
	s_or_b64 exec, exec, s[16:17]
	v_readfirstlane_b32 s15, v0
	s_cmp_eq_u32 s15, 0
	s_cbranch_scc1 .LBB3_1283
; %bb.1282:                             ;   in Loop: Header=BB3_1284 Depth=1
	s_sleep 1
	s_cbranch_execnz .LBB3_1284
	s_branch .LBB3_1286
.LBB3_1283:
	s_branch .LBB3_1286
.LBB3_1284:                             ; =>This Inner Loop Header: Depth=1
	v_mov_b32_e32 v0, 1
	s_and_saveexec_b64 s[16:17], s[4:5]
	s_cbranch_execz .LBB3_1281
; %bb.1285:                             ;   in Loop: Header=BB3_1284 Depth=1
	global_load_dword v0, v[10:11], off offset:20 glc
	s_waitcnt vmcnt(0)
	buffer_wbinvl1_vol
	v_and_b32_e32 v0, 1, v0
	s_branch .LBB3_1281
.LBB3_1286:
	global_load_dwordx2 v[6:7], v[8:9], off
	s_and_saveexec_b64 s[16:17], s[4:5]
	s_cbranch_execz .LBB3_1289
; %bb.1287:
	v_mov_b32_e32 v10, 0
	global_load_dwordx2 v[2:3], v10, s[36:37] offset:40
	global_load_dwordx2 v[11:12], v10, s[36:37] offset:24 glc
	global_load_dwordx2 v[8:9], v10, s[36:37]
	v_mov_b32_e32 v1, s11
	s_mov_b64 s[4:5], 0
	s_waitcnt vmcnt(2)
	v_add_co_u32_e32 v13, vcc, 1, v2
	v_addc_co_u32_e32 v14, vcc, 0, v3, vcc
	v_add_co_u32_e32 v0, vcc, s10, v13
	v_addc_co_u32_e32 v1, vcc, v14, v1, vcc
	v_cmp_eq_u64_e32 vcc, 0, v[0:1]
	v_cndmask_b32_e32 v1, v1, v14, vcc
	v_cndmask_b32_e32 v0, v0, v13, vcc
	v_and_b32_e32 v3, v1, v3
	v_and_b32_e32 v2, v0, v2
	v_mul_lo_u32 v3, v3, 24
	v_mul_hi_u32 v13, v2, 24
	v_mul_lo_u32 v14, v2, 24
	s_waitcnt vmcnt(1)
	v_mov_b32_e32 v2, v11
	v_add_u32_e32 v3, v13, v3
	s_waitcnt vmcnt(0)
	v_add_co_u32_e32 v8, vcc, v8, v14
	v_addc_co_u32_e32 v9, vcc, v9, v3, vcc
	global_store_dwordx2 v[8:9], v[11:12], off
	v_mov_b32_e32 v3, v12
	s_waitcnt vmcnt(0)
	global_atomic_cmpswap_x2 v[2:3], v10, v[0:3], s[36:37] offset:24 glc
	s_waitcnt vmcnt(0)
	v_cmp_ne_u64_e32 vcc, v[2:3], v[11:12]
	s_and_b64 exec, exec, vcc
	s_cbranch_execz .LBB3_1289
.LBB3_1288:                             ; =>This Inner Loop Header: Depth=1
	s_sleep 1
	global_store_dwordx2 v[8:9], v[2:3], off
	s_waitcnt vmcnt(0)
	global_atomic_cmpswap_x2 v[11:12], v10, v[0:3], s[36:37] offset:24 glc
	s_waitcnt vmcnt(0)
	v_cmp_eq_u64_e32 vcc, v[11:12], v[2:3]
	v_mov_b32_e32 v2, v11
	s_or_b64 s[4:5], vcc, s[4:5]
	v_mov_b32_e32 v3, v12
	s_andn2_b64 exec, exec, s[4:5]
	s_cbranch_execnz .LBB3_1288
.LBB3_1289:
	s_or_b64 exec, exec, s[16:17]
.LBB3_1290:
	v_readfirstlane_b32 s4, v51
	v_mov_b32_e32 v10, 0
	v_mov_b32_e32 v11, 0
	v_cmp_eq_u32_e64 s[4:5], s4, v51
	s_and_saveexec_b64 s[10:11], s[4:5]
	s_cbranch_execz .LBB3_1296
; %bb.1291:
	s_waitcnt vmcnt(0)
	v_mov_b32_e32 v0, 0
	global_load_dwordx2 v[12:13], v0, s[36:37] offset:24 glc
	s_waitcnt vmcnt(0)
	buffer_wbinvl1_vol
	global_load_dwordx2 v[1:2], v0, s[36:37] offset:40
	global_load_dwordx2 v[8:9], v0, s[36:37]
	s_waitcnt vmcnt(1)
	v_and_b32_e32 v1, v1, v12
	v_and_b32_e32 v2, v2, v13
	v_mul_lo_u32 v2, v2, 24
	v_mul_hi_u32 v3, v1, 24
	v_mul_lo_u32 v1, v1, 24
	v_add_u32_e32 v2, v3, v2
	s_waitcnt vmcnt(0)
	v_add_co_u32_e32 v1, vcc, v8, v1
	v_addc_co_u32_e32 v2, vcc, v9, v2, vcc
	global_load_dwordx2 v[10:11], v[1:2], off glc
	s_waitcnt vmcnt(0)
	global_atomic_cmpswap_x2 v[10:11], v0, v[10:13], s[36:37] offset:24 glc
	s_waitcnt vmcnt(0)
	buffer_wbinvl1_vol
	v_cmp_ne_u64_e32 vcc, v[10:11], v[12:13]
	s_and_saveexec_b64 s[16:17], vcc
	s_cbranch_execz .LBB3_1295
; %bb.1292:
	s_mov_b64 s[18:19], 0
.LBB3_1293:                             ; =>This Inner Loop Header: Depth=1
	s_sleep 1
	global_load_dwordx2 v[1:2], v0, s[36:37] offset:40
	global_load_dwordx2 v[8:9], v0, s[36:37]
	v_mov_b32_e32 v13, v11
	v_mov_b32_e32 v12, v10
	s_waitcnt vmcnt(1)
	v_and_b32_e32 v1, v1, v12
	s_waitcnt vmcnt(0)
	v_mad_u64_u32 v[8:9], s[20:21], v1, 24, v[8:9]
	v_and_b32_e32 v2, v2, v13
	v_mov_b32_e32 v1, v9
	v_mad_u64_u32 v[1:2], s[20:21], v2, 24, v[1:2]
	v_mov_b32_e32 v9, v1
	global_load_dwordx2 v[10:11], v[8:9], off glc
	s_waitcnt vmcnt(0)
	global_atomic_cmpswap_x2 v[10:11], v0, v[10:13], s[36:37] offset:24 glc
	s_waitcnt vmcnt(0)
	buffer_wbinvl1_vol
	v_cmp_eq_u64_e32 vcc, v[10:11], v[12:13]
	s_or_b64 s[18:19], vcc, s[18:19]
	s_andn2_b64 exec, exec, s[18:19]
	s_cbranch_execnz .LBB3_1293
; %bb.1294:
	s_or_b64 exec, exec, s[18:19]
.LBB3_1295:
	s_or_b64 exec, exec, s[16:17]
.LBB3_1296:
	s_or_b64 exec, exec, s[10:11]
	s_waitcnt vmcnt(0)
	v_mov_b32_e32 v9, 0
	global_load_dwordx2 v[12:13], v9, s[36:37] offset:40
	global_load_dwordx4 v[0:3], v9, s[36:37]
	v_readfirstlane_b32 s10, v10
	v_readfirstlane_b32 s11, v11
	s_mov_b64 s[16:17], exec
	s_waitcnt vmcnt(1)
	v_readfirstlane_b32 s18, v12
	v_readfirstlane_b32 s19, v13
	s_and_b64 s[18:19], s[10:11], s[18:19]
	s_mul_i32 s15, s19, 24
	s_mul_hi_u32 s20, s18, 24
	s_mul_i32 s21, s18, 24
	s_add_i32 s15, s20, s15
	v_mov_b32_e32 v8, s15
	s_waitcnt vmcnt(0)
	v_add_co_u32_e32 v10, vcc, s21, v0
	v_addc_co_u32_e32 v11, vcc, v1, v8, vcc
	s_and_saveexec_b64 s[20:21], s[4:5]
	s_cbranch_execz .LBB3_1298
; %bb.1297:
	v_mov_b32_e32 v12, s16
	v_mov_b32_e32 v13, s17
	;; [unrolled: 1-line block ×4, first 2 shown]
	global_store_dwordx4 v[10:11], v[12:15], off offset:8
.LBB3_1298:
	s_or_b64 exec, exec, s[20:21]
	s_lshl_b64 s[16:17], s[18:19], 12
	v_mov_b32_e32 v8, s17
	v_add_co_u32_e32 v2, vcc, s16, v2
	v_addc_co_u32_e32 v3, vcc, v3, v8, vcc
	s_movk_i32 s15, 0xff1d
	v_and_or_b32 v6, v6, s15, 34
	s_mov_b32 s16, 0
	v_mov_b32_e32 v8, 10
	v_readfirstlane_b32 s20, v2
	v_readfirstlane_b32 s21, v3
	s_mov_b32 s17, s16
	s_mov_b32 s18, s16
	;; [unrolled: 1-line block ×3, first 2 shown]
	s_nop 1
	global_store_dwordx4 v50, v[6:9], s[20:21]
	s_nop 0
	v_mov_b32_e32 v6, s16
	v_mov_b32_e32 v7, s17
	;; [unrolled: 1-line block ×4, first 2 shown]
	global_store_dwordx4 v50, v[6:9], s[20:21] offset:16
	global_store_dwordx4 v50, v[6:9], s[20:21] offset:32
	;; [unrolled: 1-line block ×3, first 2 shown]
	s_and_saveexec_b64 s[16:17], s[4:5]
	s_cbranch_execz .LBB3_1306
; %bb.1299:
	v_mov_b32_e32 v8, 0
	global_load_dwordx2 v[14:15], v8, s[36:37] offset:32 glc
	global_load_dwordx2 v[2:3], v8, s[36:37] offset:40
	v_mov_b32_e32 v12, s10
	v_mov_b32_e32 v13, s11
	s_waitcnt vmcnt(0)
	v_readfirstlane_b32 s18, v2
	v_readfirstlane_b32 s19, v3
	s_and_b64 s[18:19], s[18:19], s[10:11]
	s_mul_i32 s15, s19, 24
	s_mul_hi_u32 s19, s18, 24
	s_mul_i32 s18, s18, 24
	s_add_i32 s15, s19, s15
	v_mov_b32_e32 v2, s15
	v_add_co_u32_e32 v6, vcc, s18, v0
	v_addc_co_u32_e32 v7, vcc, v1, v2, vcc
	global_store_dwordx2 v[6:7], v[14:15], off
	s_waitcnt vmcnt(0)
	global_atomic_cmpswap_x2 v[2:3], v8, v[12:15], s[36:37] offset:32 glc
	s_waitcnt vmcnt(0)
	v_cmp_ne_u64_e32 vcc, v[2:3], v[14:15]
	s_and_saveexec_b64 s[18:19], vcc
	s_cbranch_execz .LBB3_1302
; %bb.1300:
	s_mov_b64 s[20:21], 0
.LBB3_1301:                             ; =>This Inner Loop Header: Depth=1
	s_sleep 1
	global_store_dwordx2 v[6:7], v[2:3], off
	v_mov_b32_e32 v0, s10
	v_mov_b32_e32 v1, s11
	s_waitcnt vmcnt(0)
	global_atomic_cmpswap_x2 v[0:1], v8, v[0:3], s[36:37] offset:32 glc
	s_waitcnt vmcnt(0)
	v_cmp_eq_u64_e32 vcc, v[0:1], v[2:3]
	v_mov_b32_e32 v3, v1
	s_or_b64 s[20:21], vcc, s[20:21]
	v_mov_b32_e32 v2, v0
	s_andn2_b64 exec, exec, s[20:21]
	s_cbranch_execnz .LBB3_1301
.LBB3_1302:
	s_or_b64 exec, exec, s[18:19]
	v_mov_b32_e32 v3, 0
	global_load_dwordx2 v[0:1], v3, s[36:37] offset:16
	s_mov_b64 s[18:19], exec
	v_mbcnt_lo_u32_b32 v2, s18, 0
	v_mbcnt_hi_u32_b32 v2, s19, v2
	v_cmp_eq_u32_e32 vcc, 0, v2
	s_and_saveexec_b64 s[20:21], vcc
	s_cbranch_execz .LBB3_1304
; %bb.1303:
	s_bcnt1_i32_b64 s15, s[18:19]
	v_mov_b32_e32 v2, s15
	s_waitcnt vmcnt(0)
	global_atomic_add_x2 v[0:1], v[2:3], off offset:8
.LBB3_1304:
	s_or_b64 exec, exec, s[20:21]
	s_waitcnt vmcnt(0)
	global_load_dwordx2 v[2:3], v[0:1], off offset:16
	s_waitcnt vmcnt(0)
	v_cmp_eq_u64_e32 vcc, 0, v[2:3]
	s_cbranch_vccnz .LBB3_1306
; %bb.1305:
	global_load_dword v0, v[0:1], off offset:24
	v_mov_b32_e32 v1, 0
	s_waitcnt vmcnt(0)
	global_store_dwordx2 v[2:3], v[0:1], off
	v_and_b32_e32 v0, 0xffffff, v0
	v_readfirstlane_b32 m0, v0
	s_sendmsg sendmsg(MSG_INTERRUPT)
.LBB3_1306:
	s_or_b64 exec, exec, s[16:17]
	s_branch .LBB3_1310
.LBB3_1307:                             ;   in Loop: Header=BB3_1310 Depth=1
	s_or_b64 exec, exec, s[16:17]
	v_readfirstlane_b32 s15, v0
	s_cmp_eq_u32 s15, 0
	s_cbranch_scc1 .LBB3_1309
; %bb.1308:                             ;   in Loop: Header=BB3_1310 Depth=1
	s_sleep 1
	s_cbranch_execnz .LBB3_1310
	s_branch .LBB3_1312
.LBB3_1309:
	s_branch .LBB3_1312
.LBB3_1310:                             ; =>This Inner Loop Header: Depth=1
	v_mov_b32_e32 v0, 1
	s_and_saveexec_b64 s[16:17], s[4:5]
	s_cbranch_execz .LBB3_1307
; %bb.1311:                             ;   in Loop: Header=BB3_1310 Depth=1
	global_load_dword v0, v[10:11], off offset:20 glc
	s_waitcnt vmcnt(0)
	buffer_wbinvl1_vol
	v_and_b32_e32 v0, 1, v0
	s_branch .LBB3_1307
.LBB3_1312:
	s_and_saveexec_b64 s[16:17], s[4:5]
	s_cbranch_execz .LBB3_1315
; %bb.1313:
	v_mov_b32_e32 v8, 0
	global_load_dwordx2 v[2:3], v8, s[36:37] offset:40
	global_load_dwordx2 v[9:10], v8, s[36:37] offset:24 glc
	global_load_dwordx2 v[6:7], v8, s[36:37]
	v_mov_b32_e32 v1, s11
	s_mov_b64 s[4:5], 0
	s_waitcnt vmcnt(2)
	v_add_co_u32_e32 v11, vcc, 1, v2
	v_addc_co_u32_e32 v12, vcc, 0, v3, vcc
	v_add_co_u32_e32 v0, vcc, s10, v11
	v_addc_co_u32_e32 v1, vcc, v12, v1, vcc
	v_cmp_eq_u64_e32 vcc, 0, v[0:1]
	v_cndmask_b32_e32 v1, v1, v12, vcc
	v_cndmask_b32_e32 v0, v0, v11, vcc
	v_and_b32_e32 v3, v1, v3
	v_and_b32_e32 v2, v0, v2
	v_mul_lo_u32 v3, v3, 24
	v_mul_hi_u32 v11, v2, 24
	v_mul_lo_u32 v12, v2, 24
	s_waitcnt vmcnt(1)
	v_mov_b32_e32 v2, v9
	v_add_u32_e32 v3, v11, v3
	s_waitcnt vmcnt(0)
	v_add_co_u32_e32 v6, vcc, v6, v12
	v_addc_co_u32_e32 v7, vcc, v7, v3, vcc
	global_store_dwordx2 v[6:7], v[9:10], off
	v_mov_b32_e32 v3, v10
	s_waitcnt vmcnt(0)
	global_atomic_cmpswap_x2 v[2:3], v8, v[0:3], s[36:37] offset:24 glc
	s_waitcnt vmcnt(0)
	v_cmp_ne_u64_e32 vcc, v[2:3], v[9:10]
	s_and_b64 exec, exec, vcc
	s_cbranch_execz .LBB3_1315
.LBB3_1314:                             ; =>This Inner Loop Header: Depth=1
	s_sleep 1
	global_store_dwordx2 v[6:7], v[2:3], off
	s_waitcnt vmcnt(0)
	global_atomic_cmpswap_x2 v[9:10], v8, v[0:3], s[36:37] offset:24 glc
	s_waitcnt vmcnt(0)
	v_cmp_eq_u64_e32 vcc, v[9:10], v[2:3]
	v_mov_b32_e32 v2, v9
	s_or_b64 s[4:5], vcc, s[4:5]
	v_mov_b32_e32 v3, v10
	s_andn2_b64 exec, exec, s[4:5]
	s_cbranch_execnz .LBB3_1314
.LBB3_1315:
	s_or_b64 exec, exec, s[16:17]
	v_readfirstlane_b32 s4, v51
	v_mov_b32_e32 v8, 0
	v_mov_b32_e32 v9, 0
	v_cmp_eq_u32_e64 s[4:5], s4, v51
	s_and_saveexec_b64 s[10:11], s[4:5]
	s_cbranch_execz .LBB3_1321
; %bb.1316:
	v_mov_b32_e32 v0, 0
	global_load_dwordx2 v[10:11], v0, s[36:37] offset:24 glc
	s_waitcnt vmcnt(0)
	buffer_wbinvl1_vol
	global_load_dwordx2 v[1:2], v0, s[36:37] offset:40
	global_load_dwordx2 v[6:7], v0, s[36:37]
	s_waitcnt vmcnt(1)
	v_and_b32_e32 v1, v1, v10
	v_and_b32_e32 v2, v2, v11
	v_mul_lo_u32 v2, v2, 24
	v_mul_hi_u32 v3, v1, 24
	v_mul_lo_u32 v1, v1, 24
	v_add_u32_e32 v2, v3, v2
	s_waitcnt vmcnt(0)
	v_add_co_u32_e32 v1, vcc, v6, v1
	v_addc_co_u32_e32 v2, vcc, v7, v2, vcc
	global_load_dwordx2 v[8:9], v[1:2], off glc
	s_waitcnt vmcnt(0)
	global_atomic_cmpswap_x2 v[8:9], v0, v[8:11], s[36:37] offset:24 glc
	s_waitcnt vmcnt(0)
	buffer_wbinvl1_vol
	v_cmp_ne_u64_e32 vcc, v[8:9], v[10:11]
	s_and_saveexec_b64 s[16:17], vcc
	s_cbranch_execz .LBB3_1320
; %bb.1317:
	s_mov_b64 s[18:19], 0
.LBB3_1318:                             ; =>This Inner Loop Header: Depth=1
	s_sleep 1
	global_load_dwordx2 v[1:2], v0, s[36:37] offset:40
	global_load_dwordx2 v[6:7], v0, s[36:37]
	v_mov_b32_e32 v11, v9
	v_mov_b32_e32 v10, v8
	s_waitcnt vmcnt(1)
	v_and_b32_e32 v1, v1, v10
	s_waitcnt vmcnt(0)
	v_mad_u64_u32 v[6:7], s[20:21], v1, 24, v[6:7]
	v_and_b32_e32 v2, v2, v11
	v_mov_b32_e32 v1, v7
	v_mad_u64_u32 v[1:2], s[20:21], v2, 24, v[1:2]
	v_mov_b32_e32 v7, v1
	global_load_dwordx2 v[8:9], v[6:7], off glc
	s_waitcnt vmcnt(0)
	global_atomic_cmpswap_x2 v[8:9], v0, v[8:11], s[36:37] offset:24 glc
	s_waitcnt vmcnt(0)
	buffer_wbinvl1_vol
	v_cmp_eq_u64_e32 vcc, v[8:9], v[10:11]
	s_or_b64 s[18:19], vcc, s[18:19]
	s_andn2_b64 exec, exec, s[18:19]
	s_cbranch_execnz .LBB3_1318
; %bb.1319:
	s_or_b64 exec, exec, s[18:19]
.LBB3_1320:
	s_or_b64 exec, exec, s[16:17]
.LBB3_1321:
	s_or_b64 exec, exec, s[10:11]
	v_mov_b32_e32 v7, 0
	global_load_dwordx2 v[10:11], v7, s[36:37] offset:40
	global_load_dwordx4 v[0:3], v7, s[36:37]
	v_readfirstlane_b32 s10, v8
	v_readfirstlane_b32 s11, v9
	s_mov_b64 s[16:17], exec
	s_waitcnt vmcnt(1)
	v_readfirstlane_b32 s18, v10
	v_readfirstlane_b32 s19, v11
	s_and_b64 s[18:19], s[10:11], s[18:19]
	s_mul_i32 s15, s19, 24
	s_mul_hi_u32 s20, s18, 24
	s_mul_i32 s21, s18, 24
	s_add_i32 s15, s20, s15
	v_mov_b32_e32 v6, s15
	s_waitcnt vmcnt(0)
	v_add_co_u32_e32 v10, vcc, s21, v0
	v_addc_co_u32_e32 v11, vcc, v1, v6, vcc
	s_and_saveexec_b64 s[20:21], s[4:5]
	s_cbranch_execz .LBB3_1323
; %bb.1322:
	v_mov_b32_e32 v12, s16
	v_mov_b32_e32 v13, s17
	;; [unrolled: 1-line block ×4, first 2 shown]
	global_store_dwordx4 v[10:11], v[12:15], off offset:8
.LBB3_1323:
	s_or_b64 exec, exec, s[20:21]
	s_lshl_b64 s[16:17], s[18:19], 12
	v_mov_b32_e32 v6, s17
	v_add_co_u32_e32 v2, vcc, s16, v2
	v_addc_co_u32_e32 v3, vcc, v3, v6, vcc
	s_mov_b32 s16, 0
	v_mov_b32_e32 v6, 33
	v_mov_b32_e32 v8, v7
	;; [unrolled: 1-line block ×3, first 2 shown]
	v_readfirstlane_b32 s20, v2
	v_readfirstlane_b32 s21, v3
	v_add_co_u32_e32 v12, vcc, v2, v50
	s_mov_b32 s17, s16
	s_mov_b32 s18, s16
	;; [unrolled: 1-line block ×3, first 2 shown]
	s_nop 0
	global_store_dwordx4 v50, v[6:9], s[20:21]
	v_addc_co_u32_e32 v13, vcc, 0, v3, vcc
	v_mov_b32_e32 v6, s16
	v_mov_b32_e32 v7, s17
	;; [unrolled: 1-line block ×4, first 2 shown]
	global_store_dwordx4 v50, v[6:9], s[20:21] offset:16
	global_store_dwordx4 v50, v[6:9], s[20:21] offset:32
	global_store_dwordx4 v50, v[6:9], s[20:21] offset:48
	s_and_saveexec_b64 s[16:17], s[4:5]
	s_cbranch_execz .LBB3_1331
; %bb.1324:
	v_mov_b32_e32 v8, 0
	global_load_dwordx2 v[16:17], v8, s[36:37] offset:32 glc
	global_load_dwordx2 v[2:3], v8, s[36:37] offset:40
	v_mov_b32_e32 v14, s10
	v_mov_b32_e32 v15, s11
	s_waitcnt vmcnt(0)
	v_readfirstlane_b32 s18, v2
	v_readfirstlane_b32 s19, v3
	s_and_b64 s[18:19], s[18:19], s[10:11]
	s_mul_i32 s15, s19, 24
	s_mul_hi_u32 s19, s18, 24
	s_mul_i32 s18, s18, 24
	s_add_i32 s15, s19, s15
	v_mov_b32_e32 v2, s15
	v_add_co_u32_e32 v6, vcc, s18, v0
	v_addc_co_u32_e32 v7, vcc, v1, v2, vcc
	global_store_dwordx2 v[6:7], v[16:17], off
	s_waitcnt vmcnt(0)
	global_atomic_cmpswap_x2 v[2:3], v8, v[14:17], s[36:37] offset:32 glc
	s_waitcnt vmcnt(0)
	v_cmp_ne_u64_e32 vcc, v[2:3], v[16:17]
	s_and_saveexec_b64 s[18:19], vcc
	s_cbranch_execz .LBB3_1327
; %bb.1325:
	s_mov_b64 s[20:21], 0
.LBB3_1326:                             ; =>This Inner Loop Header: Depth=1
	s_sleep 1
	global_store_dwordx2 v[6:7], v[2:3], off
	v_mov_b32_e32 v0, s10
	v_mov_b32_e32 v1, s11
	s_waitcnt vmcnt(0)
	global_atomic_cmpswap_x2 v[0:1], v8, v[0:3], s[36:37] offset:32 glc
	s_waitcnt vmcnt(0)
	v_cmp_eq_u64_e32 vcc, v[0:1], v[2:3]
	v_mov_b32_e32 v3, v1
	s_or_b64 s[20:21], vcc, s[20:21]
	v_mov_b32_e32 v2, v0
	s_andn2_b64 exec, exec, s[20:21]
	s_cbranch_execnz .LBB3_1326
.LBB3_1327:
	s_or_b64 exec, exec, s[18:19]
	v_mov_b32_e32 v3, 0
	global_load_dwordx2 v[0:1], v3, s[36:37] offset:16
	s_mov_b64 s[18:19], exec
	v_mbcnt_lo_u32_b32 v2, s18, 0
	v_mbcnt_hi_u32_b32 v2, s19, v2
	v_cmp_eq_u32_e32 vcc, 0, v2
	s_and_saveexec_b64 s[20:21], vcc
	s_cbranch_execz .LBB3_1329
; %bb.1328:
	s_bcnt1_i32_b64 s15, s[18:19]
	v_mov_b32_e32 v2, s15
	s_waitcnt vmcnt(0)
	global_atomic_add_x2 v[0:1], v[2:3], off offset:8
.LBB3_1329:
	s_or_b64 exec, exec, s[20:21]
	s_waitcnt vmcnt(0)
	global_load_dwordx2 v[2:3], v[0:1], off offset:16
	s_waitcnt vmcnt(0)
	v_cmp_eq_u64_e32 vcc, 0, v[2:3]
	s_cbranch_vccnz .LBB3_1331
; %bb.1330:
	global_load_dword v0, v[0:1], off offset:24
	v_mov_b32_e32 v1, 0
	s_waitcnt vmcnt(0)
	global_store_dwordx2 v[2:3], v[0:1], off
	v_and_b32_e32 v0, 0xffffff, v0
	v_readfirstlane_b32 m0, v0
	s_sendmsg sendmsg(MSG_INTERRUPT)
.LBB3_1331:
	s_or_b64 exec, exec, s[16:17]
	s_branch .LBB3_1335
.LBB3_1332:                             ;   in Loop: Header=BB3_1335 Depth=1
	s_or_b64 exec, exec, s[16:17]
	v_readfirstlane_b32 s15, v0
	s_cmp_eq_u32 s15, 0
	s_cbranch_scc1 .LBB3_1334
; %bb.1333:                             ;   in Loop: Header=BB3_1335 Depth=1
	s_sleep 1
	s_cbranch_execnz .LBB3_1335
	s_branch .LBB3_1337
.LBB3_1334:
	s_branch .LBB3_1337
.LBB3_1335:                             ; =>This Inner Loop Header: Depth=1
	v_mov_b32_e32 v0, 1
	s_and_saveexec_b64 s[16:17], s[4:5]
	s_cbranch_execz .LBB3_1332
; %bb.1336:                             ;   in Loop: Header=BB3_1335 Depth=1
	global_load_dword v0, v[10:11], off offset:20 glc
	s_waitcnt vmcnt(0)
	buffer_wbinvl1_vol
	v_and_b32_e32 v0, 1, v0
	s_branch .LBB3_1332
.LBB3_1337:
	global_load_dwordx2 v[6:7], v[12:13], off
	s_and_saveexec_b64 s[16:17], s[4:5]
	s_cbranch_execz .LBB3_1340
; %bb.1338:
	v_mov_b32_e32 v10, 0
	global_load_dwordx2 v[2:3], v10, s[36:37] offset:40
	global_load_dwordx2 v[11:12], v10, s[36:37] offset:24 glc
	global_load_dwordx2 v[8:9], v10, s[36:37]
	v_mov_b32_e32 v1, s11
	s_mov_b64 s[4:5], 0
	s_waitcnt vmcnt(2)
	v_add_co_u32_e32 v13, vcc, 1, v2
	v_addc_co_u32_e32 v14, vcc, 0, v3, vcc
	v_add_co_u32_e32 v0, vcc, s10, v13
	v_addc_co_u32_e32 v1, vcc, v14, v1, vcc
	v_cmp_eq_u64_e32 vcc, 0, v[0:1]
	v_cndmask_b32_e32 v1, v1, v14, vcc
	v_cndmask_b32_e32 v0, v0, v13, vcc
	v_and_b32_e32 v3, v1, v3
	v_and_b32_e32 v2, v0, v2
	v_mul_lo_u32 v3, v3, 24
	v_mul_hi_u32 v13, v2, 24
	v_mul_lo_u32 v14, v2, 24
	s_waitcnt vmcnt(1)
	v_mov_b32_e32 v2, v11
	v_add_u32_e32 v3, v13, v3
	s_waitcnt vmcnt(0)
	v_add_co_u32_e32 v8, vcc, v8, v14
	v_addc_co_u32_e32 v9, vcc, v9, v3, vcc
	global_store_dwordx2 v[8:9], v[11:12], off
	v_mov_b32_e32 v3, v12
	s_waitcnt vmcnt(0)
	global_atomic_cmpswap_x2 v[2:3], v10, v[0:3], s[36:37] offset:24 glc
	s_waitcnt vmcnt(0)
	v_cmp_ne_u64_e32 vcc, v[2:3], v[11:12]
	s_and_b64 exec, exec, vcc
	s_cbranch_execz .LBB3_1340
.LBB3_1339:                             ; =>This Inner Loop Header: Depth=1
	s_sleep 1
	global_store_dwordx2 v[8:9], v[2:3], off
	s_waitcnt vmcnt(0)
	global_atomic_cmpswap_x2 v[11:12], v10, v[0:3], s[36:37] offset:24 glc
	s_waitcnt vmcnt(0)
	v_cmp_eq_u64_e32 vcc, v[11:12], v[2:3]
	v_mov_b32_e32 v2, v11
	s_or_b64 s[4:5], vcc, s[4:5]
	v_mov_b32_e32 v3, v12
	s_andn2_b64 exec, exec, s[4:5]
	s_cbranch_execnz .LBB3_1339
.LBB3_1340:
	s_or_b64 exec, exec, s[16:17]
	s_and_b64 vcc, exec, s[6:7]
	s_cbranch_vccz .LBB3_1425
; %bb.1341:
	s_waitcnt vmcnt(0)
	v_and_b32_e32 v31, 2, v6
	v_mov_b32_e32 v28, 0
	v_and_b32_e32 v0, -3, v6
	v_mov_b32_e32 v1, v7
	s_mov_b64 s[10:11], 3
	v_mov_b32_e32 v10, 2
	v_mov_b32_e32 v11, 1
	s_getpc_b64 s[6:7]
	s_add_u32 s6, s6, .str.7@rel32@lo+4
	s_addc_u32 s7, s7, .str.7@rel32@hi+12
	s_branch .LBB3_1343
.LBB3_1342:                             ;   in Loop: Header=BB3_1343 Depth=1
	s_or_b64 exec, exec, s[20:21]
	s_sub_u32 s10, s10, s16
	s_subb_u32 s11, s11, s17
	s_add_u32 s6, s6, s16
	s_addc_u32 s7, s7, s17
	s_cmp_lg_u64 s[10:11], 0
	s_cbranch_scc0 .LBB3_1424
.LBB3_1343:                             ; =>This Loop Header: Depth=1
                                        ;     Child Loop BB3_1346 Depth 2
                                        ;     Child Loop BB3_1353 Depth 2
	;; [unrolled: 1-line block ×11, first 2 shown]
	v_cmp_lt_u64_e64 s[4:5], s[10:11], 56
	v_cmp_gt_u64_e64 s[18:19], s[10:11], 7
	s_and_b64 s[4:5], s[4:5], exec
	s_cselect_b32 s17, s11, 0
	s_cselect_b32 s16, s10, 56
	s_and_b64 vcc, exec, s[18:19]
	s_cbranch_vccnz .LBB3_1348
; %bb.1344:                             ;   in Loop: Header=BB3_1343 Depth=1
	s_waitcnt vmcnt(0)
	v_mov_b32_e32 v2, 0
	s_cmp_eq_u64 s[10:11], 0
	v_mov_b32_e32 v3, 0
	s_mov_b64 s[4:5], 0
	s_cbranch_scc1 .LBB3_1347
; %bb.1345:                             ;   in Loop: Header=BB3_1343 Depth=1
	v_mov_b32_e32 v2, 0
	s_lshl_b64 s[18:19], s[16:17], 3
	s_mov_b64 s[20:21], 0
	v_mov_b32_e32 v3, 0
	s_mov_b64 s[22:23], s[6:7]
.LBB3_1346:                             ;   Parent Loop BB3_1343 Depth=1
                                        ; =>  This Inner Loop Header: Depth=2
	global_load_ubyte v8, v28, s[22:23]
	s_waitcnt vmcnt(0)
	v_and_b32_e32 v27, 0xffff, v8
	v_lshlrev_b64 v[8:9], s20, v[27:28]
	s_add_u32 s20, s20, 8
	s_addc_u32 s21, s21, 0
	s_add_u32 s22, s22, 1
	s_addc_u32 s23, s23, 0
	v_or_b32_e32 v2, v8, v2
	s_cmp_lg_u32 s18, s20
	v_or_b32_e32 v3, v9, v3
	s_cbranch_scc1 .LBB3_1346
.LBB3_1347:                             ;   in Loop: Header=BB3_1343 Depth=1
	s_mov_b32 s15, 0
	s_andn2_b64 vcc, exec, s[4:5]
	s_mov_b64 s[4:5], s[6:7]
	s_cbranch_vccz .LBB3_1349
	s_branch .LBB3_1350
.LBB3_1348:                             ;   in Loop: Header=BB3_1343 Depth=1
                                        ; implicit-def: $vgpr2_vgpr3
                                        ; implicit-def: $sgpr15
	s_mov_b64 s[4:5], s[6:7]
.LBB3_1349:                             ;   in Loop: Header=BB3_1343 Depth=1
	global_load_dwordx2 v[2:3], v28, s[6:7]
	s_add_i32 s15, s16, -8
	s_add_u32 s4, s6, 8
	s_addc_u32 s5, s7, 0
.LBB3_1350:                             ;   in Loop: Header=BB3_1343 Depth=1
	s_cmp_gt_u32 s15, 7
	s_cbranch_scc1 .LBB3_1354
; %bb.1351:                             ;   in Loop: Header=BB3_1343 Depth=1
	s_cmp_eq_u32 s15, 0
	s_cbranch_scc1 .LBB3_1355
; %bb.1352:                             ;   in Loop: Header=BB3_1343 Depth=1
	v_mov_b32_e32 v12, 0
	s_mov_b64 s[18:19], 0
	v_mov_b32_e32 v13, 0
	s_mov_b64 s[20:21], 0
.LBB3_1353:                             ;   Parent Loop BB3_1343 Depth=1
                                        ; =>  This Inner Loop Header: Depth=2
	s_add_u32 s22, s4, s20
	s_addc_u32 s23, s5, s21
	global_load_ubyte v8, v28, s[22:23]
	s_add_u32 s20, s20, 1
	s_addc_u32 s21, s21, 0
	s_waitcnt vmcnt(0)
	v_and_b32_e32 v27, 0xffff, v8
	v_lshlrev_b64 v[8:9], s18, v[27:28]
	s_add_u32 s18, s18, 8
	s_addc_u32 s19, s19, 0
	v_or_b32_e32 v12, v8, v12
	s_cmp_lg_u32 s15, s20
	v_or_b32_e32 v13, v9, v13
	s_cbranch_scc1 .LBB3_1353
	s_branch .LBB3_1356
.LBB3_1354:                             ;   in Loop: Header=BB3_1343 Depth=1
                                        ; implicit-def: $vgpr12_vgpr13
                                        ; implicit-def: $sgpr22
	s_branch .LBB3_1357
.LBB3_1355:                             ;   in Loop: Header=BB3_1343 Depth=1
	v_mov_b32_e32 v12, 0
	v_mov_b32_e32 v13, 0
.LBB3_1356:                             ;   in Loop: Header=BB3_1343 Depth=1
	s_mov_b32 s22, 0
	s_cbranch_execnz .LBB3_1358
.LBB3_1357:                             ;   in Loop: Header=BB3_1343 Depth=1
	global_load_dwordx2 v[12:13], v28, s[4:5]
	s_add_i32 s22, s15, -8
	s_add_u32 s4, s4, 8
	s_addc_u32 s5, s5, 0
.LBB3_1358:                             ;   in Loop: Header=BB3_1343 Depth=1
	s_cmp_gt_u32 s22, 7
	s_cbranch_scc1 .LBB3_1362
; %bb.1359:                             ;   in Loop: Header=BB3_1343 Depth=1
	s_cmp_eq_u32 s22, 0
	s_cbranch_scc1 .LBB3_1363
; %bb.1360:                             ;   in Loop: Header=BB3_1343 Depth=1
	v_mov_b32_e32 v14, 0
	s_mov_b64 s[18:19], 0
	v_mov_b32_e32 v15, 0
	s_mov_b64 s[20:21], 0
.LBB3_1361:                             ;   Parent Loop BB3_1343 Depth=1
                                        ; =>  This Inner Loop Header: Depth=2
	s_add_u32 s24, s4, s20
	s_addc_u32 s25, s5, s21
	global_load_ubyte v8, v28, s[24:25]
	s_add_u32 s20, s20, 1
	s_addc_u32 s21, s21, 0
	s_waitcnt vmcnt(0)
	v_and_b32_e32 v27, 0xffff, v8
	v_lshlrev_b64 v[8:9], s18, v[27:28]
	s_add_u32 s18, s18, 8
	s_addc_u32 s19, s19, 0
	v_or_b32_e32 v14, v8, v14
	s_cmp_lg_u32 s22, s20
	v_or_b32_e32 v15, v9, v15
	s_cbranch_scc1 .LBB3_1361
	s_branch .LBB3_1364
.LBB3_1362:                             ;   in Loop: Header=BB3_1343 Depth=1
                                        ; implicit-def: $sgpr15
	s_branch .LBB3_1365
.LBB3_1363:                             ;   in Loop: Header=BB3_1343 Depth=1
	v_mov_b32_e32 v14, 0
	v_mov_b32_e32 v15, 0
.LBB3_1364:                             ;   in Loop: Header=BB3_1343 Depth=1
	s_mov_b32 s15, 0
	s_cbranch_execnz .LBB3_1366
.LBB3_1365:                             ;   in Loop: Header=BB3_1343 Depth=1
	global_load_dwordx2 v[14:15], v28, s[4:5]
	s_add_i32 s15, s22, -8
	s_add_u32 s4, s4, 8
	s_addc_u32 s5, s5, 0
.LBB3_1366:                             ;   in Loop: Header=BB3_1343 Depth=1
	s_cmp_gt_u32 s15, 7
	s_cbranch_scc1 .LBB3_1370
; %bb.1367:                             ;   in Loop: Header=BB3_1343 Depth=1
	s_cmp_eq_u32 s15, 0
	s_cbranch_scc1 .LBB3_1371
; %bb.1368:                             ;   in Loop: Header=BB3_1343 Depth=1
	v_mov_b32_e32 v16, 0
	s_mov_b64 s[18:19], 0
	v_mov_b32_e32 v17, 0
	s_mov_b64 s[20:21], 0
.LBB3_1369:                             ;   Parent Loop BB3_1343 Depth=1
                                        ; =>  This Inner Loop Header: Depth=2
	s_add_u32 s22, s4, s20
	s_addc_u32 s23, s5, s21
	global_load_ubyte v8, v28, s[22:23]
	s_add_u32 s20, s20, 1
	s_addc_u32 s21, s21, 0
	s_waitcnt vmcnt(0)
	v_and_b32_e32 v27, 0xffff, v8
	v_lshlrev_b64 v[8:9], s18, v[27:28]
	s_add_u32 s18, s18, 8
	s_addc_u32 s19, s19, 0
	v_or_b32_e32 v16, v8, v16
	s_cmp_lg_u32 s15, s20
	v_or_b32_e32 v17, v9, v17
	s_cbranch_scc1 .LBB3_1369
	s_branch .LBB3_1372
.LBB3_1370:                             ;   in Loop: Header=BB3_1343 Depth=1
                                        ; implicit-def: $vgpr16_vgpr17
                                        ; implicit-def: $sgpr22
	s_branch .LBB3_1373
.LBB3_1371:                             ;   in Loop: Header=BB3_1343 Depth=1
	v_mov_b32_e32 v16, 0
	v_mov_b32_e32 v17, 0
.LBB3_1372:                             ;   in Loop: Header=BB3_1343 Depth=1
	s_mov_b32 s22, 0
	s_cbranch_execnz .LBB3_1374
.LBB3_1373:                             ;   in Loop: Header=BB3_1343 Depth=1
	global_load_dwordx2 v[16:17], v28, s[4:5]
	s_add_i32 s22, s15, -8
	s_add_u32 s4, s4, 8
	s_addc_u32 s5, s5, 0
.LBB3_1374:                             ;   in Loop: Header=BB3_1343 Depth=1
	s_cmp_gt_u32 s22, 7
	s_cbranch_scc1 .LBB3_1378
; %bb.1375:                             ;   in Loop: Header=BB3_1343 Depth=1
	s_cmp_eq_u32 s22, 0
	s_cbranch_scc1 .LBB3_1379
; %bb.1376:                             ;   in Loop: Header=BB3_1343 Depth=1
	v_mov_b32_e32 v18, 0
	s_mov_b64 s[18:19], 0
	v_mov_b32_e32 v19, 0
	s_mov_b64 s[20:21], 0
.LBB3_1377:                             ;   Parent Loop BB3_1343 Depth=1
                                        ; =>  This Inner Loop Header: Depth=2
	s_add_u32 s24, s4, s20
	s_addc_u32 s25, s5, s21
	global_load_ubyte v8, v28, s[24:25]
	s_add_u32 s20, s20, 1
	s_addc_u32 s21, s21, 0
	s_waitcnt vmcnt(0)
	v_and_b32_e32 v27, 0xffff, v8
	v_lshlrev_b64 v[8:9], s18, v[27:28]
	s_add_u32 s18, s18, 8
	s_addc_u32 s19, s19, 0
	v_or_b32_e32 v18, v8, v18
	s_cmp_lg_u32 s22, s20
	v_or_b32_e32 v19, v9, v19
	s_cbranch_scc1 .LBB3_1377
	s_branch .LBB3_1380
.LBB3_1378:                             ;   in Loop: Header=BB3_1343 Depth=1
                                        ; implicit-def: $sgpr15
	s_branch .LBB3_1381
.LBB3_1379:                             ;   in Loop: Header=BB3_1343 Depth=1
	v_mov_b32_e32 v18, 0
	v_mov_b32_e32 v19, 0
.LBB3_1380:                             ;   in Loop: Header=BB3_1343 Depth=1
	s_mov_b32 s15, 0
	s_cbranch_execnz .LBB3_1382
.LBB3_1381:                             ;   in Loop: Header=BB3_1343 Depth=1
	global_load_dwordx2 v[18:19], v28, s[4:5]
	s_add_i32 s15, s22, -8
	s_add_u32 s4, s4, 8
	s_addc_u32 s5, s5, 0
.LBB3_1382:                             ;   in Loop: Header=BB3_1343 Depth=1
	s_cmp_gt_u32 s15, 7
	s_cbranch_scc1 .LBB3_1386
; %bb.1383:                             ;   in Loop: Header=BB3_1343 Depth=1
	s_cmp_eq_u32 s15, 0
	s_cbranch_scc1 .LBB3_1387
; %bb.1384:                             ;   in Loop: Header=BB3_1343 Depth=1
	v_mov_b32_e32 v20, 0
	s_mov_b64 s[18:19], 0
	v_mov_b32_e32 v21, 0
	s_mov_b64 s[20:21], 0
.LBB3_1385:                             ;   Parent Loop BB3_1343 Depth=1
                                        ; =>  This Inner Loop Header: Depth=2
	s_add_u32 s22, s4, s20
	s_addc_u32 s23, s5, s21
	global_load_ubyte v8, v28, s[22:23]
	s_add_u32 s20, s20, 1
	s_addc_u32 s21, s21, 0
	s_waitcnt vmcnt(0)
	v_and_b32_e32 v27, 0xffff, v8
	v_lshlrev_b64 v[8:9], s18, v[27:28]
	s_add_u32 s18, s18, 8
	s_addc_u32 s19, s19, 0
	v_or_b32_e32 v20, v8, v20
	s_cmp_lg_u32 s15, s20
	v_or_b32_e32 v21, v9, v21
	s_cbranch_scc1 .LBB3_1385
	s_branch .LBB3_1388
.LBB3_1386:                             ;   in Loop: Header=BB3_1343 Depth=1
                                        ; implicit-def: $vgpr20_vgpr21
                                        ; implicit-def: $sgpr22
	s_branch .LBB3_1389
.LBB3_1387:                             ;   in Loop: Header=BB3_1343 Depth=1
	v_mov_b32_e32 v20, 0
	v_mov_b32_e32 v21, 0
.LBB3_1388:                             ;   in Loop: Header=BB3_1343 Depth=1
	s_mov_b32 s22, 0
	s_cbranch_execnz .LBB3_1390
.LBB3_1389:                             ;   in Loop: Header=BB3_1343 Depth=1
	global_load_dwordx2 v[20:21], v28, s[4:5]
	s_add_i32 s22, s15, -8
	s_add_u32 s4, s4, 8
	s_addc_u32 s5, s5, 0
.LBB3_1390:                             ;   in Loop: Header=BB3_1343 Depth=1
	s_cmp_gt_u32 s22, 7
	s_cbranch_scc1 .LBB3_1394
; %bb.1391:                             ;   in Loop: Header=BB3_1343 Depth=1
	s_cmp_eq_u32 s22, 0
	s_cbranch_scc1 .LBB3_1395
; %bb.1392:                             ;   in Loop: Header=BB3_1343 Depth=1
	v_mov_b32_e32 v22, 0
	s_mov_b64 s[18:19], 0
	v_mov_b32_e32 v23, 0
	s_mov_b64 s[20:21], s[4:5]
.LBB3_1393:                             ;   Parent Loop BB3_1343 Depth=1
                                        ; =>  This Inner Loop Header: Depth=2
	global_load_ubyte v8, v28, s[20:21]
	s_add_i32 s22, s22, -1
	s_waitcnt vmcnt(0)
	v_and_b32_e32 v27, 0xffff, v8
	v_lshlrev_b64 v[8:9], s18, v[27:28]
	s_add_u32 s18, s18, 8
	s_addc_u32 s19, s19, 0
	s_add_u32 s20, s20, 1
	s_addc_u32 s21, s21, 0
	v_or_b32_e32 v22, v8, v22
	s_cmp_lg_u32 s22, 0
	v_or_b32_e32 v23, v9, v23
	s_cbranch_scc1 .LBB3_1393
	s_branch .LBB3_1396
.LBB3_1394:                             ;   in Loop: Header=BB3_1343 Depth=1
	s_branch .LBB3_1397
.LBB3_1395:                             ;   in Loop: Header=BB3_1343 Depth=1
	v_mov_b32_e32 v22, 0
	v_mov_b32_e32 v23, 0
.LBB3_1396:                             ;   in Loop: Header=BB3_1343 Depth=1
	s_cbranch_execnz .LBB3_1398
.LBB3_1397:                             ;   in Loop: Header=BB3_1343 Depth=1
	global_load_dwordx2 v[22:23], v28, s[4:5]
.LBB3_1398:                             ;   in Loop: Header=BB3_1343 Depth=1
	v_readfirstlane_b32 s4, v51
	v_mov_b32_e32 v8, 0
	v_mov_b32_e32 v9, 0
	v_cmp_eq_u32_e64 s[4:5], s4, v51
	s_and_saveexec_b64 s[18:19], s[4:5]
	s_cbranch_execz .LBB3_1404
; %bb.1399:                             ;   in Loop: Header=BB3_1343 Depth=1
	global_load_dwordx2 v[26:27], v28, s[36:37] offset:24 glc
	s_waitcnt vmcnt(0)
	buffer_wbinvl1_vol
	global_load_dwordx2 v[8:9], v28, s[36:37] offset:40
	global_load_dwordx2 v[24:25], v28, s[36:37]
	s_waitcnt vmcnt(1)
	v_and_b32_e32 v8, v8, v26
	v_and_b32_e32 v9, v9, v27
	v_mul_lo_u32 v9, v9, 24
	v_mul_hi_u32 v29, v8, 24
	v_mul_lo_u32 v8, v8, 24
	v_add_u32_e32 v9, v29, v9
	s_waitcnt vmcnt(0)
	v_add_co_u32_e32 v8, vcc, v24, v8
	v_addc_co_u32_e32 v9, vcc, v25, v9, vcc
	global_load_dwordx2 v[24:25], v[8:9], off glc
	s_waitcnt vmcnt(0)
	global_atomic_cmpswap_x2 v[8:9], v28, v[24:27], s[36:37] offset:24 glc
	s_waitcnt vmcnt(0)
	buffer_wbinvl1_vol
	v_cmp_ne_u64_e32 vcc, v[8:9], v[26:27]
	s_and_saveexec_b64 s[20:21], vcc
	s_cbranch_execz .LBB3_1403
; %bb.1400:                             ;   in Loop: Header=BB3_1343 Depth=1
	s_mov_b64 s[22:23], 0
.LBB3_1401:                             ;   Parent Loop BB3_1343 Depth=1
                                        ; =>  This Inner Loop Header: Depth=2
	s_sleep 1
	global_load_dwordx2 v[24:25], v28, s[36:37] offset:40
	global_load_dwordx2 v[29:30], v28, s[36:37]
	v_mov_b32_e32 v27, v9
	v_mov_b32_e32 v26, v8
	s_waitcnt vmcnt(1)
	v_and_b32_e32 v8, v24, v26
	s_waitcnt vmcnt(0)
	v_mad_u64_u32 v[8:9], s[24:25], v8, 24, v[29:30]
	v_and_b32_e32 v24, v25, v27
	v_mad_u64_u32 v[24:25], s[24:25], v24, 24, v[9:10]
	v_mov_b32_e32 v9, v24
	global_load_dwordx2 v[24:25], v[8:9], off glc
	s_waitcnt vmcnt(0)
	global_atomic_cmpswap_x2 v[8:9], v28, v[24:27], s[36:37] offset:24 glc
	s_waitcnt vmcnt(0)
	buffer_wbinvl1_vol
	v_cmp_eq_u64_e32 vcc, v[8:9], v[26:27]
	s_or_b64 s[22:23], vcc, s[22:23]
	s_andn2_b64 exec, exec, s[22:23]
	s_cbranch_execnz .LBB3_1401
; %bb.1402:                             ;   in Loop: Header=BB3_1343 Depth=1
	s_or_b64 exec, exec, s[22:23]
.LBB3_1403:                             ;   in Loop: Header=BB3_1343 Depth=1
	s_or_b64 exec, exec, s[20:21]
.LBB3_1404:                             ;   in Loop: Header=BB3_1343 Depth=1
	s_or_b64 exec, exec, s[18:19]
	global_load_dwordx2 v[29:30], v28, s[36:37] offset:40
	global_load_dwordx4 v[24:27], v28, s[36:37]
	v_readfirstlane_b32 s18, v8
	v_readfirstlane_b32 s19, v9
	s_mov_b64 s[20:21], exec
	s_waitcnt vmcnt(1)
	v_readfirstlane_b32 s22, v29
	v_readfirstlane_b32 s23, v30
	s_and_b64 s[22:23], s[18:19], s[22:23]
	s_mul_i32 s15, s23, 24
	s_mul_hi_u32 s24, s22, 24
	s_mul_i32 s25, s22, 24
	s_add_i32 s15, s24, s15
	v_mov_b32_e32 v8, s15
	s_waitcnt vmcnt(0)
	v_add_co_u32_e32 v29, vcc, s25, v24
	v_addc_co_u32_e32 v30, vcc, v25, v8, vcc
	s_and_saveexec_b64 s[24:25], s[4:5]
	s_cbranch_execz .LBB3_1406
; %bb.1405:                             ;   in Loop: Header=BB3_1343 Depth=1
	v_mov_b32_e32 v8, s20
	v_mov_b32_e32 v9, s21
	global_store_dwordx4 v[29:30], v[8:11], off offset:8
.LBB3_1406:                             ;   in Loop: Header=BB3_1343 Depth=1
	s_or_b64 exec, exec, s[24:25]
	s_lshl_b64 s[20:21], s[22:23], 12
	v_mov_b32_e32 v8, s21
	v_add_co_u32_e32 v26, vcc, s20, v26
	v_addc_co_u32_e32 v32, vcc, v27, v8, vcc
	v_cmp_gt_u64_e64 vcc, s[10:11], 56
	v_or_b32_e32 v9, v0, v31
	s_lshl_b32 s15, s16, 2
	v_cndmask_b32_e32 v0, v9, v0, vcc
	s_add_i32 s15, s15, 28
	v_or_b32_e32 v8, 0, v1
	s_and_b32 s15, s15, 0x1e0
	v_and_b32_e32 v0, 0xffffff1f, v0
	v_cndmask_b32_e32 v1, v8, v1, vcc
	v_or_b32_e32 v0, s15, v0
	v_readfirstlane_b32 s20, v26
	v_readfirstlane_b32 s21, v32
	s_nop 4
	global_store_dwordx4 v50, v[0:3], s[20:21]
	global_store_dwordx4 v50, v[12:15], s[20:21] offset:16
	global_store_dwordx4 v50, v[16:19], s[20:21] offset:32
	;; [unrolled: 1-line block ×3, first 2 shown]
	s_and_saveexec_b64 s[20:21], s[4:5]
	s_cbranch_execz .LBB3_1414
; %bb.1407:                             ;   in Loop: Header=BB3_1343 Depth=1
	global_load_dwordx2 v[14:15], v28, s[36:37] offset:32 glc
	global_load_dwordx2 v[0:1], v28, s[36:37] offset:40
	v_mov_b32_e32 v12, s18
	v_mov_b32_e32 v13, s19
	s_waitcnt vmcnt(0)
	v_readfirstlane_b32 s22, v0
	v_readfirstlane_b32 s23, v1
	s_and_b64 s[22:23], s[22:23], s[18:19]
	s_mul_i32 s15, s23, 24
	s_mul_hi_u32 s23, s22, 24
	s_mul_i32 s22, s22, 24
	s_add_i32 s15, s23, s15
	v_mov_b32_e32 v0, s15
	v_add_co_u32_e32 v8, vcc, s22, v24
	v_addc_co_u32_e32 v9, vcc, v25, v0, vcc
	global_store_dwordx2 v[8:9], v[14:15], off
	s_waitcnt vmcnt(0)
	global_atomic_cmpswap_x2 v[2:3], v28, v[12:15], s[36:37] offset:32 glc
	s_waitcnt vmcnt(0)
	v_cmp_ne_u64_e32 vcc, v[2:3], v[14:15]
	s_and_saveexec_b64 s[22:23], vcc
	s_cbranch_execz .LBB3_1410
; %bb.1408:                             ;   in Loop: Header=BB3_1343 Depth=1
	s_mov_b64 s[24:25], 0
.LBB3_1409:                             ;   Parent Loop BB3_1343 Depth=1
                                        ; =>  This Inner Loop Header: Depth=2
	s_sleep 1
	global_store_dwordx2 v[8:9], v[2:3], off
	v_mov_b32_e32 v0, s18
	v_mov_b32_e32 v1, s19
	s_waitcnt vmcnt(0)
	global_atomic_cmpswap_x2 v[0:1], v28, v[0:3], s[36:37] offset:32 glc
	s_waitcnt vmcnt(0)
	v_cmp_eq_u64_e32 vcc, v[0:1], v[2:3]
	v_mov_b32_e32 v3, v1
	s_or_b64 s[24:25], vcc, s[24:25]
	v_mov_b32_e32 v2, v0
	s_andn2_b64 exec, exec, s[24:25]
	s_cbranch_execnz .LBB3_1409
.LBB3_1410:                             ;   in Loop: Header=BB3_1343 Depth=1
	s_or_b64 exec, exec, s[22:23]
	global_load_dwordx2 v[0:1], v28, s[36:37] offset:16
	s_mov_b64 s[24:25], exec
	v_mbcnt_lo_u32_b32 v2, s24, 0
	v_mbcnt_hi_u32_b32 v2, s25, v2
	v_cmp_eq_u32_e32 vcc, 0, v2
	s_and_saveexec_b64 s[22:23], vcc
	s_cbranch_execz .LBB3_1412
; %bb.1411:                             ;   in Loop: Header=BB3_1343 Depth=1
	s_bcnt1_i32_b64 s15, s[24:25]
	v_mov_b32_e32 v27, s15
	s_waitcnt vmcnt(0)
	global_atomic_add_x2 v[0:1], v[27:28], off offset:8
.LBB3_1412:                             ;   in Loop: Header=BB3_1343 Depth=1
	s_or_b64 exec, exec, s[22:23]
	s_waitcnt vmcnt(0)
	global_load_dwordx2 v[2:3], v[0:1], off offset:16
	s_waitcnt vmcnt(0)
	v_cmp_eq_u64_e32 vcc, 0, v[2:3]
	s_cbranch_vccnz .LBB3_1414
; %bb.1413:                             ;   in Loop: Header=BB3_1343 Depth=1
	global_load_dword v27, v[0:1], off offset:24
	s_waitcnt vmcnt(0)
	v_and_b32_e32 v0, 0xffffff, v27
	v_readfirstlane_b32 m0, v0
	global_store_dwordx2 v[2:3], v[27:28], off
	s_sendmsg sendmsg(MSG_INTERRUPT)
.LBB3_1414:                             ;   in Loop: Header=BB3_1343 Depth=1
	s_or_b64 exec, exec, s[20:21]
	v_add_co_u32_e32 v0, vcc, v26, v50
	v_addc_co_u32_e32 v1, vcc, 0, v32, vcc
	s_branch .LBB3_1418
.LBB3_1415:                             ;   in Loop: Header=BB3_1418 Depth=2
	s_or_b64 exec, exec, s[20:21]
	v_readfirstlane_b32 s15, v2
	s_cmp_eq_u32 s15, 0
	s_cbranch_scc1 .LBB3_1417
; %bb.1416:                             ;   in Loop: Header=BB3_1418 Depth=2
	s_sleep 1
	s_cbranch_execnz .LBB3_1418
	s_branch .LBB3_1420
.LBB3_1417:                             ;   in Loop: Header=BB3_1343 Depth=1
	s_branch .LBB3_1420
.LBB3_1418:                             ;   Parent Loop BB3_1343 Depth=1
                                        ; =>  This Inner Loop Header: Depth=2
	v_mov_b32_e32 v2, 1
	s_and_saveexec_b64 s[20:21], s[4:5]
	s_cbranch_execz .LBB3_1415
; %bb.1419:                             ;   in Loop: Header=BB3_1418 Depth=2
	global_load_dword v2, v[29:30], off offset:20 glc
	s_waitcnt vmcnt(0)
	buffer_wbinvl1_vol
	v_and_b32_e32 v2, 1, v2
	s_branch .LBB3_1415
.LBB3_1420:                             ;   in Loop: Header=BB3_1343 Depth=1
	global_load_dwordx4 v[0:3], v[0:1], off
	s_and_saveexec_b64 s[20:21], s[4:5]
	s_cbranch_execz .LBB3_1342
; %bb.1421:                             ;   in Loop: Header=BB3_1343 Depth=1
	global_load_dwordx2 v[2:3], v28, s[36:37] offset:40
	global_load_dwordx2 v[8:9], v28, s[36:37] offset:24 glc
	global_load_dwordx2 v[15:16], v28, s[36:37]
	v_mov_b32_e32 v13, s19
	s_waitcnt vmcnt(2)
	v_add_co_u32_e32 v14, vcc, 1, v2
	v_addc_co_u32_e32 v17, vcc, 0, v3, vcc
	v_add_co_u32_e32 v12, vcc, s18, v14
	v_addc_co_u32_e32 v13, vcc, v17, v13, vcc
	v_cmp_eq_u64_e32 vcc, 0, v[12:13]
	v_cndmask_b32_e32 v13, v13, v17, vcc
	v_cndmask_b32_e32 v12, v12, v14, vcc
	v_and_b32_e32 v3, v13, v3
	v_and_b32_e32 v2, v12, v2
	v_mul_lo_u32 v3, v3, 24
	v_mul_hi_u32 v17, v2, 24
	v_mul_lo_u32 v2, v2, 24
	s_waitcnt vmcnt(1)
	v_mov_b32_e32 v14, v8
	v_add_u32_e32 v3, v17, v3
	s_waitcnt vmcnt(0)
	v_add_co_u32_e32 v2, vcc, v15, v2
	v_addc_co_u32_e32 v3, vcc, v16, v3, vcc
	global_store_dwordx2 v[2:3], v[8:9], off
	v_mov_b32_e32 v15, v9
	s_waitcnt vmcnt(0)
	global_atomic_cmpswap_x2 v[14:15], v28, v[12:15], s[36:37] offset:24 glc
	s_waitcnt vmcnt(0)
	v_cmp_ne_u64_e32 vcc, v[14:15], v[8:9]
	s_and_b64 exec, exec, vcc
	s_cbranch_execz .LBB3_1342
; %bb.1422:                             ;   in Loop: Header=BB3_1343 Depth=1
	s_mov_b64 s[4:5], 0
.LBB3_1423:                             ;   Parent Loop BB3_1343 Depth=1
                                        ; =>  This Inner Loop Header: Depth=2
	s_sleep 1
	global_store_dwordx2 v[2:3], v[14:15], off
	s_waitcnt vmcnt(0)
	global_atomic_cmpswap_x2 v[8:9], v28, v[12:15], s[36:37] offset:24 glc
	s_waitcnt vmcnt(0)
	v_cmp_eq_u64_e32 vcc, v[8:9], v[14:15]
	v_mov_b32_e32 v15, v9
	s_or_b64 s[4:5], vcc, s[4:5]
	v_mov_b32_e32 v14, v8
	s_andn2_b64 exec, exec, s[4:5]
	s_cbranch_execnz .LBB3_1423
	s_branch .LBB3_1342
.LBB3_1424:
	s_branch .LBB3_1452
.LBB3_1425:
                                        ; implicit-def: $vgpr0_vgpr1
	s_cbranch_execz .LBB3_1452
; %bb.1426:
	v_readfirstlane_b32 s4, v51
	v_mov_b32_e32 v9, 0
	v_mov_b32_e32 v10, 0
	v_cmp_eq_u32_e64 s[4:5], s4, v51
	s_and_saveexec_b64 s[6:7], s[4:5]
	s_cbranch_execz .LBB3_1432
; %bb.1427:
	s_waitcnt vmcnt(0)
	v_mov_b32_e32 v0, 0
	global_load_dwordx2 v[11:12], v0, s[36:37] offset:24 glc
	s_waitcnt vmcnt(0)
	buffer_wbinvl1_vol
	global_load_dwordx2 v[1:2], v0, s[36:37] offset:40
	global_load_dwordx2 v[8:9], v0, s[36:37]
	s_waitcnt vmcnt(1)
	v_and_b32_e32 v1, v1, v11
	v_and_b32_e32 v2, v2, v12
	v_mul_lo_u32 v2, v2, 24
	v_mul_hi_u32 v3, v1, 24
	v_mul_lo_u32 v1, v1, 24
	v_add_u32_e32 v2, v3, v2
	s_waitcnt vmcnt(0)
	v_add_co_u32_e32 v1, vcc, v8, v1
	v_addc_co_u32_e32 v2, vcc, v9, v2, vcc
	global_load_dwordx2 v[9:10], v[1:2], off glc
	s_waitcnt vmcnt(0)
	global_atomic_cmpswap_x2 v[9:10], v0, v[9:12], s[36:37] offset:24 glc
	s_waitcnt vmcnt(0)
	buffer_wbinvl1_vol
	v_cmp_ne_u64_e32 vcc, v[9:10], v[11:12]
	s_and_saveexec_b64 s[10:11], vcc
	s_cbranch_execz .LBB3_1431
; %bb.1428:
	s_mov_b64 s[16:17], 0
.LBB3_1429:                             ; =>This Inner Loop Header: Depth=1
	s_sleep 1
	global_load_dwordx2 v[1:2], v0, s[36:37] offset:40
	global_load_dwordx2 v[13:14], v0, s[36:37]
	v_mov_b32_e32 v12, v10
	v_mov_b32_e32 v11, v9
	s_waitcnt vmcnt(1)
	v_and_b32_e32 v1, v1, v11
	s_waitcnt vmcnt(0)
	v_mad_u64_u32 v[8:9], s[18:19], v1, 24, v[13:14]
	v_and_b32_e32 v2, v2, v12
	v_mov_b32_e32 v1, v9
	v_mad_u64_u32 v[1:2], s[18:19], v2, 24, v[1:2]
	v_mov_b32_e32 v9, v1
	global_load_dwordx2 v[9:10], v[8:9], off glc
	s_waitcnt vmcnt(0)
	global_atomic_cmpswap_x2 v[9:10], v0, v[9:12], s[36:37] offset:24 glc
	s_waitcnt vmcnt(0)
	buffer_wbinvl1_vol
	v_cmp_eq_u64_e32 vcc, v[9:10], v[11:12]
	s_or_b64 s[16:17], vcc, s[16:17]
	s_andn2_b64 exec, exec, s[16:17]
	s_cbranch_execnz .LBB3_1429
; %bb.1430:
	s_or_b64 exec, exec, s[16:17]
.LBB3_1431:
	s_or_b64 exec, exec, s[10:11]
.LBB3_1432:
	s_or_b64 exec, exec, s[6:7]
	v_mov_b32_e32 v8, 0
	global_load_dwordx2 v[11:12], v8, s[36:37] offset:40
	global_load_dwordx4 v[0:3], v8, s[36:37]
	v_readfirstlane_b32 s6, v9
	v_readfirstlane_b32 s7, v10
	s_mov_b64 s[10:11], exec
	s_waitcnt vmcnt(1)
	v_readfirstlane_b32 s16, v11
	v_readfirstlane_b32 s17, v12
	s_and_b64 s[16:17], s[6:7], s[16:17]
	s_mul_i32 s15, s17, 24
	s_mul_hi_u32 s18, s16, 24
	s_mul_i32 s19, s16, 24
	s_add_i32 s15, s18, s15
	v_mov_b32_e32 v9, s15
	s_waitcnt vmcnt(0)
	v_add_co_u32_e32 v10, vcc, s19, v0
	v_addc_co_u32_e32 v11, vcc, v1, v9, vcc
	s_and_saveexec_b64 s[18:19], s[4:5]
	s_cbranch_execz .LBB3_1434
; %bb.1433:
	v_mov_b32_e32 v13, s11
	v_mov_b32_e32 v12, s10
	;; [unrolled: 1-line block ×4, first 2 shown]
	global_store_dwordx4 v[10:11], v[12:15], off offset:8
.LBB3_1434:
	s_or_b64 exec, exec, s[18:19]
	s_lshl_b64 s[10:11], s[16:17], 12
	v_mov_b32_e32 v9, s11
	v_add_co_u32_e32 v2, vcc, s10, v2
	v_addc_co_u32_e32 v3, vcc, v3, v9, vcc
	s_movk_i32 s10, 0xff1f
	v_and_or_b32 v6, v6, s10, 32
	s_mov_b32 s16, 0
	v_mov_b32_e32 v9, v8
	v_readfirstlane_b32 s10, v2
	v_readfirstlane_b32 s11, v3
	v_add_co_u32_e32 v12, vcc, v2, v50
	s_mov_b32 s17, s16
	s_mov_b32 s18, s16
	;; [unrolled: 1-line block ×3, first 2 shown]
	s_nop 0
	global_store_dwordx4 v50, v[6:9], s[10:11]
	v_addc_co_u32_e32 v13, vcc, 0, v3, vcc
	v_mov_b32_e32 v6, s16
	v_mov_b32_e32 v7, s17
	;; [unrolled: 1-line block ×4, first 2 shown]
	global_store_dwordx4 v50, v[6:9], s[10:11] offset:16
	global_store_dwordx4 v50, v[6:9], s[10:11] offset:32
	;; [unrolled: 1-line block ×3, first 2 shown]
	s_and_saveexec_b64 s[10:11], s[4:5]
	s_cbranch_execz .LBB3_1442
; %bb.1435:
	v_mov_b32_e32 v8, 0
	global_load_dwordx2 v[16:17], v8, s[36:37] offset:32 glc
	global_load_dwordx2 v[2:3], v8, s[36:37] offset:40
	v_mov_b32_e32 v14, s6
	v_mov_b32_e32 v15, s7
	s_waitcnt vmcnt(0)
	v_readfirstlane_b32 s16, v2
	v_readfirstlane_b32 s17, v3
	s_and_b64 s[16:17], s[16:17], s[6:7]
	s_mul_i32 s15, s17, 24
	s_mul_hi_u32 s17, s16, 24
	s_mul_i32 s16, s16, 24
	s_add_i32 s15, s17, s15
	v_mov_b32_e32 v2, s15
	v_add_co_u32_e32 v6, vcc, s16, v0
	v_addc_co_u32_e32 v7, vcc, v1, v2, vcc
	global_store_dwordx2 v[6:7], v[16:17], off
	s_waitcnt vmcnt(0)
	global_atomic_cmpswap_x2 v[2:3], v8, v[14:17], s[36:37] offset:32 glc
	s_waitcnt vmcnt(0)
	v_cmp_ne_u64_e32 vcc, v[2:3], v[16:17]
	s_and_saveexec_b64 s[16:17], vcc
	s_cbranch_execz .LBB3_1438
; %bb.1436:
	s_mov_b64 s[18:19], 0
.LBB3_1437:                             ; =>This Inner Loop Header: Depth=1
	s_sleep 1
	global_store_dwordx2 v[6:7], v[2:3], off
	v_mov_b32_e32 v0, s6
	v_mov_b32_e32 v1, s7
	s_waitcnt vmcnt(0)
	global_atomic_cmpswap_x2 v[0:1], v8, v[0:3], s[36:37] offset:32 glc
	s_waitcnt vmcnt(0)
	v_cmp_eq_u64_e32 vcc, v[0:1], v[2:3]
	v_mov_b32_e32 v3, v1
	s_or_b64 s[18:19], vcc, s[18:19]
	v_mov_b32_e32 v2, v0
	s_andn2_b64 exec, exec, s[18:19]
	s_cbranch_execnz .LBB3_1437
.LBB3_1438:
	s_or_b64 exec, exec, s[16:17]
	v_mov_b32_e32 v3, 0
	global_load_dwordx2 v[0:1], v3, s[36:37] offset:16
	s_mov_b64 s[16:17], exec
	v_mbcnt_lo_u32_b32 v2, s16, 0
	v_mbcnt_hi_u32_b32 v2, s17, v2
	v_cmp_eq_u32_e32 vcc, 0, v2
	s_and_saveexec_b64 s[18:19], vcc
	s_cbranch_execz .LBB3_1440
; %bb.1439:
	s_bcnt1_i32_b64 s15, s[16:17]
	v_mov_b32_e32 v2, s15
	s_waitcnt vmcnt(0)
	global_atomic_add_x2 v[0:1], v[2:3], off offset:8
.LBB3_1440:
	s_or_b64 exec, exec, s[18:19]
	s_waitcnt vmcnt(0)
	global_load_dwordx2 v[2:3], v[0:1], off offset:16
	s_waitcnt vmcnt(0)
	v_cmp_eq_u64_e32 vcc, 0, v[2:3]
	s_cbranch_vccnz .LBB3_1442
; %bb.1441:
	global_load_dword v0, v[0:1], off offset:24
	v_mov_b32_e32 v1, 0
	s_waitcnt vmcnt(0)
	global_store_dwordx2 v[2:3], v[0:1], off
	v_and_b32_e32 v0, 0xffffff, v0
	v_readfirstlane_b32 m0, v0
	s_sendmsg sendmsg(MSG_INTERRUPT)
.LBB3_1442:
	s_or_b64 exec, exec, s[10:11]
	s_branch .LBB3_1446
.LBB3_1443:                             ;   in Loop: Header=BB3_1446 Depth=1
	s_or_b64 exec, exec, s[10:11]
	v_readfirstlane_b32 s10, v0
	s_cmp_eq_u32 s10, 0
	s_cbranch_scc1 .LBB3_1445
; %bb.1444:                             ;   in Loop: Header=BB3_1446 Depth=1
	s_sleep 1
	s_cbranch_execnz .LBB3_1446
	s_branch .LBB3_1448
.LBB3_1445:
	s_branch .LBB3_1448
.LBB3_1446:                             ; =>This Inner Loop Header: Depth=1
	v_mov_b32_e32 v0, 1
	s_and_saveexec_b64 s[10:11], s[4:5]
	s_cbranch_execz .LBB3_1443
; %bb.1447:                             ;   in Loop: Header=BB3_1446 Depth=1
	global_load_dword v0, v[10:11], off offset:20 glc
	s_waitcnt vmcnt(0)
	buffer_wbinvl1_vol
	v_and_b32_e32 v0, 1, v0
	s_branch .LBB3_1443
.LBB3_1448:
	global_load_dwordx2 v[0:1], v[12:13], off
	s_and_saveexec_b64 s[10:11], s[4:5]
	s_cbranch_execz .LBB3_1451
; %bb.1449:
	v_mov_b32_e32 v10, 0
	global_load_dwordx2 v[2:3], v10, s[36:37] offset:40
	global_load_dwordx2 v[11:12], v10, s[36:37] offset:24 glc
	global_load_dwordx2 v[13:14], v10, s[36:37]
	v_mov_b32_e32 v7, s7
	s_mov_b64 s[4:5], 0
	s_waitcnt vmcnt(2)
	v_add_co_u32_e32 v8, vcc, 1, v2
	v_addc_co_u32_e32 v9, vcc, 0, v3, vcc
	v_add_co_u32_e32 v6, vcc, s6, v8
	v_addc_co_u32_e32 v7, vcc, v9, v7, vcc
	v_cmp_eq_u64_e32 vcc, 0, v[6:7]
	v_cndmask_b32_e32 v7, v7, v9, vcc
	v_cndmask_b32_e32 v6, v6, v8, vcc
	v_and_b32_e32 v3, v7, v3
	v_and_b32_e32 v2, v6, v2
	v_mul_lo_u32 v3, v3, 24
	v_mul_hi_u32 v9, v2, 24
	v_mul_lo_u32 v2, v2, 24
	s_waitcnt vmcnt(1)
	v_mov_b32_e32 v8, v11
	v_add_u32_e32 v3, v9, v3
	s_waitcnt vmcnt(0)
	v_add_co_u32_e32 v2, vcc, v13, v2
	v_addc_co_u32_e32 v3, vcc, v14, v3, vcc
	global_store_dwordx2 v[2:3], v[11:12], off
	v_mov_b32_e32 v9, v12
	s_waitcnt vmcnt(0)
	global_atomic_cmpswap_x2 v[8:9], v10, v[6:9], s[36:37] offset:24 glc
	s_waitcnt vmcnt(0)
	v_cmp_ne_u64_e32 vcc, v[8:9], v[11:12]
	s_and_b64 exec, exec, vcc
	s_cbranch_execz .LBB3_1451
.LBB3_1450:                             ; =>This Inner Loop Header: Depth=1
	s_sleep 1
	global_store_dwordx2 v[2:3], v[8:9], off
	s_waitcnt vmcnt(0)
	global_atomic_cmpswap_x2 v[11:12], v10, v[6:9], s[36:37] offset:24 glc
	s_waitcnt vmcnt(0)
	v_cmp_eq_u64_e32 vcc, v[11:12], v[8:9]
	v_mov_b32_e32 v8, v11
	s_or_b64 s[4:5], vcc, s[4:5]
	v_mov_b32_e32 v9, v12
	s_andn2_b64 exec, exec, s[4:5]
	s_cbranch_execnz .LBB3_1450
.LBB3_1451:
	s_or_b64 exec, exec, s[10:11]
.LBB3_1452:
	s_getpc_b64 s[6:7]
	s_add_u32 s6, s6, .str.4@rel32@lo+4
	s_addc_u32 s7, s7, .str.4@rel32@hi+12
	s_cmp_lg_u64 s[6:7], 0
	s_cbranch_scc0 .LBB3_1537
; %bb.1453:
	s_waitcnt vmcnt(0)
	v_and_b32_e32 v10, -3, v0
	v_mov_b32_e32 v11, v1
	s_mov_b64 s[10:11], 13
	v_mov_b32_e32 v3, 0
	v_mov_b32_e32 v8, 2
	;; [unrolled: 1-line block ×3, first 2 shown]
	s_branch .LBB3_1455
.LBB3_1454:                             ;   in Loop: Header=BB3_1455 Depth=1
	s_or_b64 exec, exec, s[20:21]
	s_sub_u32 s10, s10, s16
	s_subb_u32 s11, s11, s17
	s_add_u32 s6, s6, s16
	s_addc_u32 s7, s7, s17
	s_cmp_lg_u64 s[10:11], 0
	s_cbranch_scc0 .LBB3_1536
.LBB3_1455:                             ; =>This Loop Header: Depth=1
                                        ;     Child Loop BB3_1458 Depth 2
                                        ;     Child Loop BB3_1465 Depth 2
	;; [unrolled: 1-line block ×11, first 2 shown]
	v_cmp_lt_u64_e64 s[4:5], s[10:11], 56
	v_cmp_gt_u64_e64 s[18:19], s[10:11], 7
	s_and_b64 s[4:5], s[4:5], exec
	s_cselect_b32 s17, s11, 0
	s_cselect_b32 s16, s10, 56
	s_and_b64 vcc, exec, s[18:19]
	s_cbranch_vccnz .LBB3_1460
; %bb.1456:                             ;   in Loop: Header=BB3_1455 Depth=1
	s_waitcnt vmcnt(0)
	v_mov_b32_e32 v12, 0
	s_cmp_eq_u64 s[10:11], 0
	v_mov_b32_e32 v13, 0
	s_mov_b64 s[4:5], 0
	s_cbranch_scc1 .LBB3_1459
; %bb.1457:                             ;   in Loop: Header=BB3_1455 Depth=1
	v_mov_b32_e32 v12, 0
	s_lshl_b64 s[18:19], s[16:17], 3
	s_mov_b64 s[20:21], 0
	v_mov_b32_e32 v13, 0
	s_mov_b64 s[22:23], s[6:7]
.LBB3_1458:                             ;   Parent Loop BB3_1455 Depth=1
                                        ; =>  This Inner Loop Header: Depth=2
	global_load_ubyte v2, v3, s[22:23]
	s_waitcnt vmcnt(0)
	v_and_b32_e32 v2, 0xffff, v2
	v_lshlrev_b64 v[6:7], s20, v[2:3]
	s_add_u32 s20, s20, 8
	s_addc_u32 s21, s21, 0
	s_add_u32 s22, s22, 1
	s_addc_u32 s23, s23, 0
	v_or_b32_e32 v12, v6, v12
	s_cmp_lg_u32 s18, s20
	v_or_b32_e32 v13, v7, v13
	s_cbranch_scc1 .LBB3_1458
.LBB3_1459:                             ;   in Loop: Header=BB3_1455 Depth=1
	s_mov_b32 s15, 0
	s_andn2_b64 vcc, exec, s[4:5]
	s_mov_b64 s[4:5], s[6:7]
	s_cbranch_vccz .LBB3_1461
	s_branch .LBB3_1462
.LBB3_1460:                             ;   in Loop: Header=BB3_1455 Depth=1
                                        ; implicit-def: $sgpr15
	s_mov_b64 s[4:5], s[6:7]
.LBB3_1461:                             ;   in Loop: Header=BB3_1455 Depth=1
	global_load_dwordx2 v[12:13], v3, s[6:7]
	s_add_i32 s15, s16, -8
	s_add_u32 s4, s6, 8
	s_addc_u32 s5, s7, 0
.LBB3_1462:                             ;   in Loop: Header=BB3_1455 Depth=1
	s_cmp_gt_u32 s15, 7
	s_cbranch_scc1 .LBB3_1466
; %bb.1463:                             ;   in Loop: Header=BB3_1455 Depth=1
	s_cmp_eq_u32 s15, 0
	s_cbranch_scc1 .LBB3_1467
; %bb.1464:                             ;   in Loop: Header=BB3_1455 Depth=1
	v_mov_b32_e32 v14, 0
	s_mov_b64 s[18:19], 0
	v_mov_b32_e32 v15, 0
	s_mov_b64 s[20:21], 0
.LBB3_1465:                             ;   Parent Loop BB3_1455 Depth=1
                                        ; =>  This Inner Loop Header: Depth=2
	s_add_u32 s22, s4, s20
	s_addc_u32 s23, s5, s21
	global_load_ubyte v2, v3, s[22:23]
	s_add_u32 s20, s20, 1
	s_addc_u32 s21, s21, 0
	s_waitcnt vmcnt(0)
	v_and_b32_e32 v2, 0xffff, v2
	v_lshlrev_b64 v[6:7], s18, v[2:3]
	s_add_u32 s18, s18, 8
	s_addc_u32 s19, s19, 0
	v_or_b32_e32 v14, v6, v14
	s_cmp_lg_u32 s15, s20
	v_or_b32_e32 v15, v7, v15
	s_cbranch_scc1 .LBB3_1465
	s_branch .LBB3_1468
.LBB3_1466:                             ;   in Loop: Header=BB3_1455 Depth=1
                                        ; implicit-def: $vgpr14_vgpr15
                                        ; implicit-def: $sgpr22
	s_branch .LBB3_1469
.LBB3_1467:                             ;   in Loop: Header=BB3_1455 Depth=1
	v_mov_b32_e32 v14, 0
	v_mov_b32_e32 v15, 0
.LBB3_1468:                             ;   in Loop: Header=BB3_1455 Depth=1
	s_mov_b32 s22, 0
	s_cbranch_execnz .LBB3_1470
.LBB3_1469:                             ;   in Loop: Header=BB3_1455 Depth=1
	global_load_dwordx2 v[14:15], v3, s[4:5]
	s_add_i32 s22, s15, -8
	s_add_u32 s4, s4, 8
	s_addc_u32 s5, s5, 0
.LBB3_1470:                             ;   in Loop: Header=BB3_1455 Depth=1
	s_cmp_gt_u32 s22, 7
	s_cbranch_scc1 .LBB3_1474
; %bb.1471:                             ;   in Loop: Header=BB3_1455 Depth=1
	s_cmp_eq_u32 s22, 0
	s_cbranch_scc1 .LBB3_1475
; %bb.1472:                             ;   in Loop: Header=BB3_1455 Depth=1
	v_mov_b32_e32 v16, 0
	s_mov_b64 s[18:19], 0
	v_mov_b32_e32 v17, 0
	s_mov_b64 s[20:21], 0
.LBB3_1473:                             ;   Parent Loop BB3_1455 Depth=1
                                        ; =>  This Inner Loop Header: Depth=2
	s_add_u32 s24, s4, s20
	s_addc_u32 s25, s5, s21
	global_load_ubyte v2, v3, s[24:25]
	s_add_u32 s20, s20, 1
	s_addc_u32 s21, s21, 0
	s_waitcnt vmcnt(0)
	v_and_b32_e32 v2, 0xffff, v2
	v_lshlrev_b64 v[6:7], s18, v[2:3]
	s_add_u32 s18, s18, 8
	s_addc_u32 s19, s19, 0
	v_or_b32_e32 v16, v6, v16
	s_cmp_lg_u32 s22, s20
	v_or_b32_e32 v17, v7, v17
	s_cbranch_scc1 .LBB3_1473
	s_branch .LBB3_1476
.LBB3_1474:                             ;   in Loop: Header=BB3_1455 Depth=1
                                        ; implicit-def: $sgpr15
	s_branch .LBB3_1477
.LBB3_1475:                             ;   in Loop: Header=BB3_1455 Depth=1
	v_mov_b32_e32 v16, 0
	v_mov_b32_e32 v17, 0
.LBB3_1476:                             ;   in Loop: Header=BB3_1455 Depth=1
	s_mov_b32 s15, 0
	s_cbranch_execnz .LBB3_1478
.LBB3_1477:                             ;   in Loop: Header=BB3_1455 Depth=1
	global_load_dwordx2 v[16:17], v3, s[4:5]
	s_add_i32 s15, s22, -8
	s_add_u32 s4, s4, 8
	s_addc_u32 s5, s5, 0
.LBB3_1478:                             ;   in Loop: Header=BB3_1455 Depth=1
	s_cmp_gt_u32 s15, 7
	s_cbranch_scc1 .LBB3_1482
; %bb.1479:                             ;   in Loop: Header=BB3_1455 Depth=1
	s_cmp_eq_u32 s15, 0
	s_cbranch_scc1 .LBB3_1483
; %bb.1480:                             ;   in Loop: Header=BB3_1455 Depth=1
	v_mov_b32_e32 v18, 0
	s_mov_b64 s[18:19], 0
	v_mov_b32_e32 v19, 0
	s_mov_b64 s[20:21], 0
.LBB3_1481:                             ;   Parent Loop BB3_1455 Depth=1
                                        ; =>  This Inner Loop Header: Depth=2
	s_add_u32 s22, s4, s20
	s_addc_u32 s23, s5, s21
	global_load_ubyte v2, v3, s[22:23]
	s_add_u32 s20, s20, 1
	s_addc_u32 s21, s21, 0
	s_waitcnt vmcnt(0)
	v_and_b32_e32 v2, 0xffff, v2
	v_lshlrev_b64 v[6:7], s18, v[2:3]
	s_add_u32 s18, s18, 8
	s_addc_u32 s19, s19, 0
	v_or_b32_e32 v18, v6, v18
	s_cmp_lg_u32 s15, s20
	v_or_b32_e32 v19, v7, v19
	s_cbranch_scc1 .LBB3_1481
	s_branch .LBB3_1484
.LBB3_1482:                             ;   in Loop: Header=BB3_1455 Depth=1
                                        ; implicit-def: $vgpr18_vgpr19
                                        ; implicit-def: $sgpr22
	s_branch .LBB3_1485
.LBB3_1483:                             ;   in Loop: Header=BB3_1455 Depth=1
	v_mov_b32_e32 v18, 0
	v_mov_b32_e32 v19, 0
.LBB3_1484:                             ;   in Loop: Header=BB3_1455 Depth=1
	s_mov_b32 s22, 0
	s_cbranch_execnz .LBB3_1486
.LBB3_1485:                             ;   in Loop: Header=BB3_1455 Depth=1
	global_load_dwordx2 v[18:19], v3, s[4:5]
	s_add_i32 s22, s15, -8
	s_add_u32 s4, s4, 8
	s_addc_u32 s5, s5, 0
.LBB3_1486:                             ;   in Loop: Header=BB3_1455 Depth=1
	s_cmp_gt_u32 s22, 7
	s_cbranch_scc1 .LBB3_1490
; %bb.1487:                             ;   in Loop: Header=BB3_1455 Depth=1
	s_cmp_eq_u32 s22, 0
	s_cbranch_scc1 .LBB3_1491
; %bb.1488:                             ;   in Loop: Header=BB3_1455 Depth=1
	v_mov_b32_e32 v20, 0
	s_mov_b64 s[18:19], 0
	v_mov_b32_e32 v21, 0
	s_mov_b64 s[20:21], 0
.LBB3_1489:                             ;   Parent Loop BB3_1455 Depth=1
                                        ; =>  This Inner Loop Header: Depth=2
	s_add_u32 s24, s4, s20
	s_addc_u32 s25, s5, s21
	global_load_ubyte v2, v3, s[24:25]
	s_add_u32 s20, s20, 1
	s_addc_u32 s21, s21, 0
	s_waitcnt vmcnt(0)
	v_and_b32_e32 v2, 0xffff, v2
	v_lshlrev_b64 v[6:7], s18, v[2:3]
	s_add_u32 s18, s18, 8
	s_addc_u32 s19, s19, 0
	v_or_b32_e32 v20, v6, v20
	s_cmp_lg_u32 s22, s20
	v_or_b32_e32 v21, v7, v21
	s_cbranch_scc1 .LBB3_1489
	s_branch .LBB3_1492
.LBB3_1490:                             ;   in Loop: Header=BB3_1455 Depth=1
                                        ; implicit-def: $sgpr15
	s_branch .LBB3_1493
.LBB3_1491:                             ;   in Loop: Header=BB3_1455 Depth=1
	v_mov_b32_e32 v20, 0
	v_mov_b32_e32 v21, 0
.LBB3_1492:                             ;   in Loop: Header=BB3_1455 Depth=1
	s_mov_b32 s15, 0
	s_cbranch_execnz .LBB3_1494
.LBB3_1493:                             ;   in Loop: Header=BB3_1455 Depth=1
	global_load_dwordx2 v[20:21], v3, s[4:5]
	s_add_i32 s15, s22, -8
	s_add_u32 s4, s4, 8
	s_addc_u32 s5, s5, 0
.LBB3_1494:                             ;   in Loop: Header=BB3_1455 Depth=1
	s_cmp_gt_u32 s15, 7
	s_cbranch_scc1 .LBB3_1498
; %bb.1495:                             ;   in Loop: Header=BB3_1455 Depth=1
	s_cmp_eq_u32 s15, 0
	s_cbranch_scc1 .LBB3_1499
; %bb.1496:                             ;   in Loop: Header=BB3_1455 Depth=1
	v_mov_b32_e32 v22, 0
	s_mov_b64 s[18:19], 0
	v_mov_b32_e32 v23, 0
	s_mov_b64 s[20:21], 0
.LBB3_1497:                             ;   Parent Loop BB3_1455 Depth=1
                                        ; =>  This Inner Loop Header: Depth=2
	s_add_u32 s22, s4, s20
	s_addc_u32 s23, s5, s21
	global_load_ubyte v2, v3, s[22:23]
	s_add_u32 s20, s20, 1
	s_addc_u32 s21, s21, 0
	s_waitcnt vmcnt(0)
	v_and_b32_e32 v2, 0xffff, v2
	v_lshlrev_b64 v[6:7], s18, v[2:3]
	s_add_u32 s18, s18, 8
	s_addc_u32 s19, s19, 0
	v_or_b32_e32 v22, v6, v22
	s_cmp_lg_u32 s15, s20
	v_or_b32_e32 v23, v7, v23
	s_cbranch_scc1 .LBB3_1497
	s_branch .LBB3_1500
.LBB3_1498:                             ;   in Loop: Header=BB3_1455 Depth=1
                                        ; implicit-def: $vgpr22_vgpr23
                                        ; implicit-def: $sgpr22
	s_branch .LBB3_1501
.LBB3_1499:                             ;   in Loop: Header=BB3_1455 Depth=1
	v_mov_b32_e32 v22, 0
	v_mov_b32_e32 v23, 0
.LBB3_1500:                             ;   in Loop: Header=BB3_1455 Depth=1
	s_mov_b32 s22, 0
	s_cbranch_execnz .LBB3_1502
.LBB3_1501:                             ;   in Loop: Header=BB3_1455 Depth=1
	global_load_dwordx2 v[22:23], v3, s[4:5]
	s_add_i32 s22, s15, -8
	s_add_u32 s4, s4, 8
	s_addc_u32 s5, s5, 0
.LBB3_1502:                             ;   in Loop: Header=BB3_1455 Depth=1
	s_cmp_gt_u32 s22, 7
	s_cbranch_scc1 .LBB3_1506
; %bb.1503:                             ;   in Loop: Header=BB3_1455 Depth=1
	s_cmp_eq_u32 s22, 0
	s_cbranch_scc1 .LBB3_1507
; %bb.1504:                             ;   in Loop: Header=BB3_1455 Depth=1
	v_mov_b32_e32 v24, 0
	s_mov_b64 s[18:19], 0
	v_mov_b32_e32 v25, 0
	s_mov_b64 s[20:21], s[4:5]
.LBB3_1505:                             ;   Parent Loop BB3_1455 Depth=1
                                        ; =>  This Inner Loop Header: Depth=2
	global_load_ubyte v2, v3, s[20:21]
	s_add_i32 s22, s22, -1
	s_waitcnt vmcnt(0)
	v_and_b32_e32 v2, 0xffff, v2
	v_lshlrev_b64 v[6:7], s18, v[2:3]
	s_add_u32 s18, s18, 8
	s_addc_u32 s19, s19, 0
	s_add_u32 s20, s20, 1
	s_addc_u32 s21, s21, 0
	v_or_b32_e32 v24, v6, v24
	s_cmp_lg_u32 s22, 0
	v_or_b32_e32 v25, v7, v25
	s_cbranch_scc1 .LBB3_1505
	s_branch .LBB3_1508
.LBB3_1506:                             ;   in Loop: Header=BB3_1455 Depth=1
	s_branch .LBB3_1509
.LBB3_1507:                             ;   in Loop: Header=BB3_1455 Depth=1
	v_mov_b32_e32 v24, 0
	v_mov_b32_e32 v25, 0
.LBB3_1508:                             ;   in Loop: Header=BB3_1455 Depth=1
	s_cbranch_execnz .LBB3_1510
.LBB3_1509:                             ;   in Loop: Header=BB3_1455 Depth=1
	global_load_dwordx2 v[24:25], v3, s[4:5]
.LBB3_1510:                             ;   in Loop: Header=BB3_1455 Depth=1
	v_readfirstlane_b32 s4, v51
	v_mov_b32_e32 v6, 0
	v_mov_b32_e32 v7, 0
	v_cmp_eq_u32_e64 s[4:5], s4, v51
	s_and_saveexec_b64 s[18:19], s[4:5]
	s_cbranch_execz .LBB3_1516
; %bb.1511:                             ;   in Loop: Header=BB3_1455 Depth=1
	global_load_dwordx2 v[28:29], v3, s[36:37] offset:24 glc
	s_waitcnt vmcnt(0)
	buffer_wbinvl1_vol
	global_load_dwordx2 v[6:7], v3, s[36:37] offset:40
	global_load_dwordx2 v[26:27], v3, s[36:37]
	s_waitcnt vmcnt(1)
	v_and_b32_e32 v2, v6, v28
	v_and_b32_e32 v6, v7, v29
	v_mul_lo_u32 v6, v6, 24
	v_mul_hi_u32 v7, v2, 24
	v_mul_lo_u32 v2, v2, 24
	v_add_u32_e32 v7, v7, v6
	s_waitcnt vmcnt(0)
	v_add_co_u32_e32 v6, vcc, v26, v2
	v_addc_co_u32_e32 v7, vcc, v27, v7, vcc
	global_load_dwordx2 v[26:27], v[6:7], off glc
	s_waitcnt vmcnt(0)
	global_atomic_cmpswap_x2 v[6:7], v3, v[26:29], s[36:37] offset:24 glc
	s_waitcnt vmcnt(0)
	buffer_wbinvl1_vol
	v_cmp_ne_u64_e32 vcc, v[6:7], v[28:29]
	s_and_saveexec_b64 s[20:21], vcc
	s_cbranch_execz .LBB3_1515
; %bb.1512:                             ;   in Loop: Header=BB3_1455 Depth=1
	s_mov_b64 s[22:23], 0
.LBB3_1513:                             ;   Parent Loop BB3_1455 Depth=1
                                        ; =>  This Inner Loop Header: Depth=2
	s_sleep 1
	global_load_dwordx2 v[26:27], v3, s[36:37] offset:40
	global_load_dwordx2 v[30:31], v3, s[36:37]
	v_mov_b32_e32 v29, v7
	v_mov_b32_e32 v28, v6
	s_waitcnt vmcnt(1)
	v_and_b32_e32 v2, v26, v28
	s_waitcnt vmcnt(0)
	v_mad_u64_u32 v[6:7], s[24:25], v2, 24, v[30:31]
	v_and_b32_e32 v26, v27, v29
	v_mov_b32_e32 v2, v7
	v_mad_u64_u32 v[26:27], s[24:25], v26, 24, v[2:3]
	v_mov_b32_e32 v7, v26
	global_load_dwordx2 v[26:27], v[6:7], off glc
	s_waitcnt vmcnt(0)
	global_atomic_cmpswap_x2 v[6:7], v3, v[26:29], s[36:37] offset:24 glc
	s_waitcnt vmcnt(0)
	buffer_wbinvl1_vol
	v_cmp_eq_u64_e32 vcc, v[6:7], v[28:29]
	s_or_b64 s[22:23], vcc, s[22:23]
	s_andn2_b64 exec, exec, s[22:23]
	s_cbranch_execnz .LBB3_1513
; %bb.1514:                             ;   in Loop: Header=BB3_1455 Depth=1
	s_or_b64 exec, exec, s[22:23]
.LBB3_1515:                             ;   in Loop: Header=BB3_1455 Depth=1
	s_or_b64 exec, exec, s[20:21]
.LBB3_1516:                             ;   in Loop: Header=BB3_1455 Depth=1
	s_or_b64 exec, exec, s[18:19]
	global_load_dwordx2 v[30:31], v3, s[36:37] offset:40
	global_load_dwordx4 v[26:29], v3, s[36:37]
	v_readfirstlane_b32 s18, v6
	v_readfirstlane_b32 s19, v7
	s_mov_b64 s[20:21], exec
	s_waitcnt vmcnt(1)
	v_readfirstlane_b32 s22, v30
	v_readfirstlane_b32 s23, v31
	s_and_b64 s[22:23], s[18:19], s[22:23]
	s_mul_i32 s15, s23, 24
	s_mul_hi_u32 s24, s22, 24
	s_mul_i32 s25, s22, 24
	s_add_i32 s15, s24, s15
	v_mov_b32_e32 v2, s15
	s_waitcnt vmcnt(0)
	v_add_co_u32_e32 v30, vcc, s25, v26
	v_addc_co_u32_e32 v31, vcc, v27, v2, vcc
	s_and_saveexec_b64 s[24:25], s[4:5]
	s_cbranch_execz .LBB3_1518
; %bb.1517:                             ;   in Loop: Header=BB3_1455 Depth=1
	v_mov_b32_e32 v6, s20
	v_mov_b32_e32 v7, s21
	global_store_dwordx4 v[30:31], v[6:9], off offset:8
.LBB3_1518:                             ;   in Loop: Header=BB3_1455 Depth=1
	s_or_b64 exec, exec, s[24:25]
	s_lshl_b64 s[20:21], s[22:23], 12
	v_mov_b32_e32 v2, s21
	v_add_co_u32_e32 v28, vcc, s20, v28
	v_addc_co_u32_e32 v29, vcc, v29, v2, vcc
	v_cmp_gt_u64_e64 vcc, s[10:11], 56
	v_or_b32_e32 v2, 2, v10
	s_lshl_b32 s15, s16, 2
	v_cndmask_b32_e32 v2, v2, v10, vcc
	s_add_i32 s15, s15, 28
	s_and_b32 s15, s15, 0x1e0
	v_and_b32_e32 v2, 0xffffff1f, v2
	v_or_b32_e32 v10, s15, v2
	v_readfirstlane_b32 s20, v28
	v_readfirstlane_b32 s21, v29
	s_nop 4
	global_store_dwordx4 v50, v[10:13], s[20:21]
	global_store_dwordx4 v50, v[14:17], s[20:21] offset:16
	global_store_dwordx4 v50, v[18:21], s[20:21] offset:32
	;; [unrolled: 1-line block ×3, first 2 shown]
	s_and_saveexec_b64 s[20:21], s[4:5]
	s_cbranch_execz .LBB3_1526
; %bb.1519:                             ;   in Loop: Header=BB3_1455 Depth=1
	global_load_dwordx2 v[14:15], v3, s[36:37] offset:32 glc
	global_load_dwordx2 v[6:7], v3, s[36:37] offset:40
	v_mov_b32_e32 v12, s18
	v_mov_b32_e32 v13, s19
	s_waitcnt vmcnt(0)
	v_readfirstlane_b32 s22, v6
	v_readfirstlane_b32 s23, v7
	s_and_b64 s[22:23], s[22:23], s[18:19]
	s_mul_i32 s15, s23, 24
	s_mul_hi_u32 s23, s22, 24
	s_mul_i32 s22, s22, 24
	s_add_i32 s15, s23, s15
	v_mov_b32_e32 v2, s15
	v_add_co_u32_e32 v6, vcc, s22, v26
	v_addc_co_u32_e32 v7, vcc, v27, v2, vcc
	global_store_dwordx2 v[6:7], v[14:15], off
	s_waitcnt vmcnt(0)
	global_atomic_cmpswap_x2 v[12:13], v3, v[12:15], s[36:37] offset:32 glc
	s_waitcnt vmcnt(0)
	v_cmp_ne_u64_e32 vcc, v[12:13], v[14:15]
	s_and_saveexec_b64 s[22:23], vcc
	s_cbranch_execz .LBB3_1522
; %bb.1520:                             ;   in Loop: Header=BB3_1455 Depth=1
	s_mov_b64 s[24:25], 0
.LBB3_1521:                             ;   Parent Loop BB3_1455 Depth=1
                                        ; =>  This Inner Loop Header: Depth=2
	s_sleep 1
	global_store_dwordx2 v[6:7], v[12:13], off
	v_mov_b32_e32 v10, s18
	v_mov_b32_e32 v11, s19
	s_waitcnt vmcnt(0)
	global_atomic_cmpswap_x2 v[10:11], v3, v[10:13], s[36:37] offset:32 glc
	s_waitcnt vmcnt(0)
	v_cmp_eq_u64_e32 vcc, v[10:11], v[12:13]
	v_mov_b32_e32 v13, v11
	s_or_b64 s[24:25], vcc, s[24:25]
	v_mov_b32_e32 v12, v10
	s_andn2_b64 exec, exec, s[24:25]
	s_cbranch_execnz .LBB3_1521
.LBB3_1522:                             ;   in Loop: Header=BB3_1455 Depth=1
	s_or_b64 exec, exec, s[22:23]
	global_load_dwordx2 v[6:7], v3, s[36:37] offset:16
	s_mov_b64 s[24:25], exec
	v_mbcnt_lo_u32_b32 v2, s24, 0
	v_mbcnt_hi_u32_b32 v2, s25, v2
	v_cmp_eq_u32_e32 vcc, 0, v2
	s_and_saveexec_b64 s[22:23], vcc
	s_cbranch_execz .LBB3_1524
; %bb.1523:                             ;   in Loop: Header=BB3_1455 Depth=1
	s_bcnt1_i32_b64 s15, s[24:25]
	v_mov_b32_e32 v2, s15
	s_waitcnt vmcnt(0)
	global_atomic_add_x2 v[6:7], v[2:3], off offset:8
.LBB3_1524:                             ;   in Loop: Header=BB3_1455 Depth=1
	s_or_b64 exec, exec, s[22:23]
	s_waitcnt vmcnt(0)
	global_load_dwordx2 v[10:11], v[6:7], off offset:16
	s_waitcnt vmcnt(0)
	v_cmp_eq_u64_e32 vcc, 0, v[10:11]
	s_cbranch_vccnz .LBB3_1526
; %bb.1525:                             ;   in Loop: Header=BB3_1455 Depth=1
	global_load_dword v2, v[6:7], off offset:24
	s_waitcnt vmcnt(0)
	global_store_dwordx2 v[10:11], v[2:3], off
	v_and_b32_e32 v2, 0xffffff, v2
	v_readfirstlane_b32 m0, v2
	s_sendmsg sendmsg(MSG_INTERRUPT)
.LBB3_1526:                             ;   in Loop: Header=BB3_1455 Depth=1
	s_or_b64 exec, exec, s[20:21]
	v_add_co_u32_e32 v6, vcc, v28, v50
	v_addc_co_u32_e32 v7, vcc, 0, v29, vcc
	s_branch .LBB3_1530
.LBB3_1527:                             ;   in Loop: Header=BB3_1530 Depth=2
	s_or_b64 exec, exec, s[20:21]
	v_readfirstlane_b32 s15, v2
	s_cmp_eq_u32 s15, 0
	s_cbranch_scc1 .LBB3_1529
; %bb.1528:                             ;   in Loop: Header=BB3_1530 Depth=2
	s_sleep 1
	s_cbranch_execnz .LBB3_1530
	s_branch .LBB3_1532
.LBB3_1529:                             ;   in Loop: Header=BB3_1455 Depth=1
	s_branch .LBB3_1532
.LBB3_1530:                             ;   Parent Loop BB3_1455 Depth=1
                                        ; =>  This Inner Loop Header: Depth=2
	v_mov_b32_e32 v2, 1
	s_and_saveexec_b64 s[20:21], s[4:5]
	s_cbranch_execz .LBB3_1527
; %bb.1531:                             ;   in Loop: Header=BB3_1530 Depth=2
	global_load_dword v2, v[30:31], off offset:20 glc
	s_waitcnt vmcnt(0)
	buffer_wbinvl1_vol
	v_and_b32_e32 v2, 1, v2
	s_branch .LBB3_1527
.LBB3_1532:                             ;   in Loop: Header=BB3_1455 Depth=1
	global_load_dwordx4 v[10:13], v[6:7], off
	s_and_saveexec_b64 s[20:21], s[4:5]
	s_cbranch_execz .LBB3_1454
; %bb.1533:                             ;   in Loop: Header=BB3_1455 Depth=1
	global_load_dwordx2 v[6:7], v3, s[36:37] offset:40
	global_load_dwordx2 v[16:17], v3, s[36:37] offset:24 glc
	global_load_dwordx2 v[18:19], v3, s[36:37]
	v_mov_b32_e32 v2, s19
	s_waitcnt vmcnt(2)
	v_add_co_u32_e32 v14, vcc, 1, v6
	v_addc_co_u32_e32 v15, vcc, 0, v7, vcc
	v_add_co_u32_e32 v12, vcc, s18, v14
	v_addc_co_u32_e32 v13, vcc, v15, v2, vcc
	v_cmp_eq_u64_e32 vcc, 0, v[12:13]
	v_cndmask_b32_e32 v13, v13, v15, vcc
	v_cndmask_b32_e32 v12, v12, v14, vcc
	v_and_b32_e32 v2, v13, v7
	v_and_b32_e32 v6, v12, v6
	v_mul_lo_u32 v2, v2, 24
	v_mul_hi_u32 v7, v6, 24
	v_mul_lo_u32 v6, v6, 24
	s_waitcnt vmcnt(1)
	v_mov_b32_e32 v14, v16
	v_mov_b32_e32 v15, v17
	v_add_u32_e32 v2, v7, v2
	s_waitcnt vmcnt(0)
	v_add_co_u32_e32 v6, vcc, v18, v6
	v_addc_co_u32_e32 v7, vcc, v19, v2, vcc
	global_store_dwordx2 v[6:7], v[16:17], off
	s_waitcnt vmcnt(0)
	global_atomic_cmpswap_x2 v[14:15], v3, v[12:15], s[36:37] offset:24 glc
	s_waitcnt vmcnt(0)
	v_cmp_ne_u64_e32 vcc, v[14:15], v[16:17]
	s_and_b64 exec, exec, vcc
	s_cbranch_execz .LBB3_1454
; %bb.1534:                             ;   in Loop: Header=BB3_1455 Depth=1
	s_mov_b64 s[4:5], 0
.LBB3_1535:                             ;   Parent Loop BB3_1455 Depth=1
                                        ; =>  This Inner Loop Header: Depth=2
	s_sleep 1
	global_store_dwordx2 v[6:7], v[14:15], off
	s_waitcnt vmcnt(0)
	global_atomic_cmpswap_x2 v[16:17], v3, v[12:15], s[36:37] offset:24 glc
	s_waitcnt vmcnt(0)
	v_cmp_eq_u64_e32 vcc, v[16:17], v[14:15]
	v_mov_b32_e32 v14, v16
	s_or_b64 s[4:5], vcc, s[4:5]
	v_mov_b32_e32 v15, v17
	s_andn2_b64 exec, exec, s[4:5]
	s_cbranch_execnz .LBB3_1535
	s_branch .LBB3_1454
.LBB3_1536:
	s_mov_b64 s[4:5], 0
	s_branch .LBB3_1538
.LBB3_1537:
	s_mov_b64 s[4:5], -1
.LBB3_1538:
	s_mov_b32 s40, s12
	s_mov_b32 s41, s13
	s_mov_b32 s42, s14
	s_and_b64 vcc, exec, s[4:5]
	s_cbranch_vccz .LBB3_1565
; %bb.1539:
	v_readfirstlane_b32 s4, v51
	s_waitcnt vmcnt(0)
	v_mov_b32_e32 v10, 0
	v_mov_b32_e32 v11, 0
	v_cmp_eq_u32_e64 s[4:5], s4, v51
	s_and_saveexec_b64 s[6:7], s[4:5]
	s_cbranch_execz .LBB3_1545
; %bb.1540:
	v_mov_b32_e32 v2, 0
	global_load_dwordx2 v[8:9], v2, s[36:37] offset:24 glc
	s_waitcnt vmcnt(0)
	buffer_wbinvl1_vol
	global_load_dwordx2 v[6:7], v2, s[36:37] offset:40
	global_load_dwordx2 v[10:11], v2, s[36:37]
	s_waitcnt vmcnt(1)
	v_and_b32_e32 v3, v6, v8
	v_and_b32_e32 v6, v7, v9
	v_mul_lo_u32 v6, v6, 24
	v_mul_hi_u32 v7, v3, 24
	v_mul_lo_u32 v3, v3, 24
	v_add_u32_e32 v7, v7, v6
	s_waitcnt vmcnt(0)
	v_add_co_u32_e32 v6, vcc, v10, v3
	v_addc_co_u32_e32 v7, vcc, v11, v7, vcc
	global_load_dwordx2 v[6:7], v[6:7], off glc
	s_waitcnt vmcnt(0)
	global_atomic_cmpswap_x2 v[10:11], v2, v[6:9], s[36:37] offset:24 glc
	s_waitcnt vmcnt(0)
	buffer_wbinvl1_vol
	v_cmp_ne_u64_e32 vcc, v[10:11], v[8:9]
	s_and_saveexec_b64 s[10:11], vcc
	s_cbranch_execz .LBB3_1544
; %bb.1541:
	s_mov_b64 s[12:13], 0
.LBB3_1542:                             ; =>This Inner Loop Header: Depth=1
	s_sleep 1
	global_load_dwordx2 v[6:7], v2, s[36:37] offset:40
	global_load_dwordx2 v[12:13], v2, s[36:37]
	v_mov_b32_e32 v8, v10
	v_mov_b32_e32 v9, v11
	s_waitcnt vmcnt(1)
	v_and_b32_e32 v3, v6, v8
	s_waitcnt vmcnt(0)
	v_mad_u64_u32 v[10:11], s[14:15], v3, 24, v[12:13]
	v_and_b32_e32 v6, v7, v9
	v_mov_b32_e32 v3, v11
	v_mad_u64_u32 v[6:7], s[14:15], v6, 24, v[3:4]
	v_mov_b32_e32 v11, v6
	global_load_dwordx2 v[6:7], v[10:11], off glc
	s_waitcnt vmcnt(0)
	global_atomic_cmpswap_x2 v[10:11], v2, v[6:9], s[36:37] offset:24 glc
	s_waitcnt vmcnt(0)
	buffer_wbinvl1_vol
	v_cmp_eq_u64_e32 vcc, v[10:11], v[8:9]
	s_or_b64 s[12:13], vcc, s[12:13]
	s_andn2_b64 exec, exec, s[12:13]
	s_cbranch_execnz .LBB3_1542
; %bb.1543:
	s_or_b64 exec, exec, s[12:13]
.LBB3_1544:
	s_or_b64 exec, exec, s[10:11]
.LBB3_1545:
	s_or_b64 exec, exec, s[6:7]
	v_mov_b32_e32 v2, 0
	global_load_dwordx2 v[12:13], v2, s[36:37] offset:40
	global_load_dwordx4 v[6:9], v2, s[36:37]
	v_readfirstlane_b32 s6, v10
	v_readfirstlane_b32 s7, v11
	s_mov_b64 s[10:11], exec
	s_waitcnt vmcnt(1)
	v_readfirstlane_b32 s12, v12
	v_readfirstlane_b32 s13, v13
	s_and_b64 s[12:13], s[6:7], s[12:13]
	s_mul_i32 s14, s13, 24
	s_mul_hi_u32 s15, s12, 24
	s_mul_i32 s16, s12, 24
	s_add_i32 s14, s15, s14
	v_mov_b32_e32 v3, s14
	s_waitcnt vmcnt(0)
	v_add_co_u32_e32 v10, vcc, s16, v6
	v_addc_co_u32_e32 v11, vcc, v7, v3, vcc
	s_and_saveexec_b64 s[14:15], s[4:5]
	s_cbranch_execz .LBB3_1547
; %bb.1546:
	v_mov_b32_e32 v13, s11
	v_mov_b32_e32 v12, s10
	;; [unrolled: 1-line block ×4, first 2 shown]
	global_store_dwordx4 v[10:11], v[12:15], off offset:8
.LBB3_1547:
	s_or_b64 exec, exec, s[14:15]
	s_lshl_b64 s[10:11], s[12:13], 12
	v_mov_b32_e32 v3, s11
	v_add_co_u32_e32 v8, vcc, s10, v8
	v_addc_co_u32_e32 v9, vcc, v9, v3, vcc
	s_movk_i32 s10, 0xff1d
	v_and_or_b32 v0, v0, s10, 34
	s_mov_b32 s12, 0
	v_mov_b32_e32 v3, v2
	v_readfirstlane_b32 s10, v8
	v_readfirstlane_b32 s11, v9
	s_mov_b32 s13, s12
	s_mov_b32 s14, s12
	s_mov_b32 s15, s12
	s_nop 1
	global_store_dwordx4 v50, v[0:3], s[10:11]
	s_nop 0
	v_mov_b32_e32 v0, s12
	v_mov_b32_e32 v1, s13
	;; [unrolled: 1-line block ×4, first 2 shown]
	global_store_dwordx4 v50, v[0:3], s[10:11] offset:16
	global_store_dwordx4 v50, v[0:3], s[10:11] offset:32
	;; [unrolled: 1-line block ×3, first 2 shown]
	s_and_saveexec_b64 s[10:11], s[4:5]
	s_cbranch_execz .LBB3_1555
; %bb.1548:
	v_mov_b32_e32 v8, 0
	global_load_dwordx2 v[14:15], v8, s[36:37] offset:32 glc
	global_load_dwordx2 v[0:1], v8, s[36:37] offset:40
	v_mov_b32_e32 v12, s6
	v_mov_b32_e32 v13, s7
	s_waitcnt vmcnt(0)
	v_readfirstlane_b32 s12, v0
	v_readfirstlane_b32 s13, v1
	s_and_b64 s[12:13], s[12:13], s[6:7]
	s_mul_i32 s13, s13, 24
	s_mul_hi_u32 s14, s12, 24
	s_mul_i32 s12, s12, 24
	s_add_i32 s13, s14, s13
	v_mov_b32_e32 v0, s13
	v_add_co_u32_e32 v6, vcc, s12, v6
	v_addc_co_u32_e32 v7, vcc, v7, v0, vcc
	global_store_dwordx2 v[6:7], v[14:15], off
	s_waitcnt vmcnt(0)
	global_atomic_cmpswap_x2 v[2:3], v8, v[12:15], s[36:37] offset:32 glc
	s_waitcnt vmcnt(0)
	v_cmp_ne_u64_e32 vcc, v[2:3], v[14:15]
	s_and_saveexec_b64 s[12:13], vcc
	s_cbranch_execz .LBB3_1551
; %bb.1549:
	s_mov_b64 s[14:15], 0
.LBB3_1550:                             ; =>This Inner Loop Header: Depth=1
	s_sleep 1
	global_store_dwordx2 v[6:7], v[2:3], off
	v_mov_b32_e32 v0, s6
	v_mov_b32_e32 v1, s7
	s_waitcnt vmcnt(0)
	global_atomic_cmpswap_x2 v[0:1], v8, v[0:3], s[36:37] offset:32 glc
	s_waitcnt vmcnt(0)
	v_cmp_eq_u64_e32 vcc, v[0:1], v[2:3]
	v_mov_b32_e32 v3, v1
	s_or_b64 s[14:15], vcc, s[14:15]
	v_mov_b32_e32 v2, v0
	s_andn2_b64 exec, exec, s[14:15]
	s_cbranch_execnz .LBB3_1550
.LBB3_1551:
	s_or_b64 exec, exec, s[12:13]
	v_mov_b32_e32 v3, 0
	global_load_dwordx2 v[0:1], v3, s[36:37] offset:16
	s_mov_b64 s[12:13], exec
	v_mbcnt_lo_u32_b32 v2, s12, 0
	v_mbcnt_hi_u32_b32 v2, s13, v2
	v_cmp_eq_u32_e32 vcc, 0, v2
	s_and_saveexec_b64 s[14:15], vcc
	s_cbranch_execz .LBB3_1553
; %bb.1552:
	s_bcnt1_i32_b64 s12, s[12:13]
	v_mov_b32_e32 v2, s12
	s_waitcnt vmcnt(0)
	global_atomic_add_x2 v[0:1], v[2:3], off offset:8
.LBB3_1553:
	s_or_b64 exec, exec, s[14:15]
	s_waitcnt vmcnt(0)
	global_load_dwordx2 v[2:3], v[0:1], off offset:16
	s_waitcnt vmcnt(0)
	v_cmp_eq_u64_e32 vcc, 0, v[2:3]
	s_cbranch_vccnz .LBB3_1555
; %bb.1554:
	global_load_dword v0, v[0:1], off offset:24
	v_mov_b32_e32 v1, 0
	s_waitcnt vmcnt(0)
	global_store_dwordx2 v[2:3], v[0:1], off
	v_and_b32_e32 v0, 0xffffff, v0
	v_readfirstlane_b32 m0, v0
	s_sendmsg sendmsg(MSG_INTERRUPT)
.LBB3_1555:
	s_or_b64 exec, exec, s[10:11]
	s_branch .LBB3_1559
.LBB3_1556:                             ;   in Loop: Header=BB3_1559 Depth=1
	s_or_b64 exec, exec, s[10:11]
	v_readfirstlane_b32 s10, v0
	s_cmp_eq_u32 s10, 0
	s_cbranch_scc1 .LBB3_1558
; %bb.1557:                             ;   in Loop: Header=BB3_1559 Depth=1
	s_sleep 1
	s_cbranch_execnz .LBB3_1559
	s_branch .LBB3_1561
.LBB3_1558:
	s_branch .LBB3_1561
.LBB3_1559:                             ; =>This Inner Loop Header: Depth=1
	v_mov_b32_e32 v0, 1
	s_and_saveexec_b64 s[10:11], s[4:5]
	s_cbranch_execz .LBB3_1556
; %bb.1560:                             ;   in Loop: Header=BB3_1559 Depth=1
	global_load_dword v0, v[10:11], off offset:20 glc
	s_waitcnt vmcnt(0)
	buffer_wbinvl1_vol
	v_and_b32_e32 v0, 1, v0
	s_branch .LBB3_1556
.LBB3_1561:
	s_and_saveexec_b64 s[10:11], s[4:5]
	s_cbranch_execz .LBB3_1564
; %bb.1562:
	v_mov_b32_e32 v8, 0
	global_load_dwordx2 v[2:3], v8, s[36:37] offset:40
	global_load_dwordx2 v[9:10], v8, s[36:37] offset:24 glc
	global_load_dwordx2 v[6:7], v8, s[36:37]
	v_mov_b32_e32 v1, s7
	s_mov_b64 s[4:5], 0
	s_waitcnt vmcnt(2)
	v_add_co_u32_e32 v11, vcc, 1, v2
	v_addc_co_u32_e32 v12, vcc, 0, v3, vcc
	v_add_co_u32_e32 v0, vcc, s6, v11
	v_addc_co_u32_e32 v1, vcc, v12, v1, vcc
	v_cmp_eq_u64_e32 vcc, 0, v[0:1]
	v_cndmask_b32_e32 v1, v1, v12, vcc
	v_cndmask_b32_e32 v0, v0, v11, vcc
	v_and_b32_e32 v3, v1, v3
	v_and_b32_e32 v2, v0, v2
	v_mul_lo_u32 v3, v3, 24
	v_mul_hi_u32 v11, v2, 24
	v_mul_lo_u32 v12, v2, 24
	s_waitcnt vmcnt(1)
	v_mov_b32_e32 v2, v9
	v_add_u32_e32 v3, v11, v3
	s_waitcnt vmcnt(0)
	v_add_co_u32_e32 v6, vcc, v6, v12
	v_addc_co_u32_e32 v7, vcc, v7, v3, vcc
	global_store_dwordx2 v[6:7], v[9:10], off
	v_mov_b32_e32 v3, v10
	s_waitcnt vmcnt(0)
	global_atomic_cmpswap_x2 v[2:3], v8, v[0:3], s[36:37] offset:24 glc
	s_waitcnt vmcnt(0)
	v_cmp_ne_u64_e32 vcc, v[2:3], v[9:10]
	s_and_b64 exec, exec, vcc
	s_cbranch_execz .LBB3_1564
.LBB3_1563:                             ; =>This Inner Loop Header: Depth=1
	s_sleep 1
	global_store_dwordx2 v[6:7], v[2:3], off
	s_waitcnt vmcnt(0)
	global_atomic_cmpswap_x2 v[9:10], v8, v[0:3], s[36:37] offset:24 glc
	s_waitcnt vmcnt(0)
	v_cmp_eq_u64_e32 vcc, v[9:10], v[2:3]
	v_mov_b32_e32 v2, v9
	s_or_b64 s[4:5], vcc, s[4:5]
	v_mov_b32_e32 v3, v10
	s_andn2_b64 exec, exec, s[4:5]
	s_cbranch_execnz .LBB3_1563
.LBB3_1564:
	s_or_b64 exec, exec, s[10:11]
.LBB3_1565:
	s_waitcnt vmcnt(0)
	v_mov_b32_e32 v0, v4
	v_mov_b32_e32 v1, v5
	s_getpc_b64 s[44:45]
	s_add_u32 s44, s44, _ZNK8migraphx13basic_printerIZNS_4coutEvEUlT_E_ElsEPKc@rel32@lo+4
	s_addc_u32 s45, s45, _ZNK8migraphx13basic_printerIZNS_4coutEvEUlT_E_ElsEPKc@rel32@hi+12
	s_mov_b64 s[26:27], s[8:9]
	s_swappc_b64 s[30:31], s[44:45]
	s_getpc_b64 s[4:5]
	s_add_u32 s4, s4, .str.5@rel32@lo+4
	s_addc_u32 s5, s5, .str.5@rel32@hi+12
	s_mov_b64 s[8:9], s[26:27]
	v_mov_b32_e32 v0, s4
	v_mov_b32_e32 v1, s5
	s_swappc_b64 s[30:31], s[44:45]
	flat_load_ubyte v0, v[38:39]
	s_mov_b64 s[8:9], s[26:27]
	s_getpc_b64 s[4:5]
	s_add_u32 s4, s4, _ZN8migraphx4testlsIKNS_13basic_printerIZNS_4coutEvEUlT_E_EEEERS3_S7_RKNS0_14lhs_expressionIbNS0_3nopEEE@rel32@lo+4
	s_addc_u32 s5, s5, _ZN8migraphx4testlsIKNS_13basic_printerIZNS_4coutEvEUlT_E_EEEERS3_S7_RKNS0_14lhs_expressionIbNS0_3nopEEE@rel32@hi+12
	s_swappc_b64 s[30:31], s[4:5]
	s_getpc_b64 s[4:5]
	s_add_u32 s4, s4, .str.6@rel32@lo+4
	s_addc_u32 s5, s5, .str.6@rel32@hi+12
	s_mov_b64 s[8:9], s[26:27]
	v_mov_b32_e32 v0, s4
	v_mov_b32_e32 v1, s5
	s_mov_b64 s[24:25], s[26:27]
	s_swappc_b64 s[30:31], s[44:45]
	v_readfirstlane_b32 s4, v51
	v_mov_b32_e32 v5, 0
	v_mov_b32_e32 v6, 0
	v_cmp_eq_u32_e64 s[4:5], s4, v51
	s_and_saveexec_b64 s[6:7], s[4:5]
	s_mov_b32 s14, s42
	s_mov_b32 s13, s41
	;; [unrolled: 1-line block ×3, first 2 shown]
	s_cbranch_execz .LBB3_1571
; %bb.1566:
	v_mov_b32_e32 v0, 0
	global_load_dwordx2 v[3:4], v0, s[36:37] offset:24 glc
	s_waitcnt vmcnt(0)
	buffer_wbinvl1_vol
	global_load_dwordx2 v[1:2], v0, s[36:37] offset:40
	global_load_dwordx2 v[5:6], v0, s[36:37]
	s_waitcnt vmcnt(1)
	v_and_b32_e32 v1, v1, v3
	v_and_b32_e32 v2, v2, v4
	v_mul_lo_u32 v2, v2, 24
	v_mul_hi_u32 v7, v1, 24
	v_mul_lo_u32 v1, v1, 24
	v_add_u32_e32 v2, v7, v2
	s_waitcnt vmcnt(0)
	v_add_co_u32_e32 v1, vcc, v5, v1
	v_addc_co_u32_e32 v2, vcc, v6, v2, vcc
	global_load_dwordx2 v[1:2], v[1:2], off glc
	s_waitcnt vmcnt(0)
	global_atomic_cmpswap_x2 v[5:6], v0, v[1:4], s[36:37] offset:24 glc
	s_waitcnt vmcnt(0)
	buffer_wbinvl1_vol
	v_cmp_ne_u64_e32 vcc, v[5:6], v[3:4]
	s_and_saveexec_b64 s[8:9], vcc
	s_cbranch_execz .LBB3_1570
; %bb.1567:
	s_mov_b64 s[10:11], 0
.LBB3_1568:                             ; =>This Inner Loop Header: Depth=1
	s_sleep 1
	global_load_dwordx2 v[1:2], v0, s[36:37] offset:40
	global_load_dwordx2 v[7:8], v0, s[36:37]
	v_mov_b32_e32 v3, v5
	v_mov_b32_e32 v4, v6
	s_waitcnt vmcnt(1)
	v_and_b32_e32 v1, v1, v3
	s_waitcnt vmcnt(0)
	v_mad_u64_u32 v[5:6], s[16:17], v1, 24, v[7:8]
	v_and_b32_e32 v2, v2, v4
	v_mov_b32_e32 v1, v6
	v_mad_u64_u32 v[1:2], s[16:17], v2, 24, v[1:2]
	v_mov_b32_e32 v6, v1
	global_load_dwordx2 v[1:2], v[5:6], off glc
	s_waitcnt vmcnt(0)
	global_atomic_cmpswap_x2 v[5:6], v0, v[1:4], s[36:37] offset:24 glc
	s_waitcnt vmcnt(0)
	buffer_wbinvl1_vol
	v_cmp_eq_u64_e32 vcc, v[5:6], v[3:4]
	s_or_b64 s[10:11], vcc, s[10:11]
	s_andn2_b64 exec, exec, s[10:11]
	s_cbranch_execnz .LBB3_1568
; %bb.1569:
	s_or_b64 exec, exec, s[10:11]
.LBB3_1570:
	s_or_b64 exec, exec, s[8:9]
.LBB3_1571:
	s_or_b64 exec, exec, s[6:7]
	v_mov_b32_e32 v4, 0
	global_load_dwordx2 v[7:8], v4, s[36:37] offset:40
	global_load_dwordx4 v[0:3], v4, s[36:37]
	v_readfirstlane_b32 s6, v5
	v_readfirstlane_b32 s7, v6
	s_mov_b64 s[8:9], exec
	s_waitcnt vmcnt(1)
	v_readfirstlane_b32 s10, v7
	v_readfirstlane_b32 s11, v8
	s_and_b64 s[10:11], s[6:7], s[10:11]
	s_mul_i32 s15, s11, 24
	s_mul_hi_u32 s16, s10, 24
	s_mul_i32 s17, s10, 24
	s_add_i32 s15, s16, s15
	v_mov_b32_e32 v5, s15
	s_waitcnt vmcnt(0)
	v_add_co_u32_e32 v7, vcc, s17, v0
	v_addc_co_u32_e32 v8, vcc, v1, v5, vcc
	s_and_saveexec_b64 s[16:17], s[4:5]
	s_cbranch_execz .LBB3_1573
; %bb.1572:
	v_mov_b32_e32 v10, s9
	v_mov_b32_e32 v9, s8
	;; [unrolled: 1-line block ×4, first 2 shown]
	global_store_dwordx4 v[7:8], v[9:12], off offset:8
.LBB3_1573:
	s_or_b64 exec, exec, s[16:17]
	s_lshl_b64 s[8:9], s[10:11], 12
	v_mov_b32_e32 v5, s9
	v_add_co_u32_e32 v2, vcc, s8, v2
	v_addc_co_u32_e32 v11, vcc, v3, v5, vcc
	s_mov_b32 s8, 0
	v_mov_b32_e32 v3, 33
	v_mov_b32_e32 v5, v4
	;; [unrolled: 1-line block ×3, first 2 shown]
	v_readfirstlane_b32 s16, v2
	v_readfirstlane_b32 s17, v11
	v_add_co_u32_e32 v9, vcc, v2, v50
	s_mov_b32 s9, s8
	s_mov_b32 s10, s8
	;; [unrolled: 1-line block ×3, first 2 shown]
	s_nop 0
	global_store_dwordx4 v50, v[3:6], s[16:17]
	v_mov_b32_e32 v2, s8
	v_addc_co_u32_e32 v10, vcc, 0, v11, vcc
	v_mov_b32_e32 v3, s9
	v_mov_b32_e32 v4, s10
	;; [unrolled: 1-line block ×3, first 2 shown]
	global_store_dwordx4 v50, v[2:5], s[16:17] offset:16
	global_store_dwordx4 v50, v[2:5], s[16:17] offset:32
	;; [unrolled: 1-line block ×3, first 2 shown]
	s_and_saveexec_b64 s[10:11], s[4:5]
	s_mov_b64 s[8:9], s[24:25]
	s_cbranch_execz .LBB3_1581
; %bb.1574:
	v_mov_b32_e32 v6, 0
	global_load_dwordx2 v[13:14], v6, s[36:37] offset:32 glc
	global_load_dwordx2 v[2:3], v6, s[36:37] offset:40
	v_mov_b32_e32 v11, s6
	v_mov_b32_e32 v12, s7
	s_waitcnt vmcnt(0)
	v_readfirstlane_b32 s16, v2
	v_readfirstlane_b32 s17, v3
	s_and_b64 s[16:17], s[16:17], s[6:7]
	s_mul_i32 s15, s17, 24
	s_mul_hi_u32 s17, s16, 24
	s_mul_i32 s16, s16, 24
	s_add_i32 s15, s17, s15
	v_mov_b32_e32 v2, s15
	v_add_co_u32_e32 v4, vcc, s16, v0
	v_addc_co_u32_e32 v5, vcc, v1, v2, vcc
	global_store_dwordx2 v[4:5], v[13:14], off
	s_waitcnt vmcnt(0)
	global_atomic_cmpswap_x2 v[2:3], v6, v[11:14], s[36:37] offset:32 glc
	s_waitcnt vmcnt(0)
	v_cmp_ne_u64_e32 vcc, v[2:3], v[13:14]
	s_and_saveexec_b64 s[16:17], vcc
	s_cbranch_execz .LBB3_1577
; %bb.1575:
	s_mov_b64 s[18:19], 0
.LBB3_1576:                             ; =>This Inner Loop Header: Depth=1
	s_sleep 1
	global_store_dwordx2 v[4:5], v[2:3], off
	v_mov_b32_e32 v0, s6
	v_mov_b32_e32 v1, s7
	s_waitcnt vmcnt(0)
	global_atomic_cmpswap_x2 v[0:1], v6, v[0:3], s[36:37] offset:32 glc
	s_waitcnt vmcnt(0)
	v_cmp_eq_u64_e32 vcc, v[0:1], v[2:3]
	v_mov_b32_e32 v3, v1
	s_or_b64 s[18:19], vcc, s[18:19]
	v_mov_b32_e32 v2, v0
	s_andn2_b64 exec, exec, s[18:19]
	s_cbranch_execnz .LBB3_1576
.LBB3_1577:
	s_or_b64 exec, exec, s[16:17]
	v_mov_b32_e32 v3, 0
	global_load_dwordx2 v[0:1], v3, s[36:37] offset:16
	s_mov_b64 s[16:17], exec
	v_mbcnt_lo_u32_b32 v2, s16, 0
	v_mbcnt_hi_u32_b32 v2, s17, v2
	v_cmp_eq_u32_e32 vcc, 0, v2
	s_and_saveexec_b64 s[18:19], vcc
	s_cbranch_execz .LBB3_1579
; %bb.1578:
	s_bcnt1_i32_b64 s15, s[16:17]
	v_mov_b32_e32 v2, s15
	s_waitcnt vmcnt(0)
	global_atomic_add_x2 v[0:1], v[2:3], off offset:8
.LBB3_1579:
	s_or_b64 exec, exec, s[18:19]
	s_waitcnt vmcnt(0)
	global_load_dwordx2 v[2:3], v[0:1], off offset:16
	s_waitcnt vmcnt(0)
	v_cmp_eq_u64_e32 vcc, 0, v[2:3]
	s_cbranch_vccnz .LBB3_1581
; %bb.1580:
	global_load_dword v0, v[0:1], off offset:24
	v_mov_b32_e32 v1, 0
	s_waitcnt vmcnt(0)
	global_store_dwordx2 v[2:3], v[0:1], off
	v_and_b32_e32 v0, 0xffffff, v0
	v_readfirstlane_b32 m0, v0
	s_sendmsg sendmsg(MSG_INTERRUPT)
.LBB3_1581:
	s_or_b64 exec, exec, s[10:11]
	s_branch .LBB3_1585
.LBB3_1582:                             ;   in Loop: Header=BB3_1585 Depth=1
	s_or_b64 exec, exec, s[10:11]
	v_readfirstlane_b32 s10, v0
	s_cmp_eq_u32 s10, 0
	s_cbranch_scc1 .LBB3_1584
; %bb.1583:                             ;   in Loop: Header=BB3_1585 Depth=1
	s_sleep 1
	s_cbranch_execnz .LBB3_1585
	s_branch .LBB3_1587
.LBB3_1584:
	s_branch .LBB3_1587
.LBB3_1585:                             ; =>This Inner Loop Header: Depth=1
	v_mov_b32_e32 v0, 1
	s_and_saveexec_b64 s[10:11], s[4:5]
	s_cbranch_execz .LBB3_1582
; %bb.1586:                             ;   in Loop: Header=BB3_1585 Depth=1
	global_load_dword v0, v[7:8], off offset:20 glc
	s_waitcnt vmcnt(0)
	buffer_wbinvl1_vol
	v_and_b32_e32 v0, 1, v0
	s_branch .LBB3_1582
.LBB3_1587:
	global_load_dwordx2 v[0:1], v[9:10], off
	s_and_saveexec_b64 s[10:11], s[4:5]
	s_cbranch_execz .LBB3_1590
; %bb.1588:
	v_mov_b32_e32 v8, 0
	global_load_dwordx2 v[4:5], v8, s[36:37] offset:40
	global_load_dwordx2 v[9:10], v8, s[36:37] offset:24 glc
	global_load_dwordx2 v[6:7], v8, s[36:37]
	v_mov_b32_e32 v3, s7
	s_mov_b64 s[4:5], 0
	s_waitcnt vmcnt(2)
	v_add_co_u32_e32 v11, vcc, 1, v4
	v_addc_co_u32_e32 v12, vcc, 0, v5, vcc
	v_add_co_u32_e32 v2, vcc, s6, v11
	v_addc_co_u32_e32 v3, vcc, v12, v3, vcc
	v_cmp_eq_u64_e32 vcc, 0, v[2:3]
	v_cndmask_b32_e32 v3, v3, v12, vcc
	v_cndmask_b32_e32 v2, v2, v11, vcc
	v_and_b32_e32 v5, v3, v5
	v_and_b32_e32 v4, v2, v4
	v_mul_lo_u32 v5, v5, 24
	v_mul_hi_u32 v11, v4, 24
	v_mul_lo_u32 v12, v4, 24
	s_waitcnt vmcnt(1)
	v_mov_b32_e32 v4, v9
	v_add_u32_e32 v5, v11, v5
	s_waitcnt vmcnt(0)
	v_add_co_u32_e32 v6, vcc, v6, v12
	v_addc_co_u32_e32 v7, vcc, v7, v5, vcc
	global_store_dwordx2 v[6:7], v[9:10], off
	v_mov_b32_e32 v5, v10
	s_waitcnt vmcnt(0)
	global_atomic_cmpswap_x2 v[4:5], v8, v[2:5], s[36:37] offset:24 glc
	s_waitcnt vmcnt(0)
	v_cmp_ne_u64_e32 vcc, v[4:5], v[9:10]
	s_and_b64 exec, exec, vcc
	s_cbranch_execz .LBB3_1590
.LBB3_1589:                             ; =>This Inner Loop Header: Depth=1
	s_sleep 1
	global_store_dwordx2 v[6:7], v[4:5], off
	s_waitcnt vmcnt(0)
	global_atomic_cmpswap_x2 v[9:10], v8, v[2:5], s[36:37] offset:24 glc
	s_waitcnt vmcnt(0)
	v_cmp_eq_u64_e32 vcc, v[9:10], v[4:5]
	v_mov_b32_e32 v4, v9
	s_or_b64 s[4:5], vcc, s[4:5]
	v_mov_b32_e32 v5, v10
	s_andn2_b64 exec, exec, s[4:5]
	s_cbranch_execnz .LBB3_1589
.LBB3_1590:
	s_or_b64 exec, exec, s[10:11]
	s_and_b64 vcc, exec, s[38:39]
	s_cbranch_vccz .LBB3_1675
; %bb.1591:
	s_waitcnt vmcnt(0)
	v_and_b32_e32 v31, 2, v0
	v_mov_b32_e32 v28, 0
	v_and_b32_e32 v2, -3, v0
	v_mov_b32_e32 v3, v1
	s_mov_b64 s[10:11], 3
	v_mov_b32_e32 v6, 2
	v_mov_b32_e32 v7, 1
	s_getpc_b64 s[6:7]
	s_add_u32 s6, s6, .str.8@rel32@lo+4
	s_addc_u32 s7, s7, .str.8@rel32@hi+12
	s_branch .LBB3_1593
.LBB3_1592:                             ;   in Loop: Header=BB3_1593 Depth=1
	s_or_b64 exec, exec, s[20:21]
	s_sub_u32 s10, s10, s16
	s_subb_u32 s11, s11, s17
	s_add_u32 s6, s6, s16
	s_addc_u32 s7, s7, s17
	s_cmp_lg_u64 s[10:11], 0
	s_cbranch_scc0 .LBB3_1674
.LBB3_1593:                             ; =>This Loop Header: Depth=1
                                        ;     Child Loop BB3_1596 Depth 2
                                        ;     Child Loop BB3_1603 Depth 2
	;; [unrolled: 1-line block ×11, first 2 shown]
	v_cmp_lt_u64_e64 s[4:5], s[10:11], 56
	v_cmp_gt_u64_e64 s[18:19], s[10:11], 7
	s_and_b64 s[4:5], s[4:5], exec
	s_cselect_b32 s17, s11, 0
	s_cselect_b32 s16, s10, 56
	s_and_b64 vcc, exec, s[18:19]
	s_cbranch_vccnz .LBB3_1598
; %bb.1594:                             ;   in Loop: Header=BB3_1593 Depth=1
	v_mov_b32_e32 v10, 0
	s_cmp_eq_u64 s[10:11], 0
	v_mov_b32_e32 v11, 0
	s_mov_b64 s[4:5], 0
	s_cbranch_scc1 .LBB3_1597
; %bb.1595:                             ;   in Loop: Header=BB3_1593 Depth=1
	v_mov_b32_e32 v10, 0
	s_lshl_b64 s[18:19], s[16:17], 3
	s_mov_b64 s[20:21], 0
	v_mov_b32_e32 v11, 0
	s_mov_b64 s[22:23], s[6:7]
.LBB3_1596:                             ;   Parent Loop BB3_1593 Depth=1
                                        ; =>  This Inner Loop Header: Depth=2
	global_load_ubyte v4, v28, s[22:23]
	s_waitcnt vmcnt(0)
	v_and_b32_e32 v27, 0xffff, v4
	v_lshlrev_b64 v[4:5], s20, v[27:28]
	s_add_u32 s20, s20, 8
	s_addc_u32 s21, s21, 0
	s_add_u32 s22, s22, 1
	s_addc_u32 s23, s23, 0
	v_or_b32_e32 v10, v4, v10
	s_cmp_lg_u32 s18, s20
	v_or_b32_e32 v11, v5, v11
	s_cbranch_scc1 .LBB3_1596
.LBB3_1597:                             ;   in Loop: Header=BB3_1593 Depth=1
	s_mov_b32 s15, 0
	s_andn2_b64 vcc, exec, s[4:5]
	s_mov_b64 s[4:5], s[6:7]
	s_cbranch_vccz .LBB3_1599
	s_branch .LBB3_1600
.LBB3_1598:                             ;   in Loop: Header=BB3_1593 Depth=1
                                        ; implicit-def: $vgpr10_vgpr11
                                        ; implicit-def: $sgpr15
	s_mov_b64 s[4:5], s[6:7]
.LBB3_1599:                             ;   in Loop: Header=BB3_1593 Depth=1
	global_load_dwordx2 v[10:11], v28, s[6:7]
	s_add_i32 s15, s16, -8
	s_add_u32 s4, s6, 8
	s_addc_u32 s5, s7, 0
.LBB3_1600:                             ;   in Loop: Header=BB3_1593 Depth=1
	s_cmp_gt_u32 s15, 7
	s_cbranch_scc1 .LBB3_1604
; %bb.1601:                             ;   in Loop: Header=BB3_1593 Depth=1
	s_cmp_eq_u32 s15, 0
	s_cbranch_scc1 .LBB3_1605
; %bb.1602:                             ;   in Loop: Header=BB3_1593 Depth=1
	v_mov_b32_e32 v12, 0
	s_mov_b64 s[18:19], 0
	v_mov_b32_e32 v13, 0
	s_mov_b64 s[20:21], 0
.LBB3_1603:                             ;   Parent Loop BB3_1593 Depth=1
                                        ; =>  This Inner Loop Header: Depth=2
	s_add_u32 s22, s4, s20
	s_addc_u32 s23, s5, s21
	global_load_ubyte v4, v28, s[22:23]
	s_add_u32 s20, s20, 1
	s_addc_u32 s21, s21, 0
	s_waitcnt vmcnt(0)
	v_and_b32_e32 v27, 0xffff, v4
	v_lshlrev_b64 v[4:5], s18, v[27:28]
	s_add_u32 s18, s18, 8
	s_addc_u32 s19, s19, 0
	v_or_b32_e32 v12, v4, v12
	s_cmp_lg_u32 s15, s20
	v_or_b32_e32 v13, v5, v13
	s_cbranch_scc1 .LBB3_1603
	s_branch .LBB3_1606
.LBB3_1604:                             ;   in Loop: Header=BB3_1593 Depth=1
                                        ; implicit-def: $vgpr12_vgpr13
                                        ; implicit-def: $sgpr22
	s_branch .LBB3_1607
.LBB3_1605:                             ;   in Loop: Header=BB3_1593 Depth=1
	v_mov_b32_e32 v12, 0
	v_mov_b32_e32 v13, 0
.LBB3_1606:                             ;   in Loop: Header=BB3_1593 Depth=1
	s_mov_b32 s22, 0
	s_cbranch_execnz .LBB3_1608
.LBB3_1607:                             ;   in Loop: Header=BB3_1593 Depth=1
	global_load_dwordx2 v[12:13], v28, s[4:5]
	s_add_i32 s22, s15, -8
	s_add_u32 s4, s4, 8
	s_addc_u32 s5, s5, 0
.LBB3_1608:                             ;   in Loop: Header=BB3_1593 Depth=1
	s_cmp_gt_u32 s22, 7
	s_cbranch_scc1 .LBB3_1612
; %bb.1609:                             ;   in Loop: Header=BB3_1593 Depth=1
	s_cmp_eq_u32 s22, 0
	s_cbranch_scc1 .LBB3_1613
; %bb.1610:                             ;   in Loop: Header=BB3_1593 Depth=1
	v_mov_b32_e32 v14, 0
	s_mov_b64 s[18:19], 0
	v_mov_b32_e32 v15, 0
	s_mov_b64 s[20:21], 0
.LBB3_1611:                             ;   Parent Loop BB3_1593 Depth=1
                                        ; =>  This Inner Loop Header: Depth=2
	s_add_u32 s24, s4, s20
	s_addc_u32 s25, s5, s21
	global_load_ubyte v4, v28, s[24:25]
	s_add_u32 s20, s20, 1
	s_addc_u32 s21, s21, 0
	s_waitcnt vmcnt(0)
	v_and_b32_e32 v27, 0xffff, v4
	v_lshlrev_b64 v[4:5], s18, v[27:28]
	s_add_u32 s18, s18, 8
	s_addc_u32 s19, s19, 0
	v_or_b32_e32 v14, v4, v14
	s_cmp_lg_u32 s22, s20
	v_or_b32_e32 v15, v5, v15
	s_cbranch_scc1 .LBB3_1611
	s_branch .LBB3_1614
.LBB3_1612:                             ;   in Loop: Header=BB3_1593 Depth=1
                                        ; implicit-def: $sgpr15
	s_branch .LBB3_1615
.LBB3_1613:                             ;   in Loop: Header=BB3_1593 Depth=1
	v_mov_b32_e32 v14, 0
	v_mov_b32_e32 v15, 0
.LBB3_1614:                             ;   in Loop: Header=BB3_1593 Depth=1
	s_mov_b32 s15, 0
	s_cbranch_execnz .LBB3_1616
.LBB3_1615:                             ;   in Loop: Header=BB3_1593 Depth=1
	global_load_dwordx2 v[14:15], v28, s[4:5]
	s_add_i32 s15, s22, -8
	s_add_u32 s4, s4, 8
	s_addc_u32 s5, s5, 0
.LBB3_1616:                             ;   in Loop: Header=BB3_1593 Depth=1
	s_cmp_gt_u32 s15, 7
	s_cbranch_scc1 .LBB3_1620
; %bb.1617:                             ;   in Loop: Header=BB3_1593 Depth=1
	s_cmp_eq_u32 s15, 0
	s_cbranch_scc1 .LBB3_1621
; %bb.1618:                             ;   in Loop: Header=BB3_1593 Depth=1
	v_mov_b32_e32 v16, 0
	s_mov_b64 s[18:19], 0
	v_mov_b32_e32 v17, 0
	s_mov_b64 s[20:21], 0
.LBB3_1619:                             ;   Parent Loop BB3_1593 Depth=1
                                        ; =>  This Inner Loop Header: Depth=2
	s_add_u32 s22, s4, s20
	s_addc_u32 s23, s5, s21
	global_load_ubyte v4, v28, s[22:23]
	s_add_u32 s20, s20, 1
	s_addc_u32 s21, s21, 0
	s_waitcnt vmcnt(0)
	v_and_b32_e32 v27, 0xffff, v4
	v_lshlrev_b64 v[4:5], s18, v[27:28]
	s_add_u32 s18, s18, 8
	s_addc_u32 s19, s19, 0
	v_or_b32_e32 v16, v4, v16
	s_cmp_lg_u32 s15, s20
	v_or_b32_e32 v17, v5, v17
	s_cbranch_scc1 .LBB3_1619
	s_branch .LBB3_1622
.LBB3_1620:                             ;   in Loop: Header=BB3_1593 Depth=1
                                        ; implicit-def: $vgpr16_vgpr17
                                        ; implicit-def: $sgpr22
	s_branch .LBB3_1623
.LBB3_1621:                             ;   in Loop: Header=BB3_1593 Depth=1
	v_mov_b32_e32 v16, 0
	v_mov_b32_e32 v17, 0
.LBB3_1622:                             ;   in Loop: Header=BB3_1593 Depth=1
	s_mov_b32 s22, 0
	s_cbranch_execnz .LBB3_1624
.LBB3_1623:                             ;   in Loop: Header=BB3_1593 Depth=1
	global_load_dwordx2 v[16:17], v28, s[4:5]
	s_add_i32 s22, s15, -8
	s_add_u32 s4, s4, 8
	s_addc_u32 s5, s5, 0
.LBB3_1624:                             ;   in Loop: Header=BB3_1593 Depth=1
	s_cmp_gt_u32 s22, 7
	s_cbranch_scc1 .LBB3_1628
; %bb.1625:                             ;   in Loop: Header=BB3_1593 Depth=1
	s_cmp_eq_u32 s22, 0
	s_cbranch_scc1 .LBB3_1629
; %bb.1626:                             ;   in Loop: Header=BB3_1593 Depth=1
	v_mov_b32_e32 v18, 0
	s_mov_b64 s[18:19], 0
	v_mov_b32_e32 v19, 0
	s_mov_b64 s[20:21], 0
.LBB3_1627:                             ;   Parent Loop BB3_1593 Depth=1
                                        ; =>  This Inner Loop Header: Depth=2
	s_add_u32 s24, s4, s20
	s_addc_u32 s25, s5, s21
	global_load_ubyte v4, v28, s[24:25]
	s_add_u32 s20, s20, 1
	s_addc_u32 s21, s21, 0
	s_waitcnt vmcnt(0)
	v_and_b32_e32 v27, 0xffff, v4
	v_lshlrev_b64 v[4:5], s18, v[27:28]
	s_add_u32 s18, s18, 8
	s_addc_u32 s19, s19, 0
	v_or_b32_e32 v18, v4, v18
	s_cmp_lg_u32 s22, s20
	v_or_b32_e32 v19, v5, v19
	s_cbranch_scc1 .LBB3_1627
	s_branch .LBB3_1630
.LBB3_1628:                             ;   in Loop: Header=BB3_1593 Depth=1
                                        ; implicit-def: $sgpr15
	s_branch .LBB3_1631
.LBB3_1629:                             ;   in Loop: Header=BB3_1593 Depth=1
	v_mov_b32_e32 v18, 0
	v_mov_b32_e32 v19, 0
.LBB3_1630:                             ;   in Loop: Header=BB3_1593 Depth=1
	s_mov_b32 s15, 0
	s_cbranch_execnz .LBB3_1632
.LBB3_1631:                             ;   in Loop: Header=BB3_1593 Depth=1
	global_load_dwordx2 v[18:19], v28, s[4:5]
	s_add_i32 s15, s22, -8
	s_add_u32 s4, s4, 8
	s_addc_u32 s5, s5, 0
.LBB3_1632:                             ;   in Loop: Header=BB3_1593 Depth=1
	s_cmp_gt_u32 s15, 7
	s_cbranch_scc1 .LBB3_1636
; %bb.1633:                             ;   in Loop: Header=BB3_1593 Depth=1
	s_cmp_eq_u32 s15, 0
	s_cbranch_scc1 .LBB3_1637
; %bb.1634:                             ;   in Loop: Header=BB3_1593 Depth=1
	v_mov_b32_e32 v20, 0
	s_mov_b64 s[18:19], 0
	v_mov_b32_e32 v21, 0
	s_mov_b64 s[20:21], 0
.LBB3_1635:                             ;   Parent Loop BB3_1593 Depth=1
                                        ; =>  This Inner Loop Header: Depth=2
	s_add_u32 s22, s4, s20
	s_addc_u32 s23, s5, s21
	global_load_ubyte v4, v28, s[22:23]
	s_add_u32 s20, s20, 1
	s_addc_u32 s21, s21, 0
	s_waitcnt vmcnt(0)
	v_and_b32_e32 v27, 0xffff, v4
	v_lshlrev_b64 v[4:5], s18, v[27:28]
	s_add_u32 s18, s18, 8
	s_addc_u32 s19, s19, 0
	v_or_b32_e32 v20, v4, v20
	s_cmp_lg_u32 s15, s20
	v_or_b32_e32 v21, v5, v21
	s_cbranch_scc1 .LBB3_1635
	s_branch .LBB3_1638
.LBB3_1636:                             ;   in Loop: Header=BB3_1593 Depth=1
                                        ; implicit-def: $vgpr20_vgpr21
                                        ; implicit-def: $sgpr22
	s_branch .LBB3_1639
.LBB3_1637:                             ;   in Loop: Header=BB3_1593 Depth=1
	v_mov_b32_e32 v20, 0
	v_mov_b32_e32 v21, 0
.LBB3_1638:                             ;   in Loop: Header=BB3_1593 Depth=1
	s_mov_b32 s22, 0
	s_cbranch_execnz .LBB3_1640
.LBB3_1639:                             ;   in Loop: Header=BB3_1593 Depth=1
	global_load_dwordx2 v[20:21], v28, s[4:5]
	s_add_i32 s22, s15, -8
	s_add_u32 s4, s4, 8
	s_addc_u32 s5, s5, 0
.LBB3_1640:                             ;   in Loop: Header=BB3_1593 Depth=1
	s_cmp_gt_u32 s22, 7
	s_cbranch_scc1 .LBB3_1644
; %bb.1641:                             ;   in Loop: Header=BB3_1593 Depth=1
	s_cmp_eq_u32 s22, 0
	s_cbranch_scc1 .LBB3_1645
; %bb.1642:                             ;   in Loop: Header=BB3_1593 Depth=1
	v_mov_b32_e32 v22, 0
	s_mov_b64 s[18:19], 0
	v_mov_b32_e32 v23, 0
	s_mov_b64 s[20:21], s[4:5]
.LBB3_1643:                             ;   Parent Loop BB3_1593 Depth=1
                                        ; =>  This Inner Loop Header: Depth=2
	global_load_ubyte v4, v28, s[20:21]
	s_add_i32 s22, s22, -1
	s_waitcnt vmcnt(0)
	v_and_b32_e32 v27, 0xffff, v4
	v_lshlrev_b64 v[4:5], s18, v[27:28]
	s_add_u32 s18, s18, 8
	s_addc_u32 s19, s19, 0
	s_add_u32 s20, s20, 1
	s_addc_u32 s21, s21, 0
	v_or_b32_e32 v22, v4, v22
	s_cmp_lg_u32 s22, 0
	v_or_b32_e32 v23, v5, v23
	s_cbranch_scc1 .LBB3_1643
	s_branch .LBB3_1646
.LBB3_1644:                             ;   in Loop: Header=BB3_1593 Depth=1
	s_branch .LBB3_1647
.LBB3_1645:                             ;   in Loop: Header=BB3_1593 Depth=1
	v_mov_b32_e32 v22, 0
	v_mov_b32_e32 v23, 0
.LBB3_1646:                             ;   in Loop: Header=BB3_1593 Depth=1
	s_cbranch_execnz .LBB3_1648
.LBB3_1647:                             ;   in Loop: Header=BB3_1593 Depth=1
	global_load_dwordx2 v[22:23], v28, s[4:5]
.LBB3_1648:                             ;   in Loop: Header=BB3_1593 Depth=1
	v_readfirstlane_b32 s4, v51
	s_waitcnt vmcnt(0)
	v_mov_b32_e32 v4, 0
	v_mov_b32_e32 v5, 0
	v_cmp_eq_u32_e64 s[4:5], s4, v51
	s_and_saveexec_b64 s[18:19], s[4:5]
	s_cbranch_execz .LBB3_1654
; %bb.1649:                             ;   in Loop: Header=BB3_1593 Depth=1
	global_load_dwordx2 v[26:27], v28, s[36:37] offset:24 glc
	s_waitcnt vmcnt(0)
	buffer_wbinvl1_vol
	global_load_dwordx2 v[4:5], v28, s[36:37] offset:40
	global_load_dwordx2 v[8:9], v28, s[36:37]
	s_waitcnt vmcnt(1)
	v_and_b32_e32 v4, v4, v26
	v_and_b32_e32 v5, v5, v27
	v_mul_lo_u32 v5, v5, 24
	v_mul_hi_u32 v24, v4, 24
	v_mul_lo_u32 v4, v4, 24
	v_add_u32_e32 v5, v24, v5
	s_waitcnt vmcnt(0)
	v_add_co_u32_e32 v4, vcc, v8, v4
	v_addc_co_u32_e32 v5, vcc, v9, v5, vcc
	global_load_dwordx2 v[24:25], v[4:5], off glc
	s_waitcnt vmcnt(0)
	global_atomic_cmpswap_x2 v[4:5], v28, v[24:27], s[36:37] offset:24 glc
	s_waitcnt vmcnt(0)
	buffer_wbinvl1_vol
	v_cmp_ne_u64_e32 vcc, v[4:5], v[26:27]
	s_and_saveexec_b64 s[20:21], vcc
	s_cbranch_execz .LBB3_1653
; %bb.1650:                             ;   in Loop: Header=BB3_1593 Depth=1
	s_mov_b64 s[22:23], 0
.LBB3_1651:                             ;   Parent Loop BB3_1593 Depth=1
                                        ; =>  This Inner Loop Header: Depth=2
	s_sleep 1
	global_load_dwordx2 v[8:9], v28, s[36:37] offset:40
	global_load_dwordx2 v[24:25], v28, s[36:37]
	v_mov_b32_e32 v27, v5
	v_mov_b32_e32 v26, v4
	s_waitcnt vmcnt(1)
	v_and_b32_e32 v4, v8, v26
	s_waitcnt vmcnt(0)
	v_mad_u64_u32 v[4:5], s[24:25], v4, 24, v[24:25]
	v_and_b32_e32 v8, v9, v27
	v_mad_u64_u32 v[8:9], s[24:25], v8, 24, v[5:6]
	v_mov_b32_e32 v5, v8
	global_load_dwordx2 v[24:25], v[4:5], off glc
	s_waitcnt vmcnt(0)
	global_atomic_cmpswap_x2 v[4:5], v28, v[24:27], s[36:37] offset:24 glc
	s_waitcnt vmcnt(0)
	buffer_wbinvl1_vol
	v_cmp_eq_u64_e32 vcc, v[4:5], v[26:27]
	s_or_b64 s[22:23], vcc, s[22:23]
	s_andn2_b64 exec, exec, s[22:23]
	s_cbranch_execnz .LBB3_1651
; %bb.1652:                             ;   in Loop: Header=BB3_1593 Depth=1
	s_or_b64 exec, exec, s[22:23]
.LBB3_1653:                             ;   in Loop: Header=BB3_1593 Depth=1
	s_or_b64 exec, exec, s[20:21]
.LBB3_1654:                             ;   in Loop: Header=BB3_1593 Depth=1
	s_or_b64 exec, exec, s[18:19]
	global_load_dwordx2 v[8:9], v28, s[36:37] offset:40
	global_load_dwordx4 v[24:27], v28, s[36:37]
	v_readfirstlane_b32 s18, v4
	v_readfirstlane_b32 s19, v5
	s_mov_b64 s[20:21], exec
	s_waitcnt vmcnt(1)
	v_readfirstlane_b32 s22, v8
	v_readfirstlane_b32 s23, v9
	s_and_b64 s[22:23], s[18:19], s[22:23]
	s_mul_i32 s15, s23, 24
	s_mul_hi_u32 s24, s22, 24
	s_mul_i32 s25, s22, 24
	s_add_i32 s15, s24, s15
	v_mov_b32_e32 v4, s15
	s_waitcnt vmcnt(0)
	v_add_co_u32_e32 v29, vcc, s25, v24
	v_addc_co_u32_e32 v30, vcc, v25, v4, vcc
	s_and_saveexec_b64 s[24:25], s[4:5]
	s_cbranch_execz .LBB3_1656
; %bb.1655:                             ;   in Loop: Header=BB3_1593 Depth=1
	v_mov_b32_e32 v4, s20
	v_mov_b32_e32 v5, s21
	global_store_dwordx4 v[29:30], v[4:7], off offset:8
.LBB3_1656:                             ;   in Loop: Header=BB3_1593 Depth=1
	s_or_b64 exec, exec, s[24:25]
	s_lshl_b64 s[20:21], s[22:23], 12
	v_mov_b32_e32 v4, s21
	v_add_co_u32_e32 v26, vcc, s20, v26
	v_addc_co_u32_e32 v32, vcc, v27, v4, vcc
	v_cmp_gt_u64_e64 vcc, s[10:11], 56
	v_or_b32_e32 v5, v2, v31
	s_lshl_b32 s15, s16, 2
	v_cndmask_b32_e32 v2, v5, v2, vcc
	s_add_i32 s15, s15, 28
	v_or_b32_e32 v4, 0, v3
	s_and_b32 s15, s15, 0x1e0
	v_and_b32_e32 v2, 0xffffff1f, v2
	v_cndmask_b32_e32 v9, v4, v3, vcc
	v_or_b32_e32 v8, s15, v2
	v_readfirstlane_b32 s20, v26
	v_readfirstlane_b32 s21, v32
	s_nop 4
	global_store_dwordx4 v50, v[8:11], s[20:21]
	global_store_dwordx4 v50, v[12:15], s[20:21] offset:16
	global_store_dwordx4 v50, v[16:19], s[20:21] offset:32
	;; [unrolled: 1-line block ×3, first 2 shown]
	s_and_saveexec_b64 s[20:21], s[4:5]
	s_cbranch_execz .LBB3_1664
; %bb.1657:                             ;   in Loop: Header=BB3_1593 Depth=1
	global_load_dwordx2 v[12:13], v28, s[36:37] offset:32 glc
	global_load_dwordx2 v[2:3], v28, s[36:37] offset:40
	v_mov_b32_e32 v10, s18
	v_mov_b32_e32 v11, s19
	s_waitcnt vmcnt(0)
	v_readfirstlane_b32 s22, v2
	v_readfirstlane_b32 s23, v3
	s_and_b64 s[22:23], s[22:23], s[18:19]
	s_mul_i32 s15, s23, 24
	s_mul_hi_u32 s23, s22, 24
	s_mul_i32 s22, s22, 24
	s_add_i32 s15, s23, s15
	v_mov_b32_e32 v2, s15
	v_add_co_u32_e32 v8, vcc, s22, v24
	v_addc_co_u32_e32 v9, vcc, v25, v2, vcc
	global_store_dwordx2 v[8:9], v[12:13], off
	s_waitcnt vmcnt(0)
	global_atomic_cmpswap_x2 v[4:5], v28, v[10:13], s[36:37] offset:32 glc
	s_waitcnt vmcnt(0)
	v_cmp_ne_u64_e32 vcc, v[4:5], v[12:13]
	s_and_saveexec_b64 s[22:23], vcc
	s_cbranch_execz .LBB3_1660
; %bb.1658:                             ;   in Loop: Header=BB3_1593 Depth=1
	s_mov_b64 s[24:25], 0
.LBB3_1659:                             ;   Parent Loop BB3_1593 Depth=1
                                        ; =>  This Inner Loop Header: Depth=2
	s_sleep 1
	global_store_dwordx2 v[8:9], v[4:5], off
	v_mov_b32_e32 v2, s18
	v_mov_b32_e32 v3, s19
	s_waitcnt vmcnt(0)
	global_atomic_cmpswap_x2 v[2:3], v28, v[2:5], s[36:37] offset:32 glc
	s_waitcnt vmcnt(0)
	v_cmp_eq_u64_e32 vcc, v[2:3], v[4:5]
	v_mov_b32_e32 v5, v3
	s_or_b64 s[24:25], vcc, s[24:25]
	v_mov_b32_e32 v4, v2
	s_andn2_b64 exec, exec, s[24:25]
	s_cbranch_execnz .LBB3_1659
.LBB3_1660:                             ;   in Loop: Header=BB3_1593 Depth=1
	s_or_b64 exec, exec, s[22:23]
	global_load_dwordx2 v[2:3], v28, s[36:37] offset:16
	s_mov_b64 s[24:25], exec
	v_mbcnt_lo_u32_b32 v4, s24, 0
	v_mbcnt_hi_u32_b32 v4, s25, v4
	v_cmp_eq_u32_e32 vcc, 0, v4
	s_and_saveexec_b64 s[22:23], vcc
	s_cbranch_execz .LBB3_1662
; %bb.1661:                             ;   in Loop: Header=BB3_1593 Depth=1
	s_bcnt1_i32_b64 s15, s[24:25]
	v_mov_b32_e32 v27, s15
	s_waitcnt vmcnt(0)
	global_atomic_add_x2 v[2:3], v[27:28], off offset:8
.LBB3_1662:                             ;   in Loop: Header=BB3_1593 Depth=1
	s_or_b64 exec, exec, s[22:23]
	s_waitcnt vmcnt(0)
	global_load_dwordx2 v[4:5], v[2:3], off offset:16
	s_waitcnt vmcnt(0)
	v_cmp_eq_u64_e32 vcc, 0, v[4:5]
	s_cbranch_vccnz .LBB3_1664
; %bb.1663:                             ;   in Loop: Header=BB3_1593 Depth=1
	global_load_dword v27, v[2:3], off offset:24
	s_waitcnt vmcnt(0)
	v_and_b32_e32 v2, 0xffffff, v27
	v_readfirstlane_b32 m0, v2
	global_store_dwordx2 v[4:5], v[27:28], off
	s_sendmsg sendmsg(MSG_INTERRUPT)
.LBB3_1664:                             ;   in Loop: Header=BB3_1593 Depth=1
	s_or_b64 exec, exec, s[20:21]
	v_add_co_u32_e32 v2, vcc, v26, v50
	v_addc_co_u32_e32 v3, vcc, 0, v32, vcc
	s_branch .LBB3_1668
.LBB3_1665:                             ;   in Loop: Header=BB3_1668 Depth=2
	s_or_b64 exec, exec, s[20:21]
	v_readfirstlane_b32 s15, v4
	s_cmp_eq_u32 s15, 0
	s_cbranch_scc1 .LBB3_1667
; %bb.1666:                             ;   in Loop: Header=BB3_1668 Depth=2
	s_sleep 1
	s_cbranch_execnz .LBB3_1668
	s_branch .LBB3_1670
.LBB3_1667:                             ;   in Loop: Header=BB3_1593 Depth=1
	s_branch .LBB3_1670
.LBB3_1668:                             ;   Parent Loop BB3_1593 Depth=1
                                        ; =>  This Inner Loop Header: Depth=2
	v_mov_b32_e32 v4, 1
	s_and_saveexec_b64 s[20:21], s[4:5]
	s_cbranch_execz .LBB3_1665
; %bb.1669:                             ;   in Loop: Header=BB3_1668 Depth=2
	global_load_dword v4, v[29:30], off offset:20 glc
	s_waitcnt vmcnt(0)
	buffer_wbinvl1_vol
	v_and_b32_e32 v4, 1, v4
	s_branch .LBB3_1665
.LBB3_1670:                             ;   in Loop: Header=BB3_1593 Depth=1
	global_load_dwordx4 v[2:5], v[2:3], off
	s_and_saveexec_b64 s[20:21], s[4:5]
	s_cbranch_execz .LBB3_1592
; %bb.1671:                             ;   in Loop: Header=BB3_1593 Depth=1
	global_load_dwordx2 v[4:5], v28, s[36:37] offset:40
	global_load_dwordx2 v[12:13], v28, s[36:37] offset:24 glc
	global_load_dwordx2 v[14:15], v28, s[36:37]
	v_mov_b32_e32 v9, s19
	s_waitcnt vmcnt(2)
	v_add_co_u32_e32 v10, vcc, 1, v4
	v_addc_co_u32_e32 v11, vcc, 0, v5, vcc
	v_add_co_u32_e32 v8, vcc, s18, v10
	v_addc_co_u32_e32 v9, vcc, v11, v9, vcc
	v_cmp_eq_u64_e32 vcc, 0, v[8:9]
	v_cndmask_b32_e32 v9, v9, v11, vcc
	v_cndmask_b32_e32 v8, v8, v10, vcc
	v_and_b32_e32 v5, v9, v5
	v_and_b32_e32 v4, v8, v4
	v_mul_lo_u32 v5, v5, 24
	v_mul_hi_u32 v11, v4, 24
	v_mul_lo_u32 v4, v4, 24
	s_waitcnt vmcnt(1)
	v_mov_b32_e32 v10, v12
	v_add_u32_e32 v5, v11, v5
	s_waitcnt vmcnt(0)
	v_add_co_u32_e32 v4, vcc, v14, v4
	v_addc_co_u32_e32 v5, vcc, v15, v5, vcc
	global_store_dwordx2 v[4:5], v[12:13], off
	v_mov_b32_e32 v11, v13
	s_waitcnt vmcnt(0)
	global_atomic_cmpswap_x2 v[10:11], v28, v[8:11], s[36:37] offset:24 glc
	s_waitcnt vmcnt(0)
	v_cmp_ne_u64_e32 vcc, v[10:11], v[12:13]
	s_and_b64 exec, exec, vcc
	s_cbranch_execz .LBB3_1592
; %bb.1672:                             ;   in Loop: Header=BB3_1593 Depth=1
	s_mov_b64 s[4:5], 0
.LBB3_1673:                             ;   Parent Loop BB3_1593 Depth=1
                                        ; =>  This Inner Loop Header: Depth=2
	s_sleep 1
	global_store_dwordx2 v[4:5], v[10:11], off
	s_waitcnt vmcnt(0)
	global_atomic_cmpswap_x2 v[12:13], v28, v[8:11], s[36:37] offset:24 glc
	s_waitcnt vmcnt(0)
	v_cmp_eq_u64_e32 vcc, v[12:13], v[10:11]
	v_mov_b32_e32 v10, v12
	s_or_b64 s[4:5], vcc, s[4:5]
	v_mov_b32_e32 v11, v13
	s_andn2_b64 exec, exec, s[4:5]
	s_cbranch_execnz .LBB3_1673
	s_branch .LBB3_1592
.LBB3_1674:
	s_branch .LBB3_1702
.LBB3_1675:
                                        ; implicit-def: $vgpr2_vgpr3
	s_cbranch_execz .LBB3_1702
; %bb.1676:
	v_readfirstlane_b32 s4, v51
	v_mov_b32_e32 v8, 0
	v_mov_b32_e32 v9, 0
	v_cmp_eq_u32_e64 s[4:5], s4, v51
	s_and_saveexec_b64 s[6:7], s[4:5]
	s_cbranch_execz .LBB3_1682
; %bb.1677:
	s_waitcnt vmcnt(0)
	v_mov_b32_e32 v2, 0
	global_load_dwordx2 v[5:6], v2, s[36:37] offset:24 glc
	s_waitcnt vmcnt(0)
	buffer_wbinvl1_vol
	global_load_dwordx2 v[3:4], v2, s[36:37] offset:40
	global_load_dwordx2 v[7:8], v2, s[36:37]
	s_waitcnt vmcnt(1)
	v_and_b32_e32 v3, v3, v5
	v_and_b32_e32 v4, v4, v6
	v_mul_lo_u32 v4, v4, 24
	v_mul_hi_u32 v9, v3, 24
	v_mul_lo_u32 v3, v3, 24
	v_add_u32_e32 v4, v9, v4
	s_waitcnt vmcnt(0)
	v_add_co_u32_e32 v3, vcc, v7, v3
	v_addc_co_u32_e32 v4, vcc, v8, v4, vcc
	global_load_dwordx2 v[3:4], v[3:4], off glc
	s_waitcnt vmcnt(0)
	global_atomic_cmpswap_x2 v[8:9], v2, v[3:6], s[36:37] offset:24 glc
	s_waitcnt vmcnt(0)
	buffer_wbinvl1_vol
	v_cmp_ne_u64_e32 vcc, v[8:9], v[5:6]
	s_and_saveexec_b64 s[10:11], vcc
	s_cbranch_execz .LBB3_1681
; %bb.1678:
	s_mov_b64 s[16:17], 0
.LBB3_1679:                             ; =>This Inner Loop Header: Depth=1
	s_sleep 1
	global_load_dwordx2 v[3:4], v2, s[36:37] offset:40
	global_load_dwordx2 v[10:11], v2, s[36:37]
	v_mov_b32_e32 v5, v8
	v_mov_b32_e32 v6, v9
	s_waitcnt vmcnt(1)
	v_and_b32_e32 v3, v3, v5
	s_waitcnt vmcnt(0)
	v_mad_u64_u32 v[7:8], s[18:19], v3, 24, v[10:11]
	v_and_b32_e32 v4, v4, v6
	v_mov_b32_e32 v3, v8
	v_mad_u64_u32 v[3:4], s[18:19], v4, 24, v[3:4]
	v_mov_b32_e32 v8, v3
	global_load_dwordx2 v[3:4], v[7:8], off glc
	s_waitcnt vmcnt(0)
	global_atomic_cmpswap_x2 v[8:9], v2, v[3:6], s[36:37] offset:24 glc
	s_waitcnt vmcnt(0)
	buffer_wbinvl1_vol
	v_cmp_eq_u64_e32 vcc, v[8:9], v[5:6]
	s_or_b64 s[16:17], vcc, s[16:17]
	s_andn2_b64 exec, exec, s[16:17]
	s_cbranch_execnz .LBB3_1679
; %bb.1680:
	s_or_b64 exec, exec, s[16:17]
.LBB3_1681:
	s_or_b64 exec, exec, s[10:11]
.LBB3_1682:
	s_or_b64 exec, exec, s[6:7]
	s_waitcnt vmcnt(0)
	v_mov_b32_e32 v2, 0
	global_load_dwordx2 v[10:11], v2, s[36:37] offset:40
	global_load_dwordx4 v[4:7], v2, s[36:37]
	v_readfirstlane_b32 s6, v8
	v_readfirstlane_b32 s7, v9
	s_mov_b64 s[10:11], exec
	s_waitcnt vmcnt(1)
	v_readfirstlane_b32 s16, v10
	v_readfirstlane_b32 s17, v11
	s_and_b64 s[16:17], s[6:7], s[16:17]
	s_mul_i32 s15, s17, 24
	s_mul_hi_u32 s18, s16, 24
	s_mul_i32 s19, s16, 24
	s_add_i32 s15, s18, s15
	v_mov_b32_e32 v3, s15
	s_waitcnt vmcnt(0)
	v_add_co_u32_e32 v8, vcc, s19, v4
	v_addc_co_u32_e32 v9, vcc, v5, v3, vcc
	s_and_saveexec_b64 s[18:19], s[4:5]
	s_cbranch_execz .LBB3_1684
; %bb.1683:
	v_mov_b32_e32 v10, s10
	v_mov_b32_e32 v11, s11
	;; [unrolled: 1-line block ×4, first 2 shown]
	global_store_dwordx4 v[8:9], v[10:13], off offset:8
.LBB3_1684:
	s_or_b64 exec, exec, s[18:19]
	s_lshl_b64 s[10:11], s[16:17], 12
	v_mov_b32_e32 v3, s11
	v_add_co_u32_e32 v10, vcc, s10, v6
	v_addc_co_u32_e32 v11, vcc, v7, v3, vcc
	s_movk_i32 s10, 0xff1f
	v_and_or_b32 v0, v0, s10, 32
	s_mov_b32 s16, 0
	v_mov_b32_e32 v3, v2
	v_readfirstlane_b32 s10, v10
	v_readfirstlane_b32 s11, v11
	v_add_co_u32_e32 v6, vcc, v10, v50
	s_mov_b32 s17, s16
	s_mov_b32 s18, s16
	s_mov_b32 s19, s16
	s_nop 0
	global_store_dwordx4 v50, v[0:3], s[10:11]
	v_addc_co_u32_e32 v7, vcc, 0, v11, vcc
	v_mov_b32_e32 v0, s16
	v_mov_b32_e32 v1, s17
	;; [unrolled: 1-line block ×4, first 2 shown]
	global_store_dwordx4 v50, v[0:3], s[10:11] offset:16
	global_store_dwordx4 v50, v[0:3], s[10:11] offset:32
	;; [unrolled: 1-line block ×3, first 2 shown]
	s_and_saveexec_b64 s[10:11], s[4:5]
	s_cbranch_execz .LBB3_1692
; %bb.1685:
	v_mov_b32_e32 v10, 0
	global_load_dwordx2 v[13:14], v10, s[36:37] offset:32 glc
	global_load_dwordx2 v[0:1], v10, s[36:37] offset:40
	v_mov_b32_e32 v11, s6
	v_mov_b32_e32 v12, s7
	s_waitcnt vmcnt(0)
	v_readfirstlane_b32 s16, v0
	v_readfirstlane_b32 s17, v1
	s_and_b64 s[16:17], s[16:17], s[6:7]
	s_mul_i32 s15, s17, 24
	s_mul_hi_u32 s17, s16, 24
	s_mul_i32 s16, s16, 24
	s_add_i32 s15, s17, s15
	v_mov_b32_e32 v0, s15
	v_add_co_u32_e32 v4, vcc, s16, v4
	v_addc_co_u32_e32 v5, vcc, v5, v0, vcc
	global_store_dwordx2 v[4:5], v[13:14], off
	s_waitcnt vmcnt(0)
	global_atomic_cmpswap_x2 v[2:3], v10, v[11:14], s[36:37] offset:32 glc
	s_waitcnt vmcnt(0)
	v_cmp_ne_u64_e32 vcc, v[2:3], v[13:14]
	s_and_saveexec_b64 s[16:17], vcc
	s_cbranch_execz .LBB3_1688
; %bb.1686:
	s_mov_b64 s[18:19], 0
.LBB3_1687:                             ; =>This Inner Loop Header: Depth=1
	s_sleep 1
	global_store_dwordx2 v[4:5], v[2:3], off
	v_mov_b32_e32 v0, s6
	v_mov_b32_e32 v1, s7
	s_waitcnt vmcnt(0)
	global_atomic_cmpswap_x2 v[0:1], v10, v[0:3], s[36:37] offset:32 glc
	s_waitcnt vmcnt(0)
	v_cmp_eq_u64_e32 vcc, v[0:1], v[2:3]
	v_mov_b32_e32 v3, v1
	s_or_b64 s[18:19], vcc, s[18:19]
	v_mov_b32_e32 v2, v0
	s_andn2_b64 exec, exec, s[18:19]
	s_cbranch_execnz .LBB3_1687
.LBB3_1688:
	s_or_b64 exec, exec, s[16:17]
	v_mov_b32_e32 v3, 0
	global_load_dwordx2 v[0:1], v3, s[36:37] offset:16
	s_mov_b64 s[16:17], exec
	v_mbcnt_lo_u32_b32 v2, s16, 0
	v_mbcnt_hi_u32_b32 v2, s17, v2
	v_cmp_eq_u32_e32 vcc, 0, v2
	s_and_saveexec_b64 s[18:19], vcc
	s_cbranch_execz .LBB3_1690
; %bb.1689:
	s_bcnt1_i32_b64 s15, s[16:17]
	v_mov_b32_e32 v2, s15
	s_waitcnt vmcnt(0)
	global_atomic_add_x2 v[0:1], v[2:3], off offset:8
.LBB3_1690:
	s_or_b64 exec, exec, s[18:19]
	s_waitcnt vmcnt(0)
	global_load_dwordx2 v[2:3], v[0:1], off offset:16
	s_waitcnt vmcnt(0)
	v_cmp_eq_u64_e32 vcc, 0, v[2:3]
	s_cbranch_vccnz .LBB3_1692
; %bb.1691:
	global_load_dword v0, v[0:1], off offset:24
	v_mov_b32_e32 v1, 0
	s_waitcnt vmcnt(0)
	global_store_dwordx2 v[2:3], v[0:1], off
	v_and_b32_e32 v0, 0xffffff, v0
	v_readfirstlane_b32 m0, v0
	s_sendmsg sendmsg(MSG_INTERRUPT)
.LBB3_1692:
	s_or_b64 exec, exec, s[10:11]
	s_branch .LBB3_1696
.LBB3_1693:                             ;   in Loop: Header=BB3_1696 Depth=1
	s_or_b64 exec, exec, s[10:11]
	v_readfirstlane_b32 s10, v0
	s_cmp_eq_u32 s10, 0
	s_cbranch_scc1 .LBB3_1695
; %bb.1694:                             ;   in Loop: Header=BB3_1696 Depth=1
	s_sleep 1
	s_cbranch_execnz .LBB3_1696
	s_branch .LBB3_1698
.LBB3_1695:
	s_branch .LBB3_1698
.LBB3_1696:                             ; =>This Inner Loop Header: Depth=1
	v_mov_b32_e32 v0, 1
	s_and_saveexec_b64 s[10:11], s[4:5]
	s_cbranch_execz .LBB3_1693
; %bb.1697:                             ;   in Loop: Header=BB3_1696 Depth=1
	global_load_dword v0, v[8:9], off offset:20 glc
	s_waitcnt vmcnt(0)
	buffer_wbinvl1_vol
	v_and_b32_e32 v0, 1, v0
	s_branch .LBB3_1693
.LBB3_1698:
	global_load_dwordx2 v[2:3], v[6:7], off
	s_and_saveexec_b64 s[10:11], s[4:5]
	s_cbranch_execz .LBB3_1701
; %bb.1699:
	v_mov_b32_e32 v8, 0
	global_load_dwordx2 v[0:1], v8, s[36:37] offset:40
	global_load_dwordx2 v[9:10], v8, s[36:37] offset:24 glc
	global_load_dwordx2 v[11:12], v8, s[36:37]
	v_mov_b32_e32 v5, s7
	s_mov_b64 s[4:5], 0
	s_waitcnt vmcnt(2)
	v_add_co_u32_e32 v6, vcc, 1, v0
	v_addc_co_u32_e32 v7, vcc, 0, v1, vcc
	v_add_co_u32_e32 v4, vcc, s6, v6
	v_addc_co_u32_e32 v5, vcc, v7, v5, vcc
	v_cmp_eq_u64_e32 vcc, 0, v[4:5]
	v_cndmask_b32_e32 v5, v5, v7, vcc
	v_cndmask_b32_e32 v4, v4, v6, vcc
	v_and_b32_e32 v1, v5, v1
	v_and_b32_e32 v0, v4, v0
	v_mul_lo_u32 v1, v1, 24
	v_mul_hi_u32 v7, v0, 24
	v_mul_lo_u32 v0, v0, 24
	s_waitcnt vmcnt(1)
	v_mov_b32_e32 v6, v9
	v_add_u32_e32 v1, v7, v1
	s_waitcnt vmcnt(0)
	v_add_co_u32_e32 v0, vcc, v11, v0
	v_addc_co_u32_e32 v1, vcc, v12, v1, vcc
	global_store_dwordx2 v[0:1], v[9:10], off
	v_mov_b32_e32 v7, v10
	s_waitcnt vmcnt(0)
	global_atomic_cmpswap_x2 v[6:7], v8, v[4:7], s[36:37] offset:24 glc
	s_waitcnt vmcnt(0)
	v_cmp_ne_u64_e32 vcc, v[6:7], v[9:10]
	s_and_b64 exec, exec, vcc
	s_cbranch_execz .LBB3_1701
.LBB3_1700:                             ; =>This Inner Loop Header: Depth=1
	s_sleep 1
	global_store_dwordx2 v[0:1], v[6:7], off
	s_waitcnt vmcnt(0)
	global_atomic_cmpswap_x2 v[9:10], v8, v[4:7], s[36:37] offset:24 glc
	s_waitcnt vmcnt(0)
	v_cmp_eq_u64_e32 vcc, v[9:10], v[6:7]
	v_mov_b32_e32 v6, v9
	s_or_b64 s[4:5], vcc, s[4:5]
	v_mov_b32_e32 v7, v10
	s_andn2_b64 exec, exec, s[4:5]
	s_cbranch_execnz .LBB3_1700
.LBB3_1701:
	s_or_b64 exec, exec, s[10:11]
.LBB3_1702:
	v_readfirstlane_b32 s4, v51
	s_waitcnt vmcnt(0)
	v_mov_b32_e32 v0, 0
	v_mov_b32_e32 v1, 0
	v_cmp_eq_u32_e64 s[4:5], s4, v51
	s_and_saveexec_b64 s[6:7], s[4:5]
	s_cbranch_execz .LBB3_1708
; %bb.1703:
	v_mov_b32_e32 v4, 0
	global_load_dwordx2 v[7:8], v4, s[36:37] offset:24 glc
	s_waitcnt vmcnt(0)
	buffer_wbinvl1_vol
	global_load_dwordx2 v[0:1], v4, s[36:37] offset:40
	global_load_dwordx2 v[5:6], v4, s[36:37]
	s_waitcnt vmcnt(1)
	v_and_b32_e32 v0, v0, v7
	v_and_b32_e32 v1, v1, v8
	v_mul_lo_u32 v1, v1, 24
	v_mul_hi_u32 v9, v0, 24
	v_mul_lo_u32 v0, v0, 24
	v_add_u32_e32 v1, v9, v1
	s_waitcnt vmcnt(0)
	v_add_co_u32_e32 v0, vcc, v5, v0
	v_addc_co_u32_e32 v1, vcc, v6, v1, vcc
	global_load_dwordx2 v[5:6], v[0:1], off glc
	s_waitcnt vmcnt(0)
	global_atomic_cmpswap_x2 v[0:1], v4, v[5:8], s[36:37] offset:24 glc
	s_waitcnt vmcnt(0)
	buffer_wbinvl1_vol
	v_cmp_ne_u64_e32 vcc, v[0:1], v[7:8]
	s_and_saveexec_b64 s[10:11], vcc
	s_cbranch_execz .LBB3_1707
; %bb.1704:
	s_mov_b64 s[16:17], 0
.LBB3_1705:                             ; =>This Inner Loop Header: Depth=1
	s_sleep 1
	global_load_dwordx2 v[5:6], v4, s[36:37] offset:40
	global_load_dwordx2 v[9:10], v4, s[36:37]
	v_mov_b32_e32 v8, v1
	v_mov_b32_e32 v7, v0
	s_waitcnt vmcnt(1)
	v_and_b32_e32 v0, v5, v7
	s_waitcnt vmcnt(0)
	v_mad_u64_u32 v[0:1], s[18:19], v0, 24, v[9:10]
	v_and_b32_e32 v5, v6, v8
	v_mad_u64_u32 v[5:6], s[18:19], v5, 24, v[1:2]
	v_mov_b32_e32 v1, v5
	global_load_dwordx2 v[5:6], v[0:1], off glc
	s_waitcnt vmcnt(0)
	global_atomic_cmpswap_x2 v[0:1], v4, v[5:8], s[36:37] offset:24 glc
	s_waitcnt vmcnt(0)
	buffer_wbinvl1_vol
	v_cmp_eq_u64_e32 vcc, v[0:1], v[7:8]
	s_or_b64 s[16:17], vcc, s[16:17]
	s_andn2_b64 exec, exec, s[16:17]
	s_cbranch_execnz .LBB3_1705
; %bb.1706:
	s_or_b64 exec, exec, s[16:17]
.LBB3_1707:
	s_or_b64 exec, exec, s[10:11]
.LBB3_1708:
	s_or_b64 exec, exec, s[6:7]
	v_mov_b32_e32 v5, 0
	global_load_dwordx2 v[10:11], v5, s[36:37] offset:40
	global_load_dwordx4 v[6:9], v5, s[36:37]
	v_readfirstlane_b32 s6, v0
	v_readfirstlane_b32 s7, v1
	s_mov_b64 s[10:11], exec
	s_waitcnt vmcnt(1)
	v_readfirstlane_b32 s16, v10
	v_readfirstlane_b32 s17, v11
	s_and_b64 s[16:17], s[6:7], s[16:17]
	s_mul_i32 s15, s17, 24
	s_mul_hi_u32 s18, s16, 24
	s_mul_i32 s19, s16, 24
	s_add_i32 s15, s18, s15
	v_mov_b32_e32 v0, s15
	s_waitcnt vmcnt(0)
	v_add_co_u32_e32 v10, vcc, s19, v6
	v_addc_co_u32_e32 v11, vcc, v7, v0, vcc
	s_and_saveexec_b64 s[18:19], s[4:5]
	s_cbranch_execz .LBB3_1710
; %bb.1709:
	v_mov_b32_e32 v13, s11
	v_mov_b32_e32 v12, s10
	;; [unrolled: 1-line block ×4, first 2 shown]
	global_store_dwordx4 v[10:11], v[12:15], off offset:8
.LBB3_1710:
	s_or_b64 exec, exec, s[18:19]
	s_lshl_b64 s[10:11], s[16:17], 12
	v_mov_b32_e32 v0, s11
	v_add_co_u32_e32 v1, vcc, s10, v8
	v_addc_co_u32_e32 v0, vcc, v9, v0, vcc
	s_movk_i32 s10, 0xff1d
	v_and_or_b32 v2, v2, s10, 34
	s_mov_b32 s16, 0
	v_mov_b32_e32 v4, 10
	v_readfirstlane_b32 s10, v1
	v_readfirstlane_b32 s11, v0
	s_mov_b32 s17, s16
	s_mov_b32 s18, s16
	;; [unrolled: 1-line block ×3, first 2 shown]
	s_nop 1
	global_store_dwordx4 v50, v[2:5], s[10:11]
	v_mov_b32_e32 v0, s16
	v_mov_b32_e32 v1, s17
	;; [unrolled: 1-line block ×4, first 2 shown]
	global_store_dwordx4 v50, v[0:3], s[10:11] offset:16
	global_store_dwordx4 v50, v[0:3], s[10:11] offset:32
	;; [unrolled: 1-line block ×3, first 2 shown]
	s_and_saveexec_b64 s[10:11], s[4:5]
	s_cbranch_execz .LBB3_1718
; %bb.1711:
	v_mov_b32_e32 v8, 0
	global_load_dwordx2 v[14:15], v8, s[36:37] offset:32 glc
	global_load_dwordx2 v[0:1], v8, s[36:37] offset:40
	v_mov_b32_e32 v12, s6
	v_mov_b32_e32 v13, s7
	s_waitcnt vmcnt(0)
	v_readfirstlane_b32 s16, v0
	v_readfirstlane_b32 s17, v1
	s_and_b64 s[16:17], s[16:17], s[6:7]
	s_mul_i32 s15, s17, 24
	s_mul_hi_u32 s17, s16, 24
	s_mul_i32 s16, s16, 24
	s_add_i32 s15, s17, s15
	v_mov_b32_e32 v0, s15
	v_add_co_u32_e32 v4, vcc, s16, v6
	v_addc_co_u32_e32 v5, vcc, v7, v0, vcc
	global_store_dwordx2 v[4:5], v[14:15], off
	s_waitcnt vmcnt(0)
	global_atomic_cmpswap_x2 v[2:3], v8, v[12:15], s[36:37] offset:32 glc
	s_waitcnt vmcnt(0)
	v_cmp_ne_u64_e32 vcc, v[2:3], v[14:15]
	s_and_saveexec_b64 s[16:17], vcc
	s_cbranch_execz .LBB3_1714
; %bb.1712:
	s_mov_b64 s[18:19], 0
.LBB3_1713:                             ; =>This Inner Loop Header: Depth=1
	s_sleep 1
	global_store_dwordx2 v[4:5], v[2:3], off
	v_mov_b32_e32 v0, s6
	v_mov_b32_e32 v1, s7
	s_waitcnt vmcnt(0)
	global_atomic_cmpswap_x2 v[0:1], v8, v[0:3], s[36:37] offset:32 glc
	s_waitcnt vmcnt(0)
	v_cmp_eq_u64_e32 vcc, v[0:1], v[2:3]
	v_mov_b32_e32 v3, v1
	s_or_b64 s[18:19], vcc, s[18:19]
	v_mov_b32_e32 v2, v0
	s_andn2_b64 exec, exec, s[18:19]
	s_cbranch_execnz .LBB3_1713
.LBB3_1714:
	s_or_b64 exec, exec, s[16:17]
	v_mov_b32_e32 v3, 0
	global_load_dwordx2 v[0:1], v3, s[36:37] offset:16
	s_mov_b64 s[16:17], exec
	v_mbcnt_lo_u32_b32 v2, s16, 0
	v_mbcnt_hi_u32_b32 v2, s17, v2
	v_cmp_eq_u32_e32 vcc, 0, v2
	s_and_saveexec_b64 s[18:19], vcc
	s_cbranch_execz .LBB3_1716
; %bb.1715:
	s_bcnt1_i32_b64 s15, s[16:17]
	v_mov_b32_e32 v2, s15
	s_waitcnt vmcnt(0)
	global_atomic_add_x2 v[0:1], v[2:3], off offset:8
.LBB3_1716:
	s_or_b64 exec, exec, s[18:19]
	s_waitcnt vmcnt(0)
	global_load_dwordx2 v[2:3], v[0:1], off offset:16
	s_waitcnt vmcnt(0)
	v_cmp_eq_u64_e32 vcc, 0, v[2:3]
	s_cbranch_vccnz .LBB3_1718
; %bb.1717:
	global_load_dword v0, v[0:1], off offset:24
	v_mov_b32_e32 v1, 0
	s_waitcnt vmcnt(0)
	global_store_dwordx2 v[2:3], v[0:1], off
	v_and_b32_e32 v0, 0xffffff, v0
	v_readfirstlane_b32 m0, v0
	s_sendmsg sendmsg(MSG_INTERRUPT)
.LBB3_1718:
	s_or_b64 exec, exec, s[10:11]
	s_branch .LBB3_1722
.LBB3_1719:                             ;   in Loop: Header=BB3_1722 Depth=1
	s_or_b64 exec, exec, s[10:11]
	v_readfirstlane_b32 s10, v0
	s_cmp_eq_u32 s10, 0
	s_cbranch_scc1 .LBB3_1721
; %bb.1720:                             ;   in Loop: Header=BB3_1722 Depth=1
	s_sleep 1
	s_cbranch_execnz .LBB3_1722
	s_branch .LBB3_1724
.LBB3_1721:
	s_branch .LBB3_1724
.LBB3_1722:                             ; =>This Inner Loop Header: Depth=1
	v_mov_b32_e32 v0, 1
	s_and_saveexec_b64 s[10:11], s[4:5]
	s_cbranch_execz .LBB3_1719
; %bb.1723:                             ;   in Loop: Header=BB3_1722 Depth=1
	global_load_dword v0, v[10:11], off offset:20 glc
	s_waitcnt vmcnt(0)
	buffer_wbinvl1_vol
	v_and_b32_e32 v0, 1, v0
	s_branch .LBB3_1719
.LBB3_1724:
	s_and_saveexec_b64 s[10:11], s[4:5]
	s_cbranch_execz .LBB3_1727
; %bb.1725:
	v_mov_b32_e32 v6, 0
	global_load_dwordx2 v[2:3], v6, s[36:37] offset:40
	global_load_dwordx2 v[7:8], v6, s[36:37] offset:24 glc
	global_load_dwordx2 v[4:5], v6, s[36:37]
	v_mov_b32_e32 v1, s7
	s_mov_b64 s[4:5], 0
	s_waitcnt vmcnt(2)
	v_add_co_u32_e32 v9, vcc, 1, v2
	v_addc_co_u32_e32 v10, vcc, 0, v3, vcc
	v_add_co_u32_e32 v0, vcc, s6, v9
	v_addc_co_u32_e32 v1, vcc, v10, v1, vcc
	v_cmp_eq_u64_e32 vcc, 0, v[0:1]
	v_cndmask_b32_e32 v1, v1, v10, vcc
	v_cndmask_b32_e32 v0, v0, v9, vcc
	v_and_b32_e32 v3, v1, v3
	v_and_b32_e32 v2, v0, v2
	v_mul_lo_u32 v3, v3, 24
	v_mul_hi_u32 v9, v2, 24
	v_mul_lo_u32 v10, v2, 24
	s_waitcnt vmcnt(1)
	v_mov_b32_e32 v2, v7
	v_add_u32_e32 v3, v9, v3
	s_waitcnt vmcnt(0)
	v_add_co_u32_e32 v4, vcc, v4, v10
	v_addc_co_u32_e32 v5, vcc, v5, v3, vcc
	global_store_dwordx2 v[4:5], v[7:8], off
	v_mov_b32_e32 v3, v8
	s_waitcnt vmcnt(0)
	global_atomic_cmpswap_x2 v[2:3], v6, v[0:3], s[36:37] offset:24 glc
	s_waitcnt vmcnt(0)
	v_cmp_ne_u64_e32 vcc, v[2:3], v[7:8]
	s_and_b64 exec, exec, vcc
	s_cbranch_execz .LBB3_1727
.LBB3_1726:                             ; =>This Inner Loop Header: Depth=1
	s_sleep 1
	global_store_dwordx2 v[4:5], v[2:3], off
	s_waitcnt vmcnt(0)
	global_atomic_cmpswap_x2 v[7:8], v6, v[0:3], s[36:37] offset:24 glc
	s_waitcnt vmcnt(0)
	v_cmp_eq_u64_e32 vcc, v[7:8], v[2:3]
	v_mov_b32_e32 v2, v7
	s_or_b64 s[4:5], vcc, s[4:5]
	v_mov_b32_e32 v3, v8
	s_andn2_b64 exec, exec, s[4:5]
	s_cbranch_execnz .LBB3_1726
.LBB3_1727:
	s_or_b64 exec, exec, s[10:11]
	flat_load_dwordx2 v[0:1], v[36:37]
	s_waitcnt vmcnt(0) lgkmcnt(0)
	flat_load_dword v2, v[0:1]
	s_waitcnt vmcnt(0) lgkmcnt(0)
	v_add_u32_e32 v2, 1, v2
	flat_store_dword v[0:1], v2
.LBB3_1728:
	s_or_b64 exec, exec, s[34:35]
	s_getpc_b64 s[4:5]
	s_add_u32 s4, s4, _ZN8migraphx4test4failEv@rel32@lo+4
	s_addc_u32 s5, s5, _ZN8migraphx4test4failEv@rel32@hi+12
	s_swappc_b64 s[30:31], s[4:5]
	; divergent unreachable
.LBB3_1729:
	s_or_b64 exec, exec, s[28:29]
	v_readlane_b32 s30, v40, 0
	v_readlane_b32 s31, v40, 1
	;; [unrolled: 1-line block ×3, first 2 shown]
	s_or_saveexec_b64 s[6:7], -1
	buffer_load_dword v40, off, s[0:3], s33 ; 4-byte Folded Reload
	s_mov_b64 exec, s[6:7]
	s_addk_i32 s32, 0xfc00
	s_mov_b32 s33, s4
	s_waitcnt vmcnt(0)
	s_setpc_b64 s[30:31]
.Lfunc_end3:
	.size	_ZN8migraphx4test12test_manager6failedINS0_14lhs_expressionIbNS0_3nopEEEPFvvEEEvRKT_PKcSC_SC_iT0_, .Lfunc_end3-_ZN8migraphx4test12test_manager6failedINS0_14lhs_expressionIbNS0_3nopEEEPFvvEEEvRKT_PKcSC_SC_iT0_
                                        ; -- End function
	.section	.AMDGPU.csdata,"",@progbits
; Function info:
; codeLenInByte = 59688
; NumSgprs: 50
; NumVgprs: 52
; ScratchSize: 16
; MemoryBound: 0
	.text
	.p2align	2                               ; -- Begin function _ZN8migraphx4testlsIKNS_13basic_printerIZNS_4coutEvEUlT_E_EEEERS3_S7_RKNS0_10expressionINS0_14lhs_expressionIRcNS0_3nopEEEcNS0_5equalEEE
	.type	_ZN8migraphx4testlsIKNS_13basic_printerIZNS_4coutEvEUlT_E_EEEERS3_S7_RKNS0_10expressionINS0_14lhs_expressionIRcNS0_3nopEEEcNS0_5equalEEE,@function
_ZN8migraphx4testlsIKNS_13basic_printerIZNS_4coutEvEUlT_E_EEEERS3_S7_RKNS0_10expressionINS0_14lhs_expressionIRcNS0_3nopEEEcNS0_5equalEEE: ; @_ZN8migraphx4testlsIKNS_13basic_printerIZNS_4coutEvEUlT_E_EEEERS3_S7_RKNS0_10expressionINS0_14lhs_expressionIRcNS0_3nopEEEcNS0_5equalEEE
; %bb.0:
	s_waitcnt vmcnt(0) expcnt(0) lgkmcnt(0)
	s_mov_b32 s23, s33
	s_mov_b32 s33, s32
	s_or_saveexec_b64 s[4:5], -1
	buffer_store_dword v40, off, s[0:3], s33 ; 4-byte Folded Spill
	s_mov_b64 exec, s[4:5]
	v_writelane_b32 v40, s30, 0
	s_addk_i32 s32, 0x400
	v_writelane_b32 v40, s31, 1
	v_mov_b32_e32 v37, v1
	v_mov_b32_e32 v36, v0
	flat_load_dwordx2 v[0:1], v[36:37]
	s_load_dwordx2 s[26:27], s[8:9], 0x50
	v_mov_b32_e32 v5, 0
	s_mov_b64 s[24:25], s[8:9]
	v_mov_b32_e32 v6, 0
	s_waitcnt vmcnt(0) lgkmcnt(0)
	flat_load_ubyte v31, v[0:1]
	v_mbcnt_lo_u32_b32 v0, -1, 0
	v_mbcnt_hi_u32_b32 v39, -1, v0
	v_readfirstlane_b32 s4, v39
	v_cmp_eq_u32_e64 s[4:5], s4, v39
	s_and_saveexec_b64 s[6:7], s[4:5]
	s_cbranch_execz .LBB4_6
; %bb.1:
	v_mov_b32_e32 v0, 0
	global_load_dwordx2 v[3:4], v0, s[26:27] offset:24 glc
	s_waitcnt vmcnt(0)
	buffer_wbinvl1_vol
	global_load_dwordx2 v[1:2], v0, s[26:27] offset:40
	global_load_dwordx2 v[5:6], v0, s[26:27]
	s_waitcnt vmcnt(0)
	v_and_b32_e32 v1, v1, v3
	v_and_b32_e32 v2, v2, v4
	v_mul_lo_u32 v2, v2, 24
	v_mul_hi_u32 v7, v1, 24
	v_mul_lo_u32 v1, v1, 24
	v_add_u32_e32 v2, v7, v2
	v_add_co_u32_e32 v1, vcc, v5, v1
	v_addc_co_u32_e32 v2, vcc, v6, v2, vcc
	global_load_dwordx2 v[1:2], v[1:2], off glc
	s_waitcnt vmcnt(0)
	global_atomic_cmpswap_x2 v[5:6], v0, v[1:4], s[26:27] offset:24 glc
	s_waitcnt vmcnt(0)
	buffer_wbinvl1_vol
	v_cmp_ne_u64_e32 vcc, v[5:6], v[3:4]
	s_and_saveexec_b64 s[10:11], vcc
	s_cbranch_execz .LBB4_5
; %bb.2:
	s_mov_b64 s[12:13], 0
.LBB4_3:                                ; =>This Inner Loop Header: Depth=1
	s_sleep 1
	global_load_dwordx2 v[1:2], v0, s[26:27] offset:40
	global_load_dwordx2 v[7:8], v0, s[26:27]
	v_mov_b32_e32 v3, v5
	v_mov_b32_e32 v4, v6
	s_waitcnt vmcnt(0)
	v_and_b32_e32 v1, v1, v3
	v_mad_u64_u32 v[5:6], s[14:15], v1, 24, v[7:8]
	v_and_b32_e32 v2, v2, v4
	v_mov_b32_e32 v1, v6
	v_mad_u64_u32 v[1:2], s[14:15], v2, 24, v[1:2]
	v_mov_b32_e32 v6, v1
	global_load_dwordx2 v[1:2], v[5:6], off glc
	s_waitcnt vmcnt(0)
	global_atomic_cmpswap_x2 v[5:6], v0, v[1:4], s[26:27] offset:24 glc
	s_waitcnt vmcnt(0)
	buffer_wbinvl1_vol
	v_cmp_eq_u64_e32 vcc, v[5:6], v[3:4]
	s_or_b64 s[12:13], vcc, s[12:13]
	s_andn2_b64 exec, exec, s[12:13]
	s_cbranch_execnz .LBB4_3
; %bb.4:
	s_or_b64 exec, exec, s[12:13]
.LBB4_5:
	s_or_b64 exec, exec, s[10:11]
.LBB4_6:
	s_or_b64 exec, exec, s[6:7]
	v_mov_b32_e32 v4, 0
	global_load_dwordx2 v[7:8], v4, s[26:27] offset:40
	global_load_dwordx4 v[0:3], v4, s[26:27]
	v_readfirstlane_b32 s6, v5
	v_readfirstlane_b32 s7, v6
	s_mov_b64 s[10:11], exec
	s_waitcnt vmcnt(0)
	v_readfirstlane_b32 s12, v7
	v_readfirstlane_b32 s13, v8
	s_and_b64 s[12:13], s[6:7], s[12:13]
	s_mul_i32 s14, s13, 24
	s_mul_hi_u32 s15, s12, 24
	s_mul_i32 s16, s12, 24
	s_add_i32 s14, s15, s14
	v_mov_b32_e32 v5, s14
	v_add_co_u32_e32 v7, vcc, s16, v0
	v_addc_co_u32_e32 v8, vcc, v1, v5, vcc
	s_and_saveexec_b64 s[14:15], s[4:5]
	s_cbranch_execz .LBB4_8
; %bb.7:
	v_mov_b32_e32 v9, s10
	v_mov_b32_e32 v10, s11
	;; [unrolled: 1-line block ×4, first 2 shown]
	global_store_dwordx4 v[7:8], v[9:12], off offset:8
.LBB4_8:
	s_or_b64 exec, exec, s[14:15]
	s_lshl_b64 s[10:11], s[12:13], 12
	v_mov_b32_e32 v5, s11
	v_add_co_u32_e32 v2, vcc, s10, v2
	v_addc_co_u32_e32 v11, vcc, v3, v5, vcc
	s_mov_b32 s12, 0
	v_lshlrev_b32_e32 v38, 6, v39
	v_mov_b32_e32 v3, 33
	v_mov_b32_e32 v5, v4
	;; [unrolled: 1-line block ×3, first 2 shown]
	v_readfirstlane_b32 s10, v2
	v_readfirstlane_b32 s11, v11
	v_add_co_u32_e32 v9, vcc, v2, v38
	s_mov_b32 s13, s12
	s_mov_b32 s14, s12
	;; [unrolled: 1-line block ×3, first 2 shown]
	s_nop 0
	global_store_dwordx4 v38, v[3:6], s[10:11]
	v_mov_b32_e32 v2, s12
	v_addc_co_u32_e32 v10, vcc, 0, v11, vcc
	v_mov_b32_e32 v3, s13
	v_mov_b32_e32 v4, s14
	;; [unrolled: 1-line block ×3, first 2 shown]
	global_store_dwordx4 v38, v[2:5], s[10:11] offset:16
	global_store_dwordx4 v38, v[2:5], s[10:11] offset:32
	;; [unrolled: 1-line block ×3, first 2 shown]
	s_and_saveexec_b64 s[10:11], s[4:5]
	s_cbranch_execz .LBB4_16
; %bb.9:
	v_mov_b32_e32 v6, 0
	global_load_dwordx2 v[13:14], v6, s[26:27] offset:32 glc
	global_load_dwordx2 v[2:3], v6, s[26:27] offset:40
	v_mov_b32_e32 v11, s6
	v_mov_b32_e32 v12, s7
	s_waitcnt vmcnt(0)
	v_and_b32_e32 v2, s6, v2
	v_and_b32_e32 v3, s7, v3
	v_mul_lo_u32 v3, v3, 24
	v_mul_hi_u32 v4, v2, 24
	v_mul_lo_u32 v2, v2, 24
	v_add_u32_e32 v3, v4, v3
	v_add_co_u32_e32 v4, vcc, v0, v2
	v_addc_co_u32_e32 v5, vcc, v1, v3, vcc
	global_store_dwordx2 v[4:5], v[13:14], off
	s_waitcnt vmcnt(0)
	global_atomic_cmpswap_x2 v[2:3], v6, v[11:14], s[26:27] offset:32 glc
	s_waitcnt vmcnt(0)
	v_cmp_ne_u64_e32 vcc, v[2:3], v[13:14]
	s_and_saveexec_b64 s[12:13], vcc
	s_cbranch_execz .LBB4_12
; %bb.10:
	s_mov_b64 s[14:15], 0
.LBB4_11:                               ; =>This Inner Loop Header: Depth=1
	s_sleep 1
	global_store_dwordx2 v[4:5], v[2:3], off
	v_mov_b32_e32 v0, s6
	v_mov_b32_e32 v1, s7
	s_waitcnt vmcnt(0)
	global_atomic_cmpswap_x2 v[0:1], v6, v[0:3], s[26:27] offset:32 glc
	s_waitcnt vmcnt(0)
	v_cmp_eq_u64_e32 vcc, v[0:1], v[2:3]
	v_mov_b32_e32 v3, v1
	s_or_b64 s[14:15], vcc, s[14:15]
	v_mov_b32_e32 v2, v0
	s_andn2_b64 exec, exec, s[14:15]
	s_cbranch_execnz .LBB4_11
.LBB4_12:
	s_or_b64 exec, exec, s[12:13]
	v_mov_b32_e32 v3, 0
	global_load_dwordx2 v[0:1], v3, s[26:27] offset:16
	s_mov_b64 s[12:13], exec
	v_mbcnt_lo_u32_b32 v2, s12, 0
	v_mbcnt_hi_u32_b32 v2, s13, v2
	v_cmp_eq_u32_e32 vcc, 0, v2
	s_and_saveexec_b64 s[14:15], vcc
	s_cbranch_execz .LBB4_14
; %bb.13:
	s_bcnt1_i32_b64 s12, s[12:13]
	v_mov_b32_e32 v2, s12
	s_waitcnt vmcnt(0)
	global_atomic_add_x2 v[0:1], v[2:3], off offset:8
.LBB4_14:
	s_or_b64 exec, exec, s[14:15]
	s_waitcnt vmcnt(0)
	global_load_dwordx2 v[2:3], v[0:1], off offset:16
	s_waitcnt vmcnt(0)
	v_cmp_eq_u64_e32 vcc, 0, v[2:3]
	s_cbranch_vccnz .LBB4_16
; %bb.15:
	global_load_dword v0, v[0:1], off offset:24
	v_mov_b32_e32 v1, 0
	s_waitcnt vmcnt(0)
	global_store_dwordx2 v[2:3], v[0:1], off
	v_and_b32_e32 v0, 0xffffff, v0
	v_readfirstlane_b32 m0, v0
	s_sendmsg sendmsg(MSG_INTERRUPT)
.LBB4_16:
	s_or_b64 exec, exec, s[10:11]
	s_branch .LBB4_20
.LBB4_17:                               ;   in Loop: Header=BB4_20 Depth=1
	s_or_b64 exec, exec, s[10:11]
	v_readfirstlane_b32 s10, v0
	s_cmp_eq_u32 s10, 0
	s_cbranch_scc1 .LBB4_19
; %bb.18:                               ;   in Loop: Header=BB4_20 Depth=1
	s_sleep 1
	s_cbranch_execnz .LBB4_20
	s_branch .LBB4_22
.LBB4_19:
	s_branch .LBB4_22
.LBB4_20:                               ; =>This Inner Loop Header: Depth=1
	v_mov_b32_e32 v0, 1
	s_and_saveexec_b64 s[10:11], s[4:5]
	s_cbranch_execz .LBB4_17
; %bb.21:                               ;   in Loop: Header=BB4_20 Depth=1
	global_load_dword v0, v[7:8], off offset:20 glc
	s_waitcnt vmcnt(0)
	buffer_wbinvl1_vol
	v_and_b32_e32 v0, 1, v0
	s_branch .LBB4_17
.LBB4_22:
	global_load_dwordx2 v[0:1], v[9:10], off
	s_and_saveexec_b64 s[10:11], s[4:5]
	s_cbranch_execz .LBB4_25
; %bb.23:
	v_mov_b32_e32 v8, 0
	global_load_dwordx2 v[4:5], v8, s[26:27] offset:40
	global_load_dwordx2 v[9:10], v8, s[26:27] offset:24 glc
	global_load_dwordx2 v[6:7], v8, s[26:27]
	v_mov_b32_e32 v3, s7
	s_mov_b64 s[4:5], 0
	s_waitcnt vmcnt(0)
	v_add_co_u32_e32 v11, vcc, 1, v4
	v_addc_co_u32_e32 v12, vcc, 0, v5, vcc
	v_add_co_u32_e32 v2, vcc, s6, v11
	v_addc_co_u32_e32 v3, vcc, v12, v3, vcc
	v_cmp_eq_u64_e32 vcc, 0, v[2:3]
	v_cndmask_b32_e32 v3, v3, v12, vcc
	v_cndmask_b32_e32 v2, v2, v11, vcc
	v_and_b32_e32 v5, v3, v5
	v_and_b32_e32 v4, v2, v4
	v_mul_lo_u32 v5, v5, 24
	v_mul_hi_u32 v11, v4, 24
	v_mul_lo_u32 v12, v4, 24
	v_mov_b32_e32 v4, v9
	v_add_u32_e32 v5, v11, v5
	v_add_co_u32_e32 v6, vcc, v6, v12
	v_addc_co_u32_e32 v7, vcc, v7, v5, vcc
	global_store_dwordx2 v[6:7], v[9:10], off
	v_mov_b32_e32 v5, v10
	s_waitcnt vmcnt(0)
	global_atomic_cmpswap_x2 v[4:5], v8, v[2:5], s[26:27] offset:24 glc
	s_waitcnt vmcnt(0)
	v_cmp_ne_u64_e32 vcc, v[4:5], v[9:10]
	s_and_b64 exec, exec, vcc
	s_cbranch_execz .LBB4_25
.LBB4_24:                               ; =>This Inner Loop Header: Depth=1
	s_sleep 1
	global_store_dwordx2 v[6:7], v[4:5], off
	s_waitcnt vmcnt(0)
	global_atomic_cmpswap_x2 v[9:10], v8, v[2:5], s[26:27] offset:24 glc
	s_waitcnt vmcnt(0)
	v_cmp_eq_u64_e32 vcc, v[9:10], v[4:5]
	v_mov_b32_e32 v4, v9
	s_or_b64 s[4:5], vcc, s[4:5]
	v_mov_b32_e32 v5, v10
	s_andn2_b64 exec, exec, s[4:5]
	s_cbranch_execnz .LBB4_24
.LBB4_25:
	s_or_b64 exec, exec, s[10:11]
	s_getpc_b64 s[6:7]
	s_add_u32 s6, s6, .str.8@rel32@lo+4
	s_addc_u32 s7, s7, .str.8@rel32@hi+12
	s_cmp_lg_u64 s[6:7], 0
	s_cselect_b64 s[28:29], -1, 0
	s_and_b64 vcc, exec, s[28:29]
	s_cbranch_vccz .LBB4_110
; %bb.26:
	s_waitcnt vmcnt(0)
	v_and_b32_e32 v32, 2, v0
	v_mov_b32_e32 v28, 0
	v_and_b32_e32 v2, -3, v0
	v_mov_b32_e32 v3, v1
	s_mov_b64 s[10:11], 3
	v_mov_b32_e32 v6, 2
	v_mov_b32_e32 v7, 1
	s_branch .LBB4_28
.LBB4_27:                               ;   in Loop: Header=BB4_28 Depth=1
	s_or_b64 exec, exec, s[16:17]
	s_sub_u32 s10, s10, s12
	s_subb_u32 s11, s11, s13
	s_add_u32 s6, s6, s12
	s_addc_u32 s7, s7, s13
	s_cmp_lg_u64 s[10:11], 0
	s_cbranch_scc0 .LBB4_109
.LBB4_28:                               ; =>This Loop Header: Depth=1
                                        ;     Child Loop BB4_31 Depth 2
                                        ;     Child Loop BB4_38 Depth 2
	;; [unrolled: 1-line block ×11, first 2 shown]
	v_cmp_lt_u64_e64 s[4:5], s[10:11], 56
	v_cmp_gt_u64_e64 s[14:15], s[10:11], 7
	s_and_b64 s[4:5], s[4:5], exec
	s_cselect_b32 s13, s11, 0
	s_cselect_b32 s12, s10, 56
	s_and_b64 vcc, exec, s[14:15]
	s_cbranch_vccnz .LBB4_33
; %bb.29:                               ;   in Loop: Header=BB4_28 Depth=1
	v_mov_b32_e32 v10, 0
	s_cmp_eq_u64 s[10:11], 0
	v_mov_b32_e32 v11, 0
	s_mov_b64 s[4:5], 0
	s_cbranch_scc1 .LBB4_32
; %bb.30:                               ;   in Loop: Header=BB4_28 Depth=1
	v_mov_b32_e32 v10, 0
	s_lshl_b64 s[14:15], s[12:13], 3
	s_mov_b64 s[16:17], 0
	v_mov_b32_e32 v11, 0
	s_mov_b64 s[18:19], s[6:7]
.LBB4_31:                               ;   Parent Loop BB4_28 Depth=1
                                        ; =>  This Inner Loop Header: Depth=2
	global_load_ubyte v4, v28, s[18:19]
	s_waitcnt vmcnt(0)
	v_and_b32_e32 v27, 0xffff, v4
	v_lshlrev_b64 v[4:5], s16, v[27:28]
	s_add_u32 s16, s16, 8
	s_addc_u32 s17, s17, 0
	s_add_u32 s18, s18, 1
	s_addc_u32 s19, s19, 0
	v_or_b32_e32 v10, v4, v10
	s_cmp_lg_u32 s14, s16
	v_or_b32_e32 v11, v5, v11
	s_cbranch_scc1 .LBB4_31
.LBB4_32:                               ;   in Loop: Header=BB4_28 Depth=1
	s_mov_b32 s18, 0
	s_andn2_b64 vcc, exec, s[4:5]
	s_mov_b64 s[4:5], s[6:7]
	s_cbranch_vccz .LBB4_34
	s_branch .LBB4_35
.LBB4_33:                               ;   in Loop: Header=BB4_28 Depth=1
                                        ; implicit-def: $vgpr10_vgpr11
                                        ; implicit-def: $sgpr18
	s_mov_b64 s[4:5], s[6:7]
.LBB4_34:                               ;   in Loop: Header=BB4_28 Depth=1
	global_load_dwordx2 v[10:11], v28, s[6:7]
	s_add_i32 s18, s12, -8
	s_add_u32 s4, s6, 8
	s_addc_u32 s5, s7, 0
.LBB4_35:                               ;   in Loop: Header=BB4_28 Depth=1
	s_cmp_gt_u32 s18, 7
	s_cbranch_scc1 .LBB4_39
; %bb.36:                               ;   in Loop: Header=BB4_28 Depth=1
	s_cmp_eq_u32 s18, 0
	s_cbranch_scc1 .LBB4_40
; %bb.37:                               ;   in Loop: Header=BB4_28 Depth=1
	v_mov_b32_e32 v12, 0
	s_mov_b64 s[14:15], 0
	v_mov_b32_e32 v13, 0
	s_mov_b64 s[16:17], 0
.LBB4_38:                               ;   Parent Loop BB4_28 Depth=1
                                        ; =>  This Inner Loop Header: Depth=2
	s_add_u32 s20, s4, s16
	s_addc_u32 s21, s5, s17
	global_load_ubyte v4, v28, s[20:21]
	s_add_u32 s16, s16, 1
	s_addc_u32 s17, s17, 0
	s_waitcnt vmcnt(0)
	v_and_b32_e32 v27, 0xffff, v4
	v_lshlrev_b64 v[4:5], s14, v[27:28]
	s_add_u32 s14, s14, 8
	s_addc_u32 s15, s15, 0
	v_or_b32_e32 v12, v4, v12
	s_cmp_lg_u32 s18, s16
	v_or_b32_e32 v13, v5, v13
	s_cbranch_scc1 .LBB4_38
	s_branch .LBB4_41
.LBB4_39:                               ;   in Loop: Header=BB4_28 Depth=1
                                        ; implicit-def: $vgpr12_vgpr13
                                        ; implicit-def: $sgpr19
	s_branch .LBB4_42
.LBB4_40:                               ;   in Loop: Header=BB4_28 Depth=1
	v_mov_b32_e32 v12, 0
	v_mov_b32_e32 v13, 0
.LBB4_41:                               ;   in Loop: Header=BB4_28 Depth=1
	s_mov_b32 s19, 0
	s_cbranch_execnz .LBB4_43
.LBB4_42:                               ;   in Loop: Header=BB4_28 Depth=1
	global_load_dwordx2 v[12:13], v28, s[4:5]
	s_add_i32 s19, s18, -8
	s_add_u32 s4, s4, 8
	s_addc_u32 s5, s5, 0
.LBB4_43:                               ;   in Loop: Header=BB4_28 Depth=1
	s_cmp_gt_u32 s19, 7
	s_cbranch_scc1 .LBB4_47
; %bb.44:                               ;   in Loop: Header=BB4_28 Depth=1
	s_cmp_eq_u32 s19, 0
	s_cbranch_scc1 .LBB4_48
; %bb.45:                               ;   in Loop: Header=BB4_28 Depth=1
	v_mov_b32_e32 v14, 0
	s_mov_b64 s[14:15], 0
	v_mov_b32_e32 v15, 0
	s_mov_b64 s[16:17], 0
.LBB4_46:                               ;   Parent Loop BB4_28 Depth=1
                                        ; =>  This Inner Loop Header: Depth=2
	s_add_u32 s20, s4, s16
	s_addc_u32 s21, s5, s17
	global_load_ubyte v4, v28, s[20:21]
	s_add_u32 s16, s16, 1
	s_addc_u32 s17, s17, 0
	s_waitcnt vmcnt(0)
	v_and_b32_e32 v27, 0xffff, v4
	v_lshlrev_b64 v[4:5], s14, v[27:28]
	s_add_u32 s14, s14, 8
	s_addc_u32 s15, s15, 0
	v_or_b32_e32 v14, v4, v14
	s_cmp_lg_u32 s19, s16
	v_or_b32_e32 v15, v5, v15
	s_cbranch_scc1 .LBB4_46
	s_branch .LBB4_49
.LBB4_47:                               ;   in Loop: Header=BB4_28 Depth=1
                                        ; implicit-def: $sgpr18
	s_branch .LBB4_50
.LBB4_48:                               ;   in Loop: Header=BB4_28 Depth=1
	v_mov_b32_e32 v14, 0
	v_mov_b32_e32 v15, 0
.LBB4_49:                               ;   in Loop: Header=BB4_28 Depth=1
	s_mov_b32 s18, 0
	s_cbranch_execnz .LBB4_51
.LBB4_50:                               ;   in Loop: Header=BB4_28 Depth=1
	global_load_dwordx2 v[14:15], v28, s[4:5]
	s_add_i32 s18, s19, -8
	s_add_u32 s4, s4, 8
	s_addc_u32 s5, s5, 0
.LBB4_51:                               ;   in Loop: Header=BB4_28 Depth=1
	s_cmp_gt_u32 s18, 7
	s_cbranch_scc1 .LBB4_55
; %bb.52:                               ;   in Loop: Header=BB4_28 Depth=1
	s_cmp_eq_u32 s18, 0
	s_cbranch_scc1 .LBB4_56
; %bb.53:                               ;   in Loop: Header=BB4_28 Depth=1
	v_mov_b32_e32 v16, 0
	s_mov_b64 s[14:15], 0
	v_mov_b32_e32 v17, 0
	s_mov_b64 s[16:17], 0
.LBB4_54:                               ;   Parent Loop BB4_28 Depth=1
                                        ; =>  This Inner Loop Header: Depth=2
	s_add_u32 s20, s4, s16
	s_addc_u32 s21, s5, s17
	global_load_ubyte v4, v28, s[20:21]
	s_add_u32 s16, s16, 1
	s_addc_u32 s17, s17, 0
	s_waitcnt vmcnt(0)
	v_and_b32_e32 v27, 0xffff, v4
	v_lshlrev_b64 v[4:5], s14, v[27:28]
	s_add_u32 s14, s14, 8
	s_addc_u32 s15, s15, 0
	v_or_b32_e32 v16, v4, v16
	s_cmp_lg_u32 s18, s16
	v_or_b32_e32 v17, v5, v17
	s_cbranch_scc1 .LBB4_54
	s_branch .LBB4_57
.LBB4_55:                               ;   in Loop: Header=BB4_28 Depth=1
                                        ; implicit-def: $vgpr16_vgpr17
                                        ; implicit-def: $sgpr19
	s_branch .LBB4_58
.LBB4_56:                               ;   in Loop: Header=BB4_28 Depth=1
	v_mov_b32_e32 v16, 0
	v_mov_b32_e32 v17, 0
.LBB4_57:                               ;   in Loop: Header=BB4_28 Depth=1
	s_mov_b32 s19, 0
	s_cbranch_execnz .LBB4_59
.LBB4_58:                               ;   in Loop: Header=BB4_28 Depth=1
	global_load_dwordx2 v[16:17], v28, s[4:5]
	s_add_i32 s19, s18, -8
	s_add_u32 s4, s4, 8
	s_addc_u32 s5, s5, 0
.LBB4_59:                               ;   in Loop: Header=BB4_28 Depth=1
	s_cmp_gt_u32 s19, 7
	s_cbranch_scc1 .LBB4_63
; %bb.60:                               ;   in Loop: Header=BB4_28 Depth=1
	s_cmp_eq_u32 s19, 0
	s_cbranch_scc1 .LBB4_64
; %bb.61:                               ;   in Loop: Header=BB4_28 Depth=1
	v_mov_b32_e32 v18, 0
	s_mov_b64 s[14:15], 0
	v_mov_b32_e32 v19, 0
	s_mov_b64 s[16:17], 0
.LBB4_62:                               ;   Parent Loop BB4_28 Depth=1
                                        ; =>  This Inner Loop Header: Depth=2
	s_add_u32 s20, s4, s16
	s_addc_u32 s21, s5, s17
	global_load_ubyte v4, v28, s[20:21]
	s_add_u32 s16, s16, 1
	s_addc_u32 s17, s17, 0
	s_waitcnt vmcnt(0)
	v_and_b32_e32 v27, 0xffff, v4
	v_lshlrev_b64 v[4:5], s14, v[27:28]
	s_add_u32 s14, s14, 8
	s_addc_u32 s15, s15, 0
	v_or_b32_e32 v18, v4, v18
	s_cmp_lg_u32 s19, s16
	v_or_b32_e32 v19, v5, v19
	s_cbranch_scc1 .LBB4_62
	s_branch .LBB4_65
.LBB4_63:                               ;   in Loop: Header=BB4_28 Depth=1
                                        ; implicit-def: $sgpr18
	s_branch .LBB4_66
.LBB4_64:                               ;   in Loop: Header=BB4_28 Depth=1
	v_mov_b32_e32 v18, 0
	v_mov_b32_e32 v19, 0
.LBB4_65:                               ;   in Loop: Header=BB4_28 Depth=1
	s_mov_b32 s18, 0
	s_cbranch_execnz .LBB4_67
.LBB4_66:                               ;   in Loop: Header=BB4_28 Depth=1
	global_load_dwordx2 v[18:19], v28, s[4:5]
	s_add_i32 s18, s19, -8
	s_add_u32 s4, s4, 8
	s_addc_u32 s5, s5, 0
.LBB4_67:                               ;   in Loop: Header=BB4_28 Depth=1
	s_cmp_gt_u32 s18, 7
	s_cbranch_scc1 .LBB4_71
; %bb.68:                               ;   in Loop: Header=BB4_28 Depth=1
	s_cmp_eq_u32 s18, 0
	s_cbranch_scc1 .LBB4_72
; %bb.69:                               ;   in Loop: Header=BB4_28 Depth=1
	v_mov_b32_e32 v20, 0
	s_mov_b64 s[14:15], 0
	v_mov_b32_e32 v21, 0
	s_mov_b64 s[16:17], 0
.LBB4_70:                               ;   Parent Loop BB4_28 Depth=1
                                        ; =>  This Inner Loop Header: Depth=2
	s_add_u32 s20, s4, s16
	s_addc_u32 s21, s5, s17
	global_load_ubyte v4, v28, s[20:21]
	s_add_u32 s16, s16, 1
	s_addc_u32 s17, s17, 0
	s_waitcnt vmcnt(0)
	v_and_b32_e32 v27, 0xffff, v4
	v_lshlrev_b64 v[4:5], s14, v[27:28]
	s_add_u32 s14, s14, 8
	s_addc_u32 s15, s15, 0
	v_or_b32_e32 v20, v4, v20
	s_cmp_lg_u32 s18, s16
	v_or_b32_e32 v21, v5, v21
	s_cbranch_scc1 .LBB4_70
	s_branch .LBB4_73
.LBB4_71:                               ;   in Loop: Header=BB4_28 Depth=1
                                        ; implicit-def: $vgpr20_vgpr21
                                        ; implicit-def: $sgpr19
	s_branch .LBB4_74
.LBB4_72:                               ;   in Loop: Header=BB4_28 Depth=1
	v_mov_b32_e32 v20, 0
	v_mov_b32_e32 v21, 0
.LBB4_73:                               ;   in Loop: Header=BB4_28 Depth=1
	s_mov_b32 s19, 0
	s_cbranch_execnz .LBB4_75
.LBB4_74:                               ;   in Loop: Header=BB4_28 Depth=1
	global_load_dwordx2 v[20:21], v28, s[4:5]
	s_add_i32 s19, s18, -8
	s_add_u32 s4, s4, 8
	s_addc_u32 s5, s5, 0
.LBB4_75:                               ;   in Loop: Header=BB4_28 Depth=1
	s_cmp_gt_u32 s19, 7
	s_cbranch_scc1 .LBB4_79
; %bb.76:                               ;   in Loop: Header=BB4_28 Depth=1
	s_cmp_eq_u32 s19, 0
	s_cbranch_scc1 .LBB4_80
; %bb.77:                               ;   in Loop: Header=BB4_28 Depth=1
	v_mov_b32_e32 v22, 0
	s_mov_b64 s[14:15], 0
	v_mov_b32_e32 v23, 0
	s_mov_b64 s[16:17], s[4:5]
.LBB4_78:                               ;   Parent Loop BB4_28 Depth=1
                                        ; =>  This Inner Loop Header: Depth=2
	global_load_ubyte v4, v28, s[16:17]
	s_add_i32 s19, s19, -1
	s_waitcnt vmcnt(0)
	v_and_b32_e32 v27, 0xffff, v4
	v_lshlrev_b64 v[4:5], s14, v[27:28]
	s_add_u32 s14, s14, 8
	s_addc_u32 s15, s15, 0
	s_add_u32 s16, s16, 1
	s_addc_u32 s17, s17, 0
	v_or_b32_e32 v22, v4, v22
	s_cmp_lg_u32 s19, 0
	v_or_b32_e32 v23, v5, v23
	s_cbranch_scc1 .LBB4_78
	s_branch .LBB4_81
.LBB4_79:                               ;   in Loop: Header=BB4_28 Depth=1
	s_branch .LBB4_82
.LBB4_80:                               ;   in Loop: Header=BB4_28 Depth=1
	v_mov_b32_e32 v22, 0
	v_mov_b32_e32 v23, 0
.LBB4_81:                               ;   in Loop: Header=BB4_28 Depth=1
	s_cbranch_execnz .LBB4_83
.LBB4_82:                               ;   in Loop: Header=BB4_28 Depth=1
	global_load_dwordx2 v[22:23], v28, s[4:5]
.LBB4_83:                               ;   in Loop: Header=BB4_28 Depth=1
	v_readfirstlane_b32 s4, v39
	s_waitcnt vmcnt(0)
	v_mov_b32_e32 v4, 0
	v_mov_b32_e32 v5, 0
	v_cmp_eq_u32_e64 s[4:5], s4, v39
	s_and_saveexec_b64 s[14:15], s[4:5]
	s_cbranch_execz .LBB4_89
; %bb.84:                               ;   in Loop: Header=BB4_28 Depth=1
	global_load_dwordx2 v[26:27], v28, s[26:27] offset:24 glc
	s_waitcnt vmcnt(0)
	buffer_wbinvl1_vol
	global_load_dwordx2 v[4:5], v28, s[26:27] offset:40
	global_load_dwordx2 v[8:9], v28, s[26:27]
	s_waitcnt vmcnt(0)
	v_and_b32_e32 v4, v4, v26
	v_and_b32_e32 v5, v5, v27
	v_mul_lo_u32 v5, v5, 24
	v_mul_hi_u32 v24, v4, 24
	v_mul_lo_u32 v4, v4, 24
	v_add_u32_e32 v5, v24, v5
	v_add_co_u32_e32 v4, vcc, v8, v4
	v_addc_co_u32_e32 v5, vcc, v9, v5, vcc
	global_load_dwordx2 v[24:25], v[4:5], off glc
	s_waitcnt vmcnt(0)
	global_atomic_cmpswap_x2 v[4:5], v28, v[24:27], s[26:27] offset:24 glc
	s_waitcnt vmcnt(0)
	buffer_wbinvl1_vol
	v_cmp_ne_u64_e32 vcc, v[4:5], v[26:27]
	s_and_saveexec_b64 s[16:17], vcc
	s_cbranch_execz .LBB4_88
; %bb.85:                               ;   in Loop: Header=BB4_28 Depth=1
	s_mov_b64 s[18:19], 0
.LBB4_86:                               ;   Parent Loop BB4_28 Depth=1
                                        ; =>  This Inner Loop Header: Depth=2
	s_sleep 1
	global_load_dwordx2 v[8:9], v28, s[26:27] offset:40
	global_load_dwordx2 v[24:25], v28, s[26:27]
	v_mov_b32_e32 v27, v5
	v_mov_b32_e32 v26, v4
	s_waitcnt vmcnt(0)
	v_and_b32_e32 v4, v8, v26
	v_mad_u64_u32 v[4:5], s[20:21], v4, 24, v[24:25]
	v_and_b32_e32 v8, v9, v27
	v_mad_u64_u32 v[8:9], s[20:21], v8, 24, v[5:6]
	v_mov_b32_e32 v5, v8
	global_load_dwordx2 v[24:25], v[4:5], off glc
	s_waitcnt vmcnt(0)
	global_atomic_cmpswap_x2 v[4:5], v28, v[24:27], s[26:27] offset:24 glc
	s_waitcnt vmcnt(0)
	buffer_wbinvl1_vol
	v_cmp_eq_u64_e32 vcc, v[4:5], v[26:27]
	s_or_b64 s[18:19], vcc, s[18:19]
	s_andn2_b64 exec, exec, s[18:19]
	s_cbranch_execnz .LBB4_86
; %bb.87:                               ;   in Loop: Header=BB4_28 Depth=1
	s_or_b64 exec, exec, s[18:19]
.LBB4_88:                               ;   in Loop: Header=BB4_28 Depth=1
	s_or_b64 exec, exec, s[16:17]
.LBB4_89:                               ;   in Loop: Header=BB4_28 Depth=1
	s_or_b64 exec, exec, s[14:15]
	global_load_dwordx2 v[8:9], v28, s[26:27] offset:40
	global_load_dwordx4 v[24:27], v28, s[26:27]
	v_readfirstlane_b32 s14, v4
	v_readfirstlane_b32 s15, v5
	s_mov_b64 s[16:17], exec
	s_waitcnt vmcnt(0)
	v_readfirstlane_b32 s18, v8
	v_readfirstlane_b32 s19, v9
	s_and_b64 s[18:19], s[14:15], s[18:19]
	s_mul_i32 s20, s19, 24
	s_mul_hi_u32 s21, s18, 24
	s_mul_i32 s22, s18, 24
	s_add_i32 s20, s21, s20
	v_mov_b32_e32 v4, s20
	v_add_co_u32_e32 v29, vcc, s22, v24
	v_addc_co_u32_e32 v30, vcc, v25, v4, vcc
	s_and_saveexec_b64 s[20:21], s[4:5]
	s_cbranch_execz .LBB4_91
; %bb.90:                               ;   in Loop: Header=BB4_28 Depth=1
	v_mov_b32_e32 v4, s16
	v_mov_b32_e32 v5, s17
	global_store_dwordx4 v[29:30], v[4:7], off offset:8
.LBB4_91:                               ;   in Loop: Header=BB4_28 Depth=1
	s_or_b64 exec, exec, s[20:21]
	s_lshl_b64 s[16:17], s[18:19], 12
	v_mov_b32_e32 v4, s17
	v_add_co_u32_e32 v26, vcc, s16, v26
	v_addc_co_u32_e32 v33, vcc, v27, v4, vcc
	v_cmp_gt_u64_e64 vcc, s[10:11], 56
	v_or_b32_e32 v5, v2, v32
	s_lshl_b32 s16, s12, 2
	v_cndmask_b32_e32 v2, v5, v2, vcc
	s_add_i32 s16, s16, 28
	v_or_b32_e32 v4, 0, v3
	s_and_b32 s16, s16, 0x1e0
	v_and_b32_e32 v2, 0xffffff1f, v2
	v_cndmask_b32_e32 v9, v4, v3, vcc
	v_or_b32_e32 v8, s16, v2
	v_readfirstlane_b32 s16, v26
	v_readfirstlane_b32 s17, v33
	s_nop 4
	global_store_dwordx4 v38, v[8:11], s[16:17]
	global_store_dwordx4 v38, v[12:15], s[16:17] offset:16
	global_store_dwordx4 v38, v[16:19], s[16:17] offset:32
	;; [unrolled: 1-line block ×3, first 2 shown]
	s_and_saveexec_b64 s[16:17], s[4:5]
	s_cbranch_execz .LBB4_99
; %bb.92:                               ;   in Loop: Header=BB4_28 Depth=1
	global_load_dwordx2 v[12:13], v28, s[26:27] offset:32 glc
	global_load_dwordx2 v[2:3], v28, s[26:27] offset:40
	v_mov_b32_e32 v10, s14
	v_mov_b32_e32 v11, s15
	s_waitcnt vmcnt(0)
	v_readfirstlane_b32 s18, v2
	v_readfirstlane_b32 s19, v3
	s_and_b64 s[18:19], s[18:19], s[14:15]
	s_mul_i32 s19, s19, 24
	s_mul_hi_u32 s20, s18, 24
	s_mul_i32 s18, s18, 24
	s_add_i32 s19, s20, s19
	v_mov_b32_e32 v2, s19
	v_add_co_u32_e32 v8, vcc, s18, v24
	v_addc_co_u32_e32 v9, vcc, v25, v2, vcc
	global_store_dwordx2 v[8:9], v[12:13], off
	s_waitcnt vmcnt(0)
	global_atomic_cmpswap_x2 v[4:5], v28, v[10:13], s[26:27] offset:32 glc
	s_waitcnt vmcnt(0)
	v_cmp_ne_u64_e32 vcc, v[4:5], v[12:13]
	s_and_saveexec_b64 s[18:19], vcc
	s_cbranch_execz .LBB4_95
; %bb.93:                               ;   in Loop: Header=BB4_28 Depth=1
	s_mov_b64 s[20:21], 0
.LBB4_94:                               ;   Parent Loop BB4_28 Depth=1
                                        ; =>  This Inner Loop Header: Depth=2
	s_sleep 1
	global_store_dwordx2 v[8:9], v[4:5], off
	v_mov_b32_e32 v2, s14
	v_mov_b32_e32 v3, s15
	s_waitcnt vmcnt(0)
	global_atomic_cmpswap_x2 v[2:3], v28, v[2:5], s[26:27] offset:32 glc
	s_waitcnt vmcnt(0)
	v_cmp_eq_u64_e32 vcc, v[2:3], v[4:5]
	v_mov_b32_e32 v5, v3
	s_or_b64 s[20:21], vcc, s[20:21]
	v_mov_b32_e32 v4, v2
	s_andn2_b64 exec, exec, s[20:21]
	s_cbranch_execnz .LBB4_94
.LBB4_95:                               ;   in Loop: Header=BB4_28 Depth=1
	s_or_b64 exec, exec, s[18:19]
	global_load_dwordx2 v[2:3], v28, s[26:27] offset:16
	s_mov_b64 s[20:21], exec
	v_mbcnt_lo_u32_b32 v4, s20, 0
	v_mbcnt_hi_u32_b32 v4, s21, v4
	v_cmp_eq_u32_e32 vcc, 0, v4
	s_and_saveexec_b64 s[18:19], vcc
	s_cbranch_execz .LBB4_97
; %bb.96:                               ;   in Loop: Header=BB4_28 Depth=1
	s_bcnt1_i32_b64 s20, s[20:21]
	v_mov_b32_e32 v27, s20
	s_waitcnt vmcnt(0)
	global_atomic_add_x2 v[2:3], v[27:28], off offset:8
.LBB4_97:                               ;   in Loop: Header=BB4_28 Depth=1
	s_or_b64 exec, exec, s[18:19]
	s_waitcnt vmcnt(0)
	global_load_dwordx2 v[4:5], v[2:3], off offset:16
	s_waitcnt vmcnt(0)
	v_cmp_eq_u64_e32 vcc, 0, v[4:5]
	s_cbranch_vccnz .LBB4_99
; %bb.98:                               ;   in Loop: Header=BB4_28 Depth=1
	global_load_dword v27, v[2:3], off offset:24
	s_waitcnt vmcnt(0)
	v_and_b32_e32 v2, 0xffffff, v27
	v_readfirstlane_b32 m0, v2
	global_store_dwordx2 v[4:5], v[27:28], off
	s_sendmsg sendmsg(MSG_INTERRUPT)
.LBB4_99:                               ;   in Loop: Header=BB4_28 Depth=1
	s_or_b64 exec, exec, s[16:17]
	v_add_co_u32_e32 v2, vcc, v26, v38
	v_addc_co_u32_e32 v3, vcc, 0, v33, vcc
	s_branch .LBB4_103
.LBB4_100:                              ;   in Loop: Header=BB4_103 Depth=2
	s_or_b64 exec, exec, s[16:17]
	v_readfirstlane_b32 s16, v4
	s_cmp_eq_u32 s16, 0
	s_cbranch_scc1 .LBB4_102
; %bb.101:                              ;   in Loop: Header=BB4_103 Depth=2
	s_sleep 1
	s_cbranch_execnz .LBB4_103
	s_branch .LBB4_105
.LBB4_102:                              ;   in Loop: Header=BB4_28 Depth=1
	s_branch .LBB4_105
.LBB4_103:                              ;   Parent Loop BB4_28 Depth=1
                                        ; =>  This Inner Loop Header: Depth=2
	v_mov_b32_e32 v4, 1
	s_and_saveexec_b64 s[16:17], s[4:5]
	s_cbranch_execz .LBB4_100
; %bb.104:                              ;   in Loop: Header=BB4_103 Depth=2
	global_load_dword v4, v[29:30], off offset:20 glc
	s_waitcnt vmcnt(0)
	buffer_wbinvl1_vol
	v_and_b32_e32 v4, 1, v4
	s_branch .LBB4_100
.LBB4_105:                              ;   in Loop: Header=BB4_28 Depth=1
	global_load_dwordx4 v[2:5], v[2:3], off
	s_and_saveexec_b64 s[16:17], s[4:5]
	s_cbranch_execz .LBB4_27
; %bb.106:                              ;   in Loop: Header=BB4_28 Depth=1
	global_load_dwordx2 v[4:5], v28, s[26:27] offset:40
	global_load_dwordx2 v[12:13], v28, s[26:27] offset:24 glc
	global_load_dwordx2 v[14:15], v28, s[26:27]
	v_mov_b32_e32 v9, s15
	s_waitcnt vmcnt(0)
	v_add_co_u32_e32 v10, vcc, 1, v4
	v_addc_co_u32_e32 v11, vcc, 0, v5, vcc
	v_add_co_u32_e32 v8, vcc, s14, v10
	v_addc_co_u32_e32 v9, vcc, v11, v9, vcc
	v_cmp_eq_u64_e32 vcc, 0, v[8:9]
	v_cndmask_b32_e32 v9, v9, v11, vcc
	v_cndmask_b32_e32 v8, v8, v10, vcc
	v_and_b32_e32 v5, v9, v5
	v_and_b32_e32 v4, v8, v4
	v_mul_lo_u32 v5, v5, 24
	v_mul_hi_u32 v11, v4, 24
	v_mul_lo_u32 v4, v4, 24
	v_mov_b32_e32 v10, v12
	v_add_u32_e32 v5, v11, v5
	v_add_co_u32_e32 v4, vcc, v14, v4
	v_addc_co_u32_e32 v5, vcc, v15, v5, vcc
	global_store_dwordx2 v[4:5], v[12:13], off
	v_mov_b32_e32 v11, v13
	s_waitcnt vmcnt(0)
	global_atomic_cmpswap_x2 v[10:11], v28, v[8:11], s[26:27] offset:24 glc
	s_waitcnt vmcnt(0)
	v_cmp_ne_u64_e32 vcc, v[10:11], v[12:13]
	s_and_b64 exec, exec, vcc
	s_cbranch_execz .LBB4_27
; %bb.107:                              ;   in Loop: Header=BB4_28 Depth=1
	s_mov_b64 s[4:5], 0
.LBB4_108:                              ;   Parent Loop BB4_28 Depth=1
                                        ; =>  This Inner Loop Header: Depth=2
	s_sleep 1
	global_store_dwordx2 v[4:5], v[10:11], off
	s_waitcnt vmcnt(0)
	global_atomic_cmpswap_x2 v[12:13], v28, v[8:11], s[26:27] offset:24 glc
	s_waitcnt vmcnt(0)
	v_cmp_eq_u64_e32 vcc, v[12:13], v[10:11]
	v_mov_b32_e32 v10, v12
	s_or_b64 s[4:5], vcc, s[4:5]
	v_mov_b32_e32 v11, v13
	s_andn2_b64 exec, exec, s[4:5]
	s_cbranch_execnz .LBB4_108
	s_branch .LBB4_27
.LBB4_109:
	s_branch .LBB4_137
.LBB4_110:
                                        ; implicit-def: $vgpr2_vgpr3
	s_cbranch_execz .LBB4_137
; %bb.111:
	v_readfirstlane_b32 s4, v39
	v_mov_b32_e32 v8, 0
	v_mov_b32_e32 v9, 0
	v_cmp_eq_u32_e64 s[4:5], s4, v39
	s_and_saveexec_b64 s[6:7], s[4:5]
	s_cbranch_execz .LBB4_117
; %bb.112:
	s_waitcnt vmcnt(0)
	v_mov_b32_e32 v2, 0
	global_load_dwordx2 v[5:6], v2, s[26:27] offset:24 glc
	s_waitcnt vmcnt(0)
	buffer_wbinvl1_vol
	global_load_dwordx2 v[3:4], v2, s[26:27] offset:40
	global_load_dwordx2 v[7:8], v2, s[26:27]
	s_waitcnt vmcnt(0)
	v_and_b32_e32 v3, v3, v5
	v_and_b32_e32 v4, v4, v6
	v_mul_lo_u32 v4, v4, 24
	v_mul_hi_u32 v9, v3, 24
	v_mul_lo_u32 v3, v3, 24
	v_add_u32_e32 v4, v9, v4
	v_add_co_u32_e32 v3, vcc, v7, v3
	v_addc_co_u32_e32 v4, vcc, v8, v4, vcc
	global_load_dwordx2 v[3:4], v[3:4], off glc
	s_waitcnt vmcnt(0)
	global_atomic_cmpswap_x2 v[8:9], v2, v[3:6], s[26:27] offset:24 glc
	s_waitcnt vmcnt(0)
	buffer_wbinvl1_vol
	v_cmp_ne_u64_e32 vcc, v[8:9], v[5:6]
	s_and_saveexec_b64 s[10:11], vcc
	s_cbranch_execz .LBB4_116
; %bb.113:
	s_mov_b64 s[12:13], 0
.LBB4_114:                              ; =>This Inner Loop Header: Depth=1
	s_sleep 1
	global_load_dwordx2 v[3:4], v2, s[26:27] offset:40
	global_load_dwordx2 v[10:11], v2, s[26:27]
	v_mov_b32_e32 v5, v8
	v_mov_b32_e32 v6, v9
	s_waitcnt vmcnt(0)
	v_and_b32_e32 v3, v3, v5
	v_mad_u64_u32 v[7:8], s[14:15], v3, 24, v[10:11]
	v_and_b32_e32 v4, v4, v6
	v_mov_b32_e32 v3, v8
	v_mad_u64_u32 v[3:4], s[14:15], v4, 24, v[3:4]
	v_mov_b32_e32 v8, v3
	global_load_dwordx2 v[3:4], v[7:8], off glc
	s_waitcnt vmcnt(0)
	global_atomic_cmpswap_x2 v[8:9], v2, v[3:6], s[26:27] offset:24 glc
	s_waitcnt vmcnt(0)
	buffer_wbinvl1_vol
	v_cmp_eq_u64_e32 vcc, v[8:9], v[5:6]
	s_or_b64 s[12:13], vcc, s[12:13]
	s_andn2_b64 exec, exec, s[12:13]
	s_cbranch_execnz .LBB4_114
; %bb.115:
	s_or_b64 exec, exec, s[12:13]
.LBB4_116:
	s_or_b64 exec, exec, s[10:11]
.LBB4_117:
	s_or_b64 exec, exec, s[6:7]
	s_waitcnt vmcnt(0)
	v_mov_b32_e32 v2, 0
	global_load_dwordx2 v[10:11], v2, s[26:27] offset:40
	global_load_dwordx4 v[4:7], v2, s[26:27]
	v_readfirstlane_b32 s6, v8
	v_readfirstlane_b32 s7, v9
	s_mov_b64 s[10:11], exec
	s_waitcnt vmcnt(0)
	v_readfirstlane_b32 s12, v10
	v_readfirstlane_b32 s13, v11
	s_and_b64 s[12:13], s[6:7], s[12:13]
	s_mul_i32 s14, s13, 24
	s_mul_hi_u32 s15, s12, 24
	s_mul_i32 s16, s12, 24
	s_add_i32 s14, s15, s14
	v_mov_b32_e32 v3, s14
	v_add_co_u32_e32 v8, vcc, s16, v4
	v_addc_co_u32_e32 v9, vcc, v5, v3, vcc
	s_and_saveexec_b64 s[14:15], s[4:5]
	s_cbranch_execz .LBB4_119
; %bb.118:
	v_mov_b32_e32 v10, s10
	v_mov_b32_e32 v11, s11
	;; [unrolled: 1-line block ×4, first 2 shown]
	global_store_dwordx4 v[8:9], v[10:13], off offset:8
.LBB4_119:
	s_or_b64 exec, exec, s[14:15]
	s_lshl_b64 s[10:11], s[12:13], 12
	v_mov_b32_e32 v3, s11
	v_add_co_u32_e32 v10, vcc, s10, v6
	v_addc_co_u32_e32 v11, vcc, v7, v3, vcc
	s_movk_i32 s10, 0xff1f
	v_and_or_b32 v0, v0, s10, 32
	s_mov_b32 s12, 0
	v_mov_b32_e32 v3, v2
	v_readfirstlane_b32 s10, v10
	v_readfirstlane_b32 s11, v11
	v_add_co_u32_e32 v6, vcc, v10, v38
	s_mov_b32 s13, s12
	s_mov_b32 s14, s12
	;; [unrolled: 1-line block ×3, first 2 shown]
	s_nop 0
	global_store_dwordx4 v38, v[0:3], s[10:11]
	v_addc_co_u32_e32 v7, vcc, 0, v11, vcc
	v_mov_b32_e32 v0, s12
	v_mov_b32_e32 v1, s13
	;; [unrolled: 1-line block ×4, first 2 shown]
	global_store_dwordx4 v38, v[0:3], s[10:11] offset:16
	global_store_dwordx4 v38, v[0:3], s[10:11] offset:32
	;; [unrolled: 1-line block ×3, first 2 shown]
	s_and_saveexec_b64 s[10:11], s[4:5]
	s_cbranch_execz .LBB4_127
; %bb.120:
	v_mov_b32_e32 v10, 0
	global_load_dwordx2 v[13:14], v10, s[26:27] offset:32 glc
	global_load_dwordx2 v[0:1], v10, s[26:27] offset:40
	v_mov_b32_e32 v11, s6
	v_mov_b32_e32 v12, s7
	s_waitcnt vmcnt(0)
	v_readfirstlane_b32 s12, v0
	v_readfirstlane_b32 s13, v1
	s_and_b64 s[12:13], s[12:13], s[6:7]
	s_mul_i32 s13, s13, 24
	s_mul_hi_u32 s14, s12, 24
	s_mul_i32 s12, s12, 24
	s_add_i32 s13, s14, s13
	v_mov_b32_e32 v0, s13
	v_add_co_u32_e32 v4, vcc, s12, v4
	v_addc_co_u32_e32 v5, vcc, v5, v0, vcc
	global_store_dwordx2 v[4:5], v[13:14], off
	s_waitcnt vmcnt(0)
	global_atomic_cmpswap_x2 v[2:3], v10, v[11:14], s[26:27] offset:32 glc
	s_waitcnt vmcnt(0)
	v_cmp_ne_u64_e32 vcc, v[2:3], v[13:14]
	s_and_saveexec_b64 s[12:13], vcc
	s_cbranch_execz .LBB4_123
; %bb.121:
	s_mov_b64 s[14:15], 0
.LBB4_122:                              ; =>This Inner Loop Header: Depth=1
	s_sleep 1
	global_store_dwordx2 v[4:5], v[2:3], off
	v_mov_b32_e32 v0, s6
	v_mov_b32_e32 v1, s7
	s_waitcnt vmcnt(0)
	global_atomic_cmpswap_x2 v[0:1], v10, v[0:3], s[26:27] offset:32 glc
	s_waitcnt vmcnt(0)
	v_cmp_eq_u64_e32 vcc, v[0:1], v[2:3]
	v_mov_b32_e32 v3, v1
	s_or_b64 s[14:15], vcc, s[14:15]
	v_mov_b32_e32 v2, v0
	s_andn2_b64 exec, exec, s[14:15]
	s_cbranch_execnz .LBB4_122
.LBB4_123:
	s_or_b64 exec, exec, s[12:13]
	v_mov_b32_e32 v3, 0
	global_load_dwordx2 v[0:1], v3, s[26:27] offset:16
	s_mov_b64 s[12:13], exec
	v_mbcnt_lo_u32_b32 v2, s12, 0
	v_mbcnt_hi_u32_b32 v2, s13, v2
	v_cmp_eq_u32_e32 vcc, 0, v2
	s_and_saveexec_b64 s[14:15], vcc
	s_cbranch_execz .LBB4_125
; %bb.124:
	s_bcnt1_i32_b64 s12, s[12:13]
	v_mov_b32_e32 v2, s12
	s_waitcnt vmcnt(0)
	global_atomic_add_x2 v[0:1], v[2:3], off offset:8
.LBB4_125:
	s_or_b64 exec, exec, s[14:15]
	s_waitcnt vmcnt(0)
	global_load_dwordx2 v[2:3], v[0:1], off offset:16
	s_waitcnt vmcnt(0)
	v_cmp_eq_u64_e32 vcc, 0, v[2:3]
	s_cbranch_vccnz .LBB4_127
; %bb.126:
	global_load_dword v0, v[0:1], off offset:24
	v_mov_b32_e32 v1, 0
	s_waitcnt vmcnt(0)
	global_store_dwordx2 v[2:3], v[0:1], off
	v_and_b32_e32 v0, 0xffffff, v0
	v_readfirstlane_b32 m0, v0
	s_sendmsg sendmsg(MSG_INTERRUPT)
.LBB4_127:
	s_or_b64 exec, exec, s[10:11]
	s_branch .LBB4_131
.LBB4_128:                              ;   in Loop: Header=BB4_131 Depth=1
	s_or_b64 exec, exec, s[10:11]
	v_readfirstlane_b32 s10, v0
	s_cmp_eq_u32 s10, 0
	s_cbranch_scc1 .LBB4_130
; %bb.129:                              ;   in Loop: Header=BB4_131 Depth=1
	s_sleep 1
	s_cbranch_execnz .LBB4_131
	s_branch .LBB4_133
.LBB4_130:
	s_branch .LBB4_133
.LBB4_131:                              ; =>This Inner Loop Header: Depth=1
	v_mov_b32_e32 v0, 1
	s_and_saveexec_b64 s[10:11], s[4:5]
	s_cbranch_execz .LBB4_128
; %bb.132:                              ;   in Loop: Header=BB4_131 Depth=1
	global_load_dword v0, v[8:9], off offset:20 glc
	s_waitcnt vmcnt(0)
	buffer_wbinvl1_vol
	v_and_b32_e32 v0, 1, v0
	s_branch .LBB4_128
.LBB4_133:
	global_load_dwordx2 v[2:3], v[6:7], off
	s_and_saveexec_b64 s[10:11], s[4:5]
	s_cbranch_execz .LBB4_136
; %bb.134:
	v_mov_b32_e32 v8, 0
	global_load_dwordx2 v[0:1], v8, s[26:27] offset:40
	global_load_dwordx2 v[9:10], v8, s[26:27] offset:24 glc
	global_load_dwordx2 v[11:12], v8, s[26:27]
	v_mov_b32_e32 v5, s7
	s_mov_b64 s[4:5], 0
	s_waitcnt vmcnt(0)
	v_add_co_u32_e32 v6, vcc, 1, v0
	v_addc_co_u32_e32 v7, vcc, 0, v1, vcc
	v_add_co_u32_e32 v4, vcc, s6, v6
	v_addc_co_u32_e32 v5, vcc, v7, v5, vcc
	v_cmp_eq_u64_e32 vcc, 0, v[4:5]
	v_cndmask_b32_e32 v5, v5, v7, vcc
	v_cndmask_b32_e32 v4, v4, v6, vcc
	v_and_b32_e32 v1, v5, v1
	v_and_b32_e32 v0, v4, v0
	v_mul_lo_u32 v1, v1, 24
	v_mul_hi_u32 v7, v0, 24
	v_mul_lo_u32 v0, v0, 24
	v_mov_b32_e32 v6, v9
	v_add_u32_e32 v1, v7, v1
	v_add_co_u32_e32 v0, vcc, v11, v0
	v_addc_co_u32_e32 v1, vcc, v12, v1, vcc
	global_store_dwordx2 v[0:1], v[9:10], off
	v_mov_b32_e32 v7, v10
	s_waitcnt vmcnt(0)
	global_atomic_cmpswap_x2 v[6:7], v8, v[4:7], s[26:27] offset:24 glc
	s_waitcnt vmcnt(0)
	v_cmp_ne_u64_e32 vcc, v[6:7], v[9:10]
	s_and_b64 exec, exec, vcc
	s_cbranch_execz .LBB4_136
.LBB4_135:                              ; =>This Inner Loop Header: Depth=1
	s_sleep 1
	global_store_dwordx2 v[0:1], v[6:7], off
	s_waitcnt vmcnt(0)
	global_atomic_cmpswap_x2 v[9:10], v8, v[4:7], s[26:27] offset:24 glc
	s_waitcnt vmcnt(0)
	v_cmp_eq_u64_e32 vcc, v[9:10], v[6:7]
	v_mov_b32_e32 v6, v9
	s_or_b64 s[4:5], vcc, s[4:5]
	v_mov_b32_e32 v7, v10
	s_andn2_b64 exec, exec, s[4:5]
	s_cbranch_execnz .LBB4_135
.LBB4_136:
	s_or_b64 exec, exec, s[10:11]
.LBB4_137:
	v_readfirstlane_b32 s4, v39
	s_waitcnt vmcnt(0)
	v_mov_b32_e32 v0, 0
	v_mov_b32_e32 v1, 0
	v_cmp_eq_u32_e64 s[4:5], s4, v39
	s_and_saveexec_b64 s[6:7], s[4:5]
	s_cbranch_execz .LBB4_143
; %bb.138:
	v_mov_b32_e32 v4, 0
	global_load_dwordx2 v[7:8], v4, s[26:27] offset:24 glc
	s_waitcnt vmcnt(0)
	buffer_wbinvl1_vol
	global_load_dwordx2 v[0:1], v4, s[26:27] offset:40
	global_load_dwordx2 v[5:6], v4, s[26:27]
	s_waitcnt vmcnt(0)
	v_and_b32_e32 v0, v0, v7
	v_and_b32_e32 v1, v1, v8
	v_mul_lo_u32 v1, v1, 24
	v_mul_hi_u32 v9, v0, 24
	v_mul_lo_u32 v0, v0, 24
	v_add_u32_e32 v1, v9, v1
	v_add_co_u32_e32 v0, vcc, v5, v0
	v_addc_co_u32_e32 v1, vcc, v6, v1, vcc
	global_load_dwordx2 v[5:6], v[0:1], off glc
	s_waitcnt vmcnt(0)
	global_atomic_cmpswap_x2 v[0:1], v4, v[5:8], s[26:27] offset:24 glc
	s_waitcnt vmcnt(0)
	buffer_wbinvl1_vol
	v_cmp_ne_u64_e32 vcc, v[0:1], v[7:8]
	s_and_saveexec_b64 s[10:11], vcc
	s_cbranch_execz .LBB4_142
; %bb.139:
	s_mov_b64 s[12:13], 0
.LBB4_140:                              ; =>This Inner Loop Header: Depth=1
	s_sleep 1
	global_load_dwordx2 v[5:6], v4, s[26:27] offset:40
	global_load_dwordx2 v[9:10], v4, s[26:27]
	v_mov_b32_e32 v8, v1
	v_mov_b32_e32 v7, v0
	s_waitcnt vmcnt(0)
	v_and_b32_e32 v0, v5, v7
	v_mad_u64_u32 v[0:1], s[14:15], v0, 24, v[9:10]
	v_and_b32_e32 v5, v6, v8
	v_mad_u64_u32 v[5:6], s[14:15], v5, 24, v[1:2]
	v_mov_b32_e32 v1, v5
	global_load_dwordx2 v[5:6], v[0:1], off glc
	s_waitcnt vmcnt(0)
	global_atomic_cmpswap_x2 v[0:1], v4, v[5:8], s[26:27] offset:24 glc
	s_waitcnt vmcnt(0)
	buffer_wbinvl1_vol
	v_cmp_eq_u64_e32 vcc, v[0:1], v[7:8]
	s_or_b64 s[12:13], vcc, s[12:13]
	s_andn2_b64 exec, exec, s[12:13]
	s_cbranch_execnz .LBB4_140
; %bb.141:
	s_or_b64 exec, exec, s[12:13]
.LBB4_142:
	s_or_b64 exec, exec, s[10:11]
.LBB4_143:
	s_or_b64 exec, exec, s[6:7]
	v_mov_b32_e32 v5, 0
	global_load_dwordx2 v[10:11], v5, s[26:27] offset:40
	global_load_dwordx4 v[6:9], v5, s[26:27]
	v_readfirstlane_b32 s6, v0
	v_readfirstlane_b32 s7, v1
	s_mov_b64 s[10:11], exec
	s_waitcnt vmcnt(0)
	v_readfirstlane_b32 s12, v10
	v_readfirstlane_b32 s13, v11
	s_and_b64 s[12:13], s[6:7], s[12:13]
	s_mul_i32 s14, s13, 24
	s_mul_hi_u32 s15, s12, 24
	s_mul_i32 s16, s12, 24
	s_add_i32 s14, s15, s14
	v_mov_b32_e32 v0, s14
	v_add_co_u32_e32 v10, vcc, s16, v6
	v_addc_co_u32_e32 v11, vcc, v7, v0, vcc
	s_and_saveexec_b64 s[14:15], s[4:5]
	s_cbranch_execz .LBB4_145
; %bb.144:
	v_mov_b32_e32 v13, s11
	v_mov_b32_e32 v12, s10
	;; [unrolled: 1-line block ×4, first 2 shown]
	global_store_dwordx4 v[10:11], v[12:15], off offset:8
.LBB4_145:
	s_or_b64 exec, exec, s[14:15]
	s_lshl_b64 s[10:11], s[12:13], 12
	v_mov_b32_e32 v0, s11
	v_add_co_u32_e32 v1, vcc, s10, v8
	v_addc_co_u32_e32 v0, vcc, v9, v0, vcc
	s_movk_i32 s10, 0xff1d
	s_waitcnt lgkmcnt(0)
	v_bfe_i32 v4, v31, 0, 8
	v_and_or_b32 v2, v2, s10, 34
	s_mov_b32 s12, 0
	v_readfirstlane_b32 s10, v1
	v_readfirstlane_b32 s11, v0
	s_mov_b32 s13, s12
	s_mov_b32 s14, s12
	;; [unrolled: 1-line block ×3, first 2 shown]
	s_nop 1
	global_store_dwordx4 v38, v[2:5], s[10:11]
	v_mov_b32_e32 v0, s12
	v_mov_b32_e32 v1, s13
	;; [unrolled: 1-line block ×4, first 2 shown]
	global_store_dwordx4 v38, v[0:3], s[10:11] offset:16
	global_store_dwordx4 v38, v[0:3], s[10:11] offset:32
	;; [unrolled: 1-line block ×3, first 2 shown]
	s_and_saveexec_b64 s[10:11], s[4:5]
	s_cbranch_execz .LBB4_153
; %bb.146:
	v_mov_b32_e32 v8, 0
	global_load_dwordx2 v[14:15], v8, s[26:27] offset:32 glc
	global_load_dwordx2 v[0:1], v8, s[26:27] offset:40
	v_mov_b32_e32 v12, s6
	v_mov_b32_e32 v13, s7
	s_waitcnt vmcnt(0)
	v_readfirstlane_b32 s12, v0
	v_readfirstlane_b32 s13, v1
	s_and_b64 s[12:13], s[12:13], s[6:7]
	s_mul_i32 s13, s13, 24
	s_mul_hi_u32 s14, s12, 24
	s_mul_i32 s12, s12, 24
	s_add_i32 s13, s14, s13
	v_mov_b32_e32 v0, s13
	v_add_co_u32_e32 v4, vcc, s12, v6
	v_addc_co_u32_e32 v5, vcc, v7, v0, vcc
	global_store_dwordx2 v[4:5], v[14:15], off
	s_waitcnt vmcnt(0)
	global_atomic_cmpswap_x2 v[2:3], v8, v[12:15], s[26:27] offset:32 glc
	s_waitcnt vmcnt(0)
	v_cmp_ne_u64_e32 vcc, v[2:3], v[14:15]
	s_and_saveexec_b64 s[12:13], vcc
	s_cbranch_execz .LBB4_149
; %bb.147:
	s_mov_b64 s[14:15], 0
.LBB4_148:                              ; =>This Inner Loop Header: Depth=1
	s_sleep 1
	global_store_dwordx2 v[4:5], v[2:3], off
	v_mov_b32_e32 v0, s6
	v_mov_b32_e32 v1, s7
	s_waitcnt vmcnt(0)
	global_atomic_cmpswap_x2 v[0:1], v8, v[0:3], s[26:27] offset:32 glc
	s_waitcnt vmcnt(0)
	v_cmp_eq_u64_e32 vcc, v[0:1], v[2:3]
	v_mov_b32_e32 v3, v1
	s_or_b64 s[14:15], vcc, s[14:15]
	v_mov_b32_e32 v2, v0
	s_andn2_b64 exec, exec, s[14:15]
	s_cbranch_execnz .LBB4_148
.LBB4_149:
	s_or_b64 exec, exec, s[12:13]
	v_mov_b32_e32 v3, 0
	global_load_dwordx2 v[0:1], v3, s[26:27] offset:16
	s_mov_b64 s[12:13], exec
	v_mbcnt_lo_u32_b32 v2, s12, 0
	v_mbcnt_hi_u32_b32 v2, s13, v2
	v_cmp_eq_u32_e32 vcc, 0, v2
	s_and_saveexec_b64 s[14:15], vcc
	s_cbranch_execz .LBB4_151
; %bb.150:
	s_bcnt1_i32_b64 s12, s[12:13]
	v_mov_b32_e32 v2, s12
	s_waitcnt vmcnt(0)
	global_atomic_add_x2 v[0:1], v[2:3], off offset:8
.LBB4_151:
	s_or_b64 exec, exec, s[14:15]
	s_waitcnt vmcnt(0)
	global_load_dwordx2 v[2:3], v[0:1], off offset:16
	s_waitcnt vmcnt(0)
	v_cmp_eq_u64_e32 vcc, 0, v[2:3]
	s_cbranch_vccnz .LBB4_153
; %bb.152:
	global_load_dword v0, v[0:1], off offset:24
	v_mov_b32_e32 v1, 0
	s_waitcnt vmcnt(0)
	global_store_dwordx2 v[2:3], v[0:1], off
	v_and_b32_e32 v0, 0xffffff, v0
	v_readfirstlane_b32 m0, v0
	s_sendmsg sendmsg(MSG_INTERRUPT)
.LBB4_153:
	s_or_b64 exec, exec, s[10:11]
	s_branch .LBB4_157
.LBB4_154:                              ;   in Loop: Header=BB4_157 Depth=1
	s_or_b64 exec, exec, s[10:11]
	v_readfirstlane_b32 s10, v0
	s_cmp_eq_u32 s10, 0
	s_cbranch_scc1 .LBB4_156
; %bb.155:                              ;   in Loop: Header=BB4_157 Depth=1
	s_sleep 1
	s_cbranch_execnz .LBB4_157
	s_branch .LBB4_159
.LBB4_156:
	s_branch .LBB4_159
.LBB4_157:                              ; =>This Inner Loop Header: Depth=1
	v_mov_b32_e32 v0, 1
	s_and_saveexec_b64 s[10:11], s[4:5]
	s_cbranch_execz .LBB4_154
; %bb.158:                              ;   in Loop: Header=BB4_157 Depth=1
	global_load_dword v0, v[10:11], off offset:20 glc
	s_waitcnt vmcnt(0)
	buffer_wbinvl1_vol
	v_and_b32_e32 v0, 1, v0
	s_branch .LBB4_154
.LBB4_159:
	s_and_saveexec_b64 s[10:11], s[4:5]
	s_cbranch_execz .LBB4_162
; %bb.160:
	v_mov_b32_e32 v6, 0
	global_load_dwordx2 v[2:3], v6, s[26:27] offset:40
	global_load_dwordx2 v[7:8], v6, s[26:27] offset:24 glc
	global_load_dwordx2 v[4:5], v6, s[26:27]
	v_mov_b32_e32 v1, s7
	s_mov_b64 s[4:5], 0
	s_waitcnt vmcnt(2)
	v_add_co_u32_e32 v9, vcc, 1, v2
	v_addc_co_u32_e32 v10, vcc, 0, v3, vcc
	v_add_co_u32_e32 v0, vcc, s6, v9
	v_addc_co_u32_e32 v1, vcc, v10, v1, vcc
	v_cmp_eq_u64_e32 vcc, 0, v[0:1]
	v_cndmask_b32_e32 v1, v1, v10, vcc
	v_cndmask_b32_e32 v0, v0, v9, vcc
	v_and_b32_e32 v3, v1, v3
	v_and_b32_e32 v2, v0, v2
	v_mul_lo_u32 v3, v3, 24
	v_mul_hi_u32 v9, v2, 24
	v_mul_lo_u32 v10, v2, 24
	s_waitcnt vmcnt(1)
	v_mov_b32_e32 v2, v7
	v_add_u32_e32 v3, v9, v3
	s_waitcnt vmcnt(0)
	v_add_co_u32_e32 v4, vcc, v4, v10
	v_addc_co_u32_e32 v5, vcc, v5, v3, vcc
	global_store_dwordx2 v[4:5], v[7:8], off
	v_mov_b32_e32 v3, v8
	s_waitcnt vmcnt(0)
	global_atomic_cmpswap_x2 v[2:3], v6, v[0:3], s[26:27] offset:24 glc
	s_waitcnt vmcnt(0)
	v_cmp_ne_u64_e32 vcc, v[2:3], v[7:8]
	s_and_b64 exec, exec, vcc
	s_cbranch_execz .LBB4_162
.LBB4_161:                              ; =>This Inner Loop Header: Depth=1
	s_sleep 1
	global_store_dwordx2 v[4:5], v[2:3], off
	s_waitcnt vmcnt(0)
	global_atomic_cmpswap_x2 v[7:8], v6, v[0:3], s[26:27] offset:24 glc
	s_waitcnt vmcnt(0)
	v_cmp_eq_u64_e32 vcc, v[7:8], v[2:3]
	v_mov_b32_e32 v2, v7
	s_or_b64 s[4:5], vcc, s[4:5]
	v_mov_b32_e32 v3, v8
	s_andn2_b64 exec, exec, s[4:5]
	s_cbranch_execnz .LBB4_161
.LBB4_162:
	s_or_b64 exec, exec, s[10:11]
	s_getpc_b64 s[34:35]
	s_add_u32 s34, s34, .str.10@rel32@lo+4
	s_addc_u32 s35, s35, .str.10@rel32@hi+12
	s_mov_b64 s[8:9], s[24:25]
	v_mov_b32_e32 v0, s34
	v_mov_b32_e32 v1, s35
	s_getpc_b64 s[36:37]
	s_add_u32 s36, s36, _ZNK8migraphx13basic_printerIZNS_4coutEvEUlT_E_ElsEPKc@rel32@lo+4
	s_addc_u32 s37, s37, _ZNK8migraphx13basic_printerIZNS_4coutEvEUlT_E_ElsEPKc@rel32@hi+12
	s_swappc_b64 s[30:31], s[36:37]
	s_getpc_b64 s[4:5]
	s_add_u32 s4, s4, .str.14@rel32@lo+4
	s_addc_u32 s5, s5, .str.14@rel32@hi+12
	s_mov_b64 s[8:9], s[24:25]
	v_mov_b32_e32 v0, s4
	v_mov_b32_e32 v1, s5
	s_swappc_b64 s[30:31], s[36:37]
	s_mov_b64 s[8:9], s[24:25]
	v_mov_b32_e32 v0, s34
	v_mov_b32_e32 v1, s35
	s_swappc_b64 s[30:31], s[36:37]
	flat_load_ubyte v31, v[36:37] offset:8
	v_readfirstlane_b32 s4, v39
	v_mov_b32_e32 v5, 0
	v_mov_b32_e32 v6, 0
	v_cmp_eq_u32_e64 s[4:5], s4, v39
	s_and_saveexec_b64 s[6:7], s[4:5]
	s_cbranch_execz .LBB4_168
; %bb.163:
	v_mov_b32_e32 v0, 0
	global_load_dwordx2 v[3:4], v0, s[26:27] offset:24 glc
	s_waitcnt vmcnt(0)
	buffer_wbinvl1_vol
	global_load_dwordx2 v[1:2], v0, s[26:27] offset:40
	global_load_dwordx2 v[5:6], v0, s[26:27]
	s_waitcnt vmcnt(0)
	v_and_b32_e32 v1, v1, v3
	v_and_b32_e32 v2, v2, v4
	v_mul_lo_u32 v2, v2, 24
	v_mul_hi_u32 v7, v1, 24
	v_mul_lo_u32 v1, v1, 24
	v_add_u32_e32 v2, v7, v2
	v_add_co_u32_e32 v1, vcc, v5, v1
	v_addc_co_u32_e32 v2, vcc, v6, v2, vcc
	global_load_dwordx2 v[1:2], v[1:2], off glc
	s_waitcnt vmcnt(0)
	global_atomic_cmpswap_x2 v[5:6], v0, v[1:4], s[26:27] offset:24 glc
	s_waitcnt vmcnt(0)
	buffer_wbinvl1_vol
	v_cmp_ne_u64_e32 vcc, v[5:6], v[3:4]
	s_and_saveexec_b64 s[8:9], vcc
	s_cbranch_execz .LBB4_167
; %bb.164:
	s_mov_b64 s[10:11], 0
.LBB4_165:                              ; =>This Inner Loop Header: Depth=1
	s_sleep 1
	global_load_dwordx2 v[1:2], v0, s[26:27] offset:40
	global_load_dwordx2 v[7:8], v0, s[26:27]
	v_mov_b32_e32 v3, v5
	v_mov_b32_e32 v4, v6
	s_waitcnt vmcnt(0)
	v_and_b32_e32 v1, v1, v3
	v_mad_u64_u32 v[5:6], s[12:13], v1, 24, v[7:8]
	v_and_b32_e32 v2, v2, v4
	v_mov_b32_e32 v1, v6
	v_mad_u64_u32 v[1:2], s[12:13], v2, 24, v[1:2]
	v_mov_b32_e32 v6, v1
	global_load_dwordx2 v[1:2], v[5:6], off glc
	s_waitcnt vmcnt(0)
	global_atomic_cmpswap_x2 v[5:6], v0, v[1:4], s[26:27] offset:24 glc
	s_waitcnt vmcnt(0)
	buffer_wbinvl1_vol
	v_cmp_eq_u64_e32 vcc, v[5:6], v[3:4]
	s_or_b64 s[10:11], vcc, s[10:11]
	s_andn2_b64 exec, exec, s[10:11]
	s_cbranch_execnz .LBB4_165
; %bb.166:
	s_or_b64 exec, exec, s[10:11]
.LBB4_167:
	s_or_b64 exec, exec, s[8:9]
.LBB4_168:
	s_or_b64 exec, exec, s[6:7]
	v_mov_b32_e32 v4, 0
	global_load_dwordx2 v[7:8], v4, s[26:27] offset:40
	global_load_dwordx4 v[0:3], v4, s[26:27]
	v_readfirstlane_b32 s6, v5
	v_readfirstlane_b32 s7, v6
	s_mov_b64 s[8:9], exec
	s_waitcnt vmcnt(0)
	v_readfirstlane_b32 s10, v7
	v_readfirstlane_b32 s11, v8
	s_and_b64 s[10:11], s[6:7], s[10:11]
	s_mul_i32 s12, s11, 24
	s_mul_hi_u32 s13, s10, 24
	s_mul_i32 s14, s10, 24
	s_add_i32 s12, s13, s12
	v_mov_b32_e32 v5, s12
	v_add_co_u32_e32 v7, vcc, s14, v0
	v_addc_co_u32_e32 v8, vcc, v1, v5, vcc
	s_and_saveexec_b64 s[12:13], s[4:5]
	s_cbranch_execz .LBB4_170
; %bb.169:
	v_mov_b32_e32 v10, s9
	v_mov_b32_e32 v9, s8
	;; [unrolled: 1-line block ×4, first 2 shown]
	global_store_dwordx4 v[7:8], v[9:12], off offset:8
.LBB4_170:
	s_or_b64 exec, exec, s[12:13]
	s_lshl_b64 s[8:9], s[10:11], 12
	v_mov_b32_e32 v5, s9
	v_add_co_u32_e32 v2, vcc, s8, v2
	v_addc_co_u32_e32 v11, vcc, v3, v5, vcc
	s_mov_b32 s8, 0
	v_mov_b32_e32 v3, 33
	v_mov_b32_e32 v5, v4
	;; [unrolled: 1-line block ×3, first 2 shown]
	v_readfirstlane_b32 s12, v2
	v_readfirstlane_b32 s13, v11
	v_add_co_u32_e32 v9, vcc, v2, v38
	s_mov_b32 s9, s8
	s_mov_b32 s10, s8
	;; [unrolled: 1-line block ×3, first 2 shown]
	s_nop 0
	global_store_dwordx4 v38, v[3:6], s[12:13]
	v_mov_b32_e32 v2, s8
	v_addc_co_u32_e32 v10, vcc, 0, v11, vcc
	v_mov_b32_e32 v3, s9
	v_mov_b32_e32 v4, s10
	;; [unrolled: 1-line block ×3, first 2 shown]
	global_store_dwordx4 v38, v[2:5], s[12:13] offset:16
	global_store_dwordx4 v38, v[2:5], s[12:13] offset:32
	;; [unrolled: 1-line block ×3, first 2 shown]
	s_and_saveexec_b64 s[8:9], s[4:5]
	s_cbranch_execz .LBB4_178
; %bb.171:
	v_mov_b32_e32 v6, 0
	global_load_dwordx2 v[13:14], v6, s[26:27] offset:32 glc
	global_load_dwordx2 v[2:3], v6, s[26:27] offset:40
	v_mov_b32_e32 v11, s6
	v_mov_b32_e32 v12, s7
	s_waitcnt vmcnt(0)
	v_readfirstlane_b32 s10, v2
	v_readfirstlane_b32 s11, v3
	s_and_b64 s[10:11], s[10:11], s[6:7]
	s_mul_i32 s11, s11, 24
	s_mul_hi_u32 s12, s10, 24
	s_mul_i32 s10, s10, 24
	s_add_i32 s11, s12, s11
	v_mov_b32_e32 v2, s11
	v_add_co_u32_e32 v4, vcc, s10, v0
	v_addc_co_u32_e32 v5, vcc, v1, v2, vcc
	global_store_dwordx2 v[4:5], v[13:14], off
	s_waitcnt vmcnt(0)
	global_atomic_cmpswap_x2 v[2:3], v6, v[11:14], s[26:27] offset:32 glc
	s_waitcnt vmcnt(0)
	v_cmp_ne_u64_e32 vcc, v[2:3], v[13:14]
	s_and_saveexec_b64 s[10:11], vcc
	s_cbranch_execz .LBB4_174
; %bb.172:
	s_mov_b64 s[12:13], 0
.LBB4_173:                              ; =>This Inner Loop Header: Depth=1
	s_sleep 1
	global_store_dwordx2 v[4:5], v[2:3], off
	v_mov_b32_e32 v0, s6
	v_mov_b32_e32 v1, s7
	s_waitcnt vmcnt(0)
	global_atomic_cmpswap_x2 v[0:1], v6, v[0:3], s[26:27] offset:32 glc
	s_waitcnt vmcnt(0)
	v_cmp_eq_u64_e32 vcc, v[0:1], v[2:3]
	v_mov_b32_e32 v3, v1
	s_or_b64 s[12:13], vcc, s[12:13]
	v_mov_b32_e32 v2, v0
	s_andn2_b64 exec, exec, s[12:13]
	s_cbranch_execnz .LBB4_173
.LBB4_174:
	s_or_b64 exec, exec, s[10:11]
	v_mov_b32_e32 v3, 0
	global_load_dwordx2 v[0:1], v3, s[26:27] offset:16
	s_mov_b64 s[10:11], exec
	v_mbcnt_lo_u32_b32 v2, s10, 0
	v_mbcnt_hi_u32_b32 v2, s11, v2
	v_cmp_eq_u32_e32 vcc, 0, v2
	s_and_saveexec_b64 s[12:13], vcc
	s_cbranch_execz .LBB4_176
; %bb.175:
	s_bcnt1_i32_b64 s10, s[10:11]
	v_mov_b32_e32 v2, s10
	s_waitcnt vmcnt(0)
	global_atomic_add_x2 v[0:1], v[2:3], off offset:8
.LBB4_176:
	s_or_b64 exec, exec, s[12:13]
	s_waitcnt vmcnt(0)
	global_load_dwordx2 v[2:3], v[0:1], off offset:16
	s_waitcnt vmcnt(0)
	v_cmp_eq_u64_e32 vcc, 0, v[2:3]
	s_cbranch_vccnz .LBB4_178
; %bb.177:
	global_load_dword v0, v[0:1], off offset:24
	v_mov_b32_e32 v1, 0
	s_waitcnt vmcnt(0)
	global_store_dwordx2 v[2:3], v[0:1], off
	v_and_b32_e32 v0, 0xffffff, v0
	v_readfirstlane_b32 m0, v0
	s_sendmsg sendmsg(MSG_INTERRUPT)
.LBB4_178:
	s_or_b64 exec, exec, s[8:9]
	s_branch .LBB4_182
.LBB4_179:                              ;   in Loop: Header=BB4_182 Depth=1
	s_or_b64 exec, exec, s[8:9]
	v_readfirstlane_b32 s8, v0
	s_cmp_eq_u32 s8, 0
	s_cbranch_scc1 .LBB4_181
; %bb.180:                              ;   in Loop: Header=BB4_182 Depth=1
	s_sleep 1
	s_cbranch_execnz .LBB4_182
	s_branch .LBB4_184
.LBB4_181:
	s_branch .LBB4_184
.LBB4_182:                              ; =>This Inner Loop Header: Depth=1
	v_mov_b32_e32 v0, 1
	s_and_saveexec_b64 s[8:9], s[4:5]
	s_cbranch_execz .LBB4_179
; %bb.183:                              ;   in Loop: Header=BB4_182 Depth=1
	global_load_dword v0, v[7:8], off offset:20 glc
	s_waitcnt vmcnt(0)
	buffer_wbinvl1_vol
	v_and_b32_e32 v0, 1, v0
	s_branch .LBB4_179
.LBB4_184:
	global_load_dwordx2 v[0:1], v[9:10], off
	s_and_saveexec_b64 s[8:9], s[4:5]
	s_cbranch_execz .LBB4_187
; %bb.185:
	v_mov_b32_e32 v8, 0
	global_load_dwordx2 v[4:5], v8, s[26:27] offset:40
	global_load_dwordx2 v[9:10], v8, s[26:27] offset:24 glc
	global_load_dwordx2 v[6:7], v8, s[26:27]
	v_mov_b32_e32 v3, s7
	s_mov_b64 s[4:5], 0
	s_waitcnt vmcnt(0)
	v_add_co_u32_e32 v11, vcc, 1, v4
	v_addc_co_u32_e32 v12, vcc, 0, v5, vcc
	v_add_co_u32_e32 v2, vcc, s6, v11
	v_addc_co_u32_e32 v3, vcc, v12, v3, vcc
	v_cmp_eq_u64_e32 vcc, 0, v[2:3]
	v_cndmask_b32_e32 v3, v3, v12, vcc
	v_cndmask_b32_e32 v2, v2, v11, vcc
	v_and_b32_e32 v5, v3, v5
	v_and_b32_e32 v4, v2, v4
	v_mul_lo_u32 v5, v5, 24
	v_mul_hi_u32 v11, v4, 24
	v_mul_lo_u32 v12, v4, 24
	v_mov_b32_e32 v4, v9
	v_add_u32_e32 v5, v11, v5
	v_add_co_u32_e32 v6, vcc, v6, v12
	v_addc_co_u32_e32 v7, vcc, v7, v5, vcc
	global_store_dwordx2 v[6:7], v[9:10], off
	v_mov_b32_e32 v5, v10
	s_waitcnt vmcnt(0)
	global_atomic_cmpswap_x2 v[4:5], v8, v[2:5], s[26:27] offset:24 glc
	s_waitcnt vmcnt(0)
	v_cmp_ne_u64_e32 vcc, v[4:5], v[9:10]
	s_and_b64 exec, exec, vcc
	s_cbranch_execz .LBB4_187
.LBB4_186:                              ; =>This Inner Loop Header: Depth=1
	s_sleep 1
	global_store_dwordx2 v[6:7], v[4:5], off
	s_waitcnt vmcnt(0)
	global_atomic_cmpswap_x2 v[9:10], v8, v[2:5], s[26:27] offset:24 glc
	s_waitcnt vmcnt(0)
	v_cmp_eq_u64_e32 vcc, v[9:10], v[4:5]
	v_mov_b32_e32 v4, v9
	s_or_b64 s[4:5], vcc, s[4:5]
	v_mov_b32_e32 v5, v10
	s_andn2_b64 exec, exec, s[4:5]
	s_cbranch_execnz .LBB4_186
.LBB4_187:
	s_or_b64 exec, exec, s[8:9]
	s_and_b64 vcc, exec, s[28:29]
	s_cbranch_vccz .LBB4_272
; %bb.188:
	s_waitcnt vmcnt(0)
	v_and_b32_e32 v32, 2, v0
	v_mov_b32_e32 v28, 0
	v_and_b32_e32 v2, -3, v0
	v_mov_b32_e32 v3, v1
	s_mov_b64 s[8:9], 3
	v_mov_b32_e32 v6, 2
	v_mov_b32_e32 v7, 1
	s_getpc_b64 s[6:7]
	s_add_u32 s6, s6, .str.8@rel32@lo+4
	s_addc_u32 s7, s7, .str.8@rel32@hi+12
	s_branch .LBB4_190
.LBB4_189:                              ;   in Loop: Header=BB4_190 Depth=1
	s_or_b64 exec, exec, s[14:15]
	s_sub_u32 s8, s8, s10
	s_subb_u32 s9, s9, s11
	s_add_u32 s6, s6, s10
	s_addc_u32 s7, s7, s11
	s_cmp_lg_u64 s[8:9], 0
	s_cbranch_scc0 .LBB4_271
.LBB4_190:                              ; =>This Loop Header: Depth=1
                                        ;     Child Loop BB4_193 Depth 2
                                        ;     Child Loop BB4_200 Depth 2
	;; [unrolled: 1-line block ×11, first 2 shown]
	v_cmp_lt_u64_e64 s[4:5], s[8:9], 56
	v_cmp_gt_u64_e64 s[12:13], s[8:9], 7
	s_and_b64 s[4:5], s[4:5], exec
	s_cselect_b32 s11, s9, 0
	s_cselect_b32 s10, s8, 56
	s_and_b64 vcc, exec, s[12:13]
	s_cbranch_vccnz .LBB4_195
; %bb.191:                              ;   in Loop: Header=BB4_190 Depth=1
	v_mov_b32_e32 v10, 0
	s_cmp_eq_u64 s[8:9], 0
	v_mov_b32_e32 v11, 0
	s_mov_b64 s[4:5], 0
	s_cbranch_scc1 .LBB4_194
; %bb.192:                              ;   in Loop: Header=BB4_190 Depth=1
	v_mov_b32_e32 v10, 0
	s_lshl_b64 s[12:13], s[10:11], 3
	s_mov_b64 s[14:15], 0
	v_mov_b32_e32 v11, 0
	s_mov_b64 s[16:17], s[6:7]
.LBB4_193:                              ;   Parent Loop BB4_190 Depth=1
                                        ; =>  This Inner Loop Header: Depth=2
	global_load_ubyte v4, v28, s[16:17]
	s_waitcnt vmcnt(0)
	v_and_b32_e32 v27, 0xffff, v4
	v_lshlrev_b64 v[4:5], s14, v[27:28]
	s_add_u32 s14, s14, 8
	s_addc_u32 s15, s15, 0
	s_add_u32 s16, s16, 1
	s_addc_u32 s17, s17, 0
	v_or_b32_e32 v10, v4, v10
	s_cmp_lg_u32 s12, s14
	v_or_b32_e32 v11, v5, v11
	s_cbranch_scc1 .LBB4_193
.LBB4_194:                              ;   in Loop: Header=BB4_190 Depth=1
	s_mov_b32 s16, 0
	s_andn2_b64 vcc, exec, s[4:5]
	s_mov_b64 s[4:5], s[6:7]
	s_cbranch_vccz .LBB4_196
	s_branch .LBB4_197
.LBB4_195:                              ;   in Loop: Header=BB4_190 Depth=1
                                        ; implicit-def: $vgpr10_vgpr11
                                        ; implicit-def: $sgpr16
	s_mov_b64 s[4:5], s[6:7]
.LBB4_196:                              ;   in Loop: Header=BB4_190 Depth=1
	global_load_dwordx2 v[10:11], v28, s[6:7]
	s_add_i32 s16, s10, -8
	s_add_u32 s4, s6, 8
	s_addc_u32 s5, s7, 0
.LBB4_197:                              ;   in Loop: Header=BB4_190 Depth=1
	s_cmp_gt_u32 s16, 7
	s_cbranch_scc1 .LBB4_201
; %bb.198:                              ;   in Loop: Header=BB4_190 Depth=1
	s_cmp_eq_u32 s16, 0
	s_cbranch_scc1 .LBB4_202
; %bb.199:                              ;   in Loop: Header=BB4_190 Depth=1
	v_mov_b32_e32 v12, 0
	s_mov_b64 s[12:13], 0
	v_mov_b32_e32 v13, 0
	s_mov_b64 s[14:15], 0
.LBB4_200:                              ;   Parent Loop BB4_190 Depth=1
                                        ; =>  This Inner Loop Header: Depth=2
	s_add_u32 s18, s4, s14
	s_addc_u32 s19, s5, s15
	global_load_ubyte v4, v28, s[18:19]
	s_add_u32 s14, s14, 1
	s_addc_u32 s15, s15, 0
	s_waitcnt vmcnt(0)
	v_and_b32_e32 v27, 0xffff, v4
	v_lshlrev_b64 v[4:5], s12, v[27:28]
	s_add_u32 s12, s12, 8
	s_addc_u32 s13, s13, 0
	v_or_b32_e32 v12, v4, v12
	s_cmp_lg_u32 s16, s14
	v_or_b32_e32 v13, v5, v13
	s_cbranch_scc1 .LBB4_200
	s_branch .LBB4_203
.LBB4_201:                              ;   in Loop: Header=BB4_190 Depth=1
                                        ; implicit-def: $vgpr12_vgpr13
                                        ; implicit-def: $sgpr17
	s_branch .LBB4_204
.LBB4_202:                              ;   in Loop: Header=BB4_190 Depth=1
	v_mov_b32_e32 v12, 0
	v_mov_b32_e32 v13, 0
.LBB4_203:                              ;   in Loop: Header=BB4_190 Depth=1
	s_mov_b32 s17, 0
	s_cbranch_execnz .LBB4_205
.LBB4_204:                              ;   in Loop: Header=BB4_190 Depth=1
	global_load_dwordx2 v[12:13], v28, s[4:5]
	s_add_i32 s17, s16, -8
	s_add_u32 s4, s4, 8
	s_addc_u32 s5, s5, 0
.LBB4_205:                              ;   in Loop: Header=BB4_190 Depth=1
	s_cmp_gt_u32 s17, 7
	s_cbranch_scc1 .LBB4_209
; %bb.206:                              ;   in Loop: Header=BB4_190 Depth=1
	s_cmp_eq_u32 s17, 0
	s_cbranch_scc1 .LBB4_210
; %bb.207:                              ;   in Loop: Header=BB4_190 Depth=1
	v_mov_b32_e32 v14, 0
	s_mov_b64 s[12:13], 0
	v_mov_b32_e32 v15, 0
	s_mov_b64 s[14:15], 0
.LBB4_208:                              ;   Parent Loop BB4_190 Depth=1
                                        ; =>  This Inner Loop Header: Depth=2
	s_add_u32 s18, s4, s14
	s_addc_u32 s19, s5, s15
	global_load_ubyte v4, v28, s[18:19]
	s_add_u32 s14, s14, 1
	s_addc_u32 s15, s15, 0
	s_waitcnt vmcnt(0)
	v_and_b32_e32 v27, 0xffff, v4
	v_lshlrev_b64 v[4:5], s12, v[27:28]
	s_add_u32 s12, s12, 8
	s_addc_u32 s13, s13, 0
	v_or_b32_e32 v14, v4, v14
	s_cmp_lg_u32 s17, s14
	v_or_b32_e32 v15, v5, v15
	s_cbranch_scc1 .LBB4_208
	s_branch .LBB4_211
.LBB4_209:                              ;   in Loop: Header=BB4_190 Depth=1
                                        ; implicit-def: $sgpr16
	s_branch .LBB4_212
.LBB4_210:                              ;   in Loop: Header=BB4_190 Depth=1
	v_mov_b32_e32 v14, 0
	v_mov_b32_e32 v15, 0
.LBB4_211:                              ;   in Loop: Header=BB4_190 Depth=1
	s_mov_b32 s16, 0
	s_cbranch_execnz .LBB4_213
.LBB4_212:                              ;   in Loop: Header=BB4_190 Depth=1
	global_load_dwordx2 v[14:15], v28, s[4:5]
	s_add_i32 s16, s17, -8
	s_add_u32 s4, s4, 8
	s_addc_u32 s5, s5, 0
.LBB4_213:                              ;   in Loop: Header=BB4_190 Depth=1
	s_cmp_gt_u32 s16, 7
	s_cbranch_scc1 .LBB4_217
; %bb.214:                              ;   in Loop: Header=BB4_190 Depth=1
	s_cmp_eq_u32 s16, 0
	s_cbranch_scc1 .LBB4_218
; %bb.215:                              ;   in Loop: Header=BB4_190 Depth=1
	v_mov_b32_e32 v16, 0
	s_mov_b64 s[12:13], 0
	v_mov_b32_e32 v17, 0
	s_mov_b64 s[14:15], 0
.LBB4_216:                              ;   Parent Loop BB4_190 Depth=1
                                        ; =>  This Inner Loop Header: Depth=2
	s_add_u32 s18, s4, s14
	s_addc_u32 s19, s5, s15
	global_load_ubyte v4, v28, s[18:19]
	s_add_u32 s14, s14, 1
	s_addc_u32 s15, s15, 0
	s_waitcnt vmcnt(0)
	v_and_b32_e32 v27, 0xffff, v4
	v_lshlrev_b64 v[4:5], s12, v[27:28]
	s_add_u32 s12, s12, 8
	s_addc_u32 s13, s13, 0
	v_or_b32_e32 v16, v4, v16
	s_cmp_lg_u32 s16, s14
	v_or_b32_e32 v17, v5, v17
	s_cbranch_scc1 .LBB4_216
	s_branch .LBB4_219
.LBB4_217:                              ;   in Loop: Header=BB4_190 Depth=1
                                        ; implicit-def: $vgpr16_vgpr17
                                        ; implicit-def: $sgpr17
	s_branch .LBB4_220
.LBB4_218:                              ;   in Loop: Header=BB4_190 Depth=1
	v_mov_b32_e32 v16, 0
	v_mov_b32_e32 v17, 0
.LBB4_219:                              ;   in Loop: Header=BB4_190 Depth=1
	s_mov_b32 s17, 0
	s_cbranch_execnz .LBB4_221
.LBB4_220:                              ;   in Loop: Header=BB4_190 Depth=1
	global_load_dwordx2 v[16:17], v28, s[4:5]
	s_add_i32 s17, s16, -8
	s_add_u32 s4, s4, 8
	s_addc_u32 s5, s5, 0
.LBB4_221:                              ;   in Loop: Header=BB4_190 Depth=1
	s_cmp_gt_u32 s17, 7
	s_cbranch_scc1 .LBB4_225
; %bb.222:                              ;   in Loop: Header=BB4_190 Depth=1
	s_cmp_eq_u32 s17, 0
	s_cbranch_scc1 .LBB4_226
; %bb.223:                              ;   in Loop: Header=BB4_190 Depth=1
	v_mov_b32_e32 v18, 0
	s_mov_b64 s[12:13], 0
	v_mov_b32_e32 v19, 0
	s_mov_b64 s[14:15], 0
.LBB4_224:                              ;   Parent Loop BB4_190 Depth=1
                                        ; =>  This Inner Loop Header: Depth=2
	s_add_u32 s18, s4, s14
	s_addc_u32 s19, s5, s15
	global_load_ubyte v4, v28, s[18:19]
	s_add_u32 s14, s14, 1
	s_addc_u32 s15, s15, 0
	s_waitcnt vmcnt(0)
	v_and_b32_e32 v27, 0xffff, v4
	v_lshlrev_b64 v[4:5], s12, v[27:28]
	s_add_u32 s12, s12, 8
	s_addc_u32 s13, s13, 0
	v_or_b32_e32 v18, v4, v18
	s_cmp_lg_u32 s17, s14
	v_or_b32_e32 v19, v5, v19
	s_cbranch_scc1 .LBB4_224
	s_branch .LBB4_227
.LBB4_225:                              ;   in Loop: Header=BB4_190 Depth=1
                                        ; implicit-def: $sgpr16
	s_branch .LBB4_228
.LBB4_226:                              ;   in Loop: Header=BB4_190 Depth=1
	v_mov_b32_e32 v18, 0
	v_mov_b32_e32 v19, 0
.LBB4_227:                              ;   in Loop: Header=BB4_190 Depth=1
	s_mov_b32 s16, 0
	s_cbranch_execnz .LBB4_229
.LBB4_228:                              ;   in Loop: Header=BB4_190 Depth=1
	global_load_dwordx2 v[18:19], v28, s[4:5]
	s_add_i32 s16, s17, -8
	s_add_u32 s4, s4, 8
	s_addc_u32 s5, s5, 0
.LBB4_229:                              ;   in Loop: Header=BB4_190 Depth=1
	s_cmp_gt_u32 s16, 7
	s_cbranch_scc1 .LBB4_233
; %bb.230:                              ;   in Loop: Header=BB4_190 Depth=1
	s_cmp_eq_u32 s16, 0
	s_cbranch_scc1 .LBB4_234
; %bb.231:                              ;   in Loop: Header=BB4_190 Depth=1
	v_mov_b32_e32 v20, 0
	s_mov_b64 s[12:13], 0
	v_mov_b32_e32 v21, 0
	s_mov_b64 s[14:15], 0
.LBB4_232:                              ;   Parent Loop BB4_190 Depth=1
                                        ; =>  This Inner Loop Header: Depth=2
	s_add_u32 s18, s4, s14
	s_addc_u32 s19, s5, s15
	global_load_ubyte v4, v28, s[18:19]
	s_add_u32 s14, s14, 1
	s_addc_u32 s15, s15, 0
	s_waitcnt vmcnt(0)
	v_and_b32_e32 v27, 0xffff, v4
	v_lshlrev_b64 v[4:5], s12, v[27:28]
	s_add_u32 s12, s12, 8
	s_addc_u32 s13, s13, 0
	v_or_b32_e32 v20, v4, v20
	s_cmp_lg_u32 s16, s14
	v_or_b32_e32 v21, v5, v21
	s_cbranch_scc1 .LBB4_232
	s_branch .LBB4_235
.LBB4_233:                              ;   in Loop: Header=BB4_190 Depth=1
                                        ; implicit-def: $vgpr20_vgpr21
                                        ; implicit-def: $sgpr17
	s_branch .LBB4_236
.LBB4_234:                              ;   in Loop: Header=BB4_190 Depth=1
	v_mov_b32_e32 v20, 0
	v_mov_b32_e32 v21, 0
.LBB4_235:                              ;   in Loop: Header=BB4_190 Depth=1
	s_mov_b32 s17, 0
	s_cbranch_execnz .LBB4_237
.LBB4_236:                              ;   in Loop: Header=BB4_190 Depth=1
	global_load_dwordx2 v[20:21], v28, s[4:5]
	s_add_i32 s17, s16, -8
	s_add_u32 s4, s4, 8
	s_addc_u32 s5, s5, 0
.LBB4_237:                              ;   in Loop: Header=BB4_190 Depth=1
	s_cmp_gt_u32 s17, 7
	s_cbranch_scc1 .LBB4_241
; %bb.238:                              ;   in Loop: Header=BB4_190 Depth=1
	s_cmp_eq_u32 s17, 0
	s_cbranch_scc1 .LBB4_242
; %bb.239:                              ;   in Loop: Header=BB4_190 Depth=1
	v_mov_b32_e32 v22, 0
	s_mov_b64 s[12:13], 0
	v_mov_b32_e32 v23, 0
	s_mov_b64 s[14:15], s[4:5]
.LBB4_240:                              ;   Parent Loop BB4_190 Depth=1
                                        ; =>  This Inner Loop Header: Depth=2
	global_load_ubyte v4, v28, s[14:15]
	s_add_i32 s17, s17, -1
	s_waitcnt vmcnt(0)
	v_and_b32_e32 v27, 0xffff, v4
	v_lshlrev_b64 v[4:5], s12, v[27:28]
	s_add_u32 s12, s12, 8
	s_addc_u32 s13, s13, 0
	s_add_u32 s14, s14, 1
	s_addc_u32 s15, s15, 0
	v_or_b32_e32 v22, v4, v22
	s_cmp_lg_u32 s17, 0
	v_or_b32_e32 v23, v5, v23
	s_cbranch_scc1 .LBB4_240
	s_branch .LBB4_243
.LBB4_241:                              ;   in Loop: Header=BB4_190 Depth=1
	s_branch .LBB4_244
.LBB4_242:                              ;   in Loop: Header=BB4_190 Depth=1
	v_mov_b32_e32 v22, 0
	v_mov_b32_e32 v23, 0
.LBB4_243:                              ;   in Loop: Header=BB4_190 Depth=1
	s_cbranch_execnz .LBB4_245
.LBB4_244:                              ;   in Loop: Header=BB4_190 Depth=1
	global_load_dwordx2 v[22:23], v28, s[4:5]
.LBB4_245:                              ;   in Loop: Header=BB4_190 Depth=1
	v_readfirstlane_b32 s4, v39
	s_waitcnt vmcnt(0)
	v_mov_b32_e32 v4, 0
	v_mov_b32_e32 v5, 0
	v_cmp_eq_u32_e64 s[4:5], s4, v39
	s_and_saveexec_b64 s[12:13], s[4:5]
	s_cbranch_execz .LBB4_251
; %bb.246:                              ;   in Loop: Header=BB4_190 Depth=1
	global_load_dwordx2 v[26:27], v28, s[26:27] offset:24 glc
	s_waitcnt vmcnt(0)
	buffer_wbinvl1_vol
	global_load_dwordx2 v[4:5], v28, s[26:27] offset:40
	global_load_dwordx2 v[8:9], v28, s[26:27]
	s_waitcnt vmcnt(0)
	v_and_b32_e32 v4, v4, v26
	v_and_b32_e32 v5, v5, v27
	v_mul_lo_u32 v5, v5, 24
	v_mul_hi_u32 v24, v4, 24
	v_mul_lo_u32 v4, v4, 24
	v_add_u32_e32 v5, v24, v5
	v_add_co_u32_e32 v4, vcc, v8, v4
	v_addc_co_u32_e32 v5, vcc, v9, v5, vcc
	global_load_dwordx2 v[24:25], v[4:5], off glc
	s_waitcnt vmcnt(0)
	global_atomic_cmpswap_x2 v[4:5], v28, v[24:27], s[26:27] offset:24 glc
	s_waitcnt vmcnt(0)
	buffer_wbinvl1_vol
	v_cmp_ne_u64_e32 vcc, v[4:5], v[26:27]
	s_and_saveexec_b64 s[14:15], vcc
	s_cbranch_execz .LBB4_250
; %bb.247:                              ;   in Loop: Header=BB4_190 Depth=1
	s_mov_b64 s[16:17], 0
.LBB4_248:                              ;   Parent Loop BB4_190 Depth=1
                                        ; =>  This Inner Loop Header: Depth=2
	s_sleep 1
	global_load_dwordx2 v[8:9], v28, s[26:27] offset:40
	global_load_dwordx2 v[24:25], v28, s[26:27]
	v_mov_b32_e32 v27, v5
	v_mov_b32_e32 v26, v4
	s_waitcnt vmcnt(0)
	v_and_b32_e32 v4, v8, v26
	v_mad_u64_u32 v[4:5], s[18:19], v4, 24, v[24:25]
	v_and_b32_e32 v8, v9, v27
	v_mad_u64_u32 v[8:9], s[18:19], v8, 24, v[5:6]
	v_mov_b32_e32 v5, v8
	global_load_dwordx2 v[24:25], v[4:5], off glc
	s_waitcnt vmcnt(0)
	global_atomic_cmpswap_x2 v[4:5], v28, v[24:27], s[26:27] offset:24 glc
	s_waitcnt vmcnt(0)
	buffer_wbinvl1_vol
	v_cmp_eq_u64_e32 vcc, v[4:5], v[26:27]
	s_or_b64 s[16:17], vcc, s[16:17]
	s_andn2_b64 exec, exec, s[16:17]
	s_cbranch_execnz .LBB4_248
; %bb.249:                              ;   in Loop: Header=BB4_190 Depth=1
	s_or_b64 exec, exec, s[16:17]
.LBB4_250:                              ;   in Loop: Header=BB4_190 Depth=1
	s_or_b64 exec, exec, s[14:15]
.LBB4_251:                              ;   in Loop: Header=BB4_190 Depth=1
	s_or_b64 exec, exec, s[12:13]
	global_load_dwordx2 v[8:9], v28, s[26:27] offset:40
	global_load_dwordx4 v[24:27], v28, s[26:27]
	v_readfirstlane_b32 s12, v4
	v_readfirstlane_b32 s13, v5
	s_mov_b64 s[14:15], exec
	s_waitcnt vmcnt(0)
	v_readfirstlane_b32 s16, v8
	v_readfirstlane_b32 s17, v9
	s_and_b64 s[16:17], s[12:13], s[16:17]
	s_mul_i32 s18, s17, 24
	s_mul_hi_u32 s19, s16, 24
	s_mul_i32 s20, s16, 24
	s_add_i32 s18, s19, s18
	v_mov_b32_e32 v4, s18
	v_add_co_u32_e32 v29, vcc, s20, v24
	v_addc_co_u32_e32 v30, vcc, v25, v4, vcc
	s_and_saveexec_b64 s[18:19], s[4:5]
	s_cbranch_execz .LBB4_253
; %bb.252:                              ;   in Loop: Header=BB4_190 Depth=1
	v_mov_b32_e32 v4, s14
	v_mov_b32_e32 v5, s15
	global_store_dwordx4 v[29:30], v[4:7], off offset:8
.LBB4_253:                              ;   in Loop: Header=BB4_190 Depth=1
	s_or_b64 exec, exec, s[18:19]
	s_lshl_b64 s[14:15], s[16:17], 12
	v_mov_b32_e32 v4, s15
	v_add_co_u32_e32 v26, vcc, s14, v26
	v_addc_co_u32_e32 v33, vcc, v27, v4, vcc
	v_cmp_gt_u64_e64 vcc, s[8:9], 56
	v_or_b32_e32 v5, v2, v32
	s_lshl_b32 s14, s10, 2
	v_cndmask_b32_e32 v2, v5, v2, vcc
	s_add_i32 s14, s14, 28
	v_or_b32_e32 v4, 0, v3
	s_and_b32 s14, s14, 0x1e0
	v_and_b32_e32 v2, 0xffffff1f, v2
	v_cndmask_b32_e32 v9, v4, v3, vcc
	v_or_b32_e32 v8, s14, v2
	v_readfirstlane_b32 s14, v26
	v_readfirstlane_b32 s15, v33
	s_nop 4
	global_store_dwordx4 v38, v[8:11], s[14:15]
	global_store_dwordx4 v38, v[12:15], s[14:15] offset:16
	global_store_dwordx4 v38, v[16:19], s[14:15] offset:32
	;; [unrolled: 1-line block ×3, first 2 shown]
	s_and_saveexec_b64 s[14:15], s[4:5]
	s_cbranch_execz .LBB4_261
; %bb.254:                              ;   in Loop: Header=BB4_190 Depth=1
	global_load_dwordx2 v[12:13], v28, s[26:27] offset:32 glc
	global_load_dwordx2 v[2:3], v28, s[26:27] offset:40
	v_mov_b32_e32 v10, s12
	v_mov_b32_e32 v11, s13
	s_waitcnt vmcnt(0)
	v_readfirstlane_b32 s16, v2
	v_readfirstlane_b32 s17, v3
	s_and_b64 s[16:17], s[16:17], s[12:13]
	s_mul_i32 s17, s17, 24
	s_mul_hi_u32 s18, s16, 24
	s_mul_i32 s16, s16, 24
	s_add_i32 s17, s18, s17
	v_mov_b32_e32 v2, s17
	v_add_co_u32_e32 v8, vcc, s16, v24
	v_addc_co_u32_e32 v9, vcc, v25, v2, vcc
	global_store_dwordx2 v[8:9], v[12:13], off
	s_waitcnt vmcnt(0)
	global_atomic_cmpswap_x2 v[4:5], v28, v[10:13], s[26:27] offset:32 glc
	s_waitcnt vmcnt(0)
	v_cmp_ne_u64_e32 vcc, v[4:5], v[12:13]
	s_and_saveexec_b64 s[16:17], vcc
	s_cbranch_execz .LBB4_257
; %bb.255:                              ;   in Loop: Header=BB4_190 Depth=1
	s_mov_b64 s[18:19], 0
.LBB4_256:                              ;   Parent Loop BB4_190 Depth=1
                                        ; =>  This Inner Loop Header: Depth=2
	s_sleep 1
	global_store_dwordx2 v[8:9], v[4:5], off
	v_mov_b32_e32 v2, s12
	v_mov_b32_e32 v3, s13
	s_waitcnt vmcnt(0)
	global_atomic_cmpswap_x2 v[2:3], v28, v[2:5], s[26:27] offset:32 glc
	s_waitcnt vmcnt(0)
	v_cmp_eq_u64_e32 vcc, v[2:3], v[4:5]
	v_mov_b32_e32 v5, v3
	s_or_b64 s[18:19], vcc, s[18:19]
	v_mov_b32_e32 v4, v2
	s_andn2_b64 exec, exec, s[18:19]
	s_cbranch_execnz .LBB4_256
.LBB4_257:                              ;   in Loop: Header=BB4_190 Depth=1
	s_or_b64 exec, exec, s[16:17]
	global_load_dwordx2 v[2:3], v28, s[26:27] offset:16
	s_mov_b64 s[18:19], exec
	v_mbcnt_lo_u32_b32 v4, s18, 0
	v_mbcnt_hi_u32_b32 v4, s19, v4
	v_cmp_eq_u32_e32 vcc, 0, v4
	s_and_saveexec_b64 s[16:17], vcc
	s_cbranch_execz .LBB4_259
; %bb.258:                              ;   in Loop: Header=BB4_190 Depth=1
	s_bcnt1_i32_b64 s18, s[18:19]
	v_mov_b32_e32 v27, s18
	s_waitcnt vmcnt(0)
	global_atomic_add_x2 v[2:3], v[27:28], off offset:8
.LBB4_259:                              ;   in Loop: Header=BB4_190 Depth=1
	s_or_b64 exec, exec, s[16:17]
	s_waitcnt vmcnt(0)
	global_load_dwordx2 v[4:5], v[2:3], off offset:16
	s_waitcnt vmcnt(0)
	v_cmp_eq_u64_e32 vcc, 0, v[4:5]
	s_cbranch_vccnz .LBB4_261
; %bb.260:                              ;   in Loop: Header=BB4_190 Depth=1
	global_load_dword v27, v[2:3], off offset:24
	s_waitcnt vmcnt(0)
	v_and_b32_e32 v2, 0xffffff, v27
	v_readfirstlane_b32 m0, v2
	global_store_dwordx2 v[4:5], v[27:28], off
	s_sendmsg sendmsg(MSG_INTERRUPT)
.LBB4_261:                              ;   in Loop: Header=BB4_190 Depth=1
	s_or_b64 exec, exec, s[14:15]
	v_add_co_u32_e32 v2, vcc, v26, v38
	v_addc_co_u32_e32 v3, vcc, 0, v33, vcc
	s_branch .LBB4_265
.LBB4_262:                              ;   in Loop: Header=BB4_265 Depth=2
	s_or_b64 exec, exec, s[14:15]
	v_readfirstlane_b32 s14, v4
	s_cmp_eq_u32 s14, 0
	s_cbranch_scc1 .LBB4_264
; %bb.263:                              ;   in Loop: Header=BB4_265 Depth=2
	s_sleep 1
	s_cbranch_execnz .LBB4_265
	s_branch .LBB4_267
.LBB4_264:                              ;   in Loop: Header=BB4_190 Depth=1
	s_branch .LBB4_267
.LBB4_265:                              ;   Parent Loop BB4_190 Depth=1
                                        ; =>  This Inner Loop Header: Depth=2
	v_mov_b32_e32 v4, 1
	s_and_saveexec_b64 s[14:15], s[4:5]
	s_cbranch_execz .LBB4_262
; %bb.266:                              ;   in Loop: Header=BB4_265 Depth=2
	global_load_dword v4, v[29:30], off offset:20 glc
	s_waitcnt vmcnt(0)
	buffer_wbinvl1_vol
	v_and_b32_e32 v4, 1, v4
	s_branch .LBB4_262
.LBB4_267:                              ;   in Loop: Header=BB4_190 Depth=1
	global_load_dwordx4 v[2:5], v[2:3], off
	s_and_saveexec_b64 s[14:15], s[4:5]
	s_cbranch_execz .LBB4_189
; %bb.268:                              ;   in Loop: Header=BB4_190 Depth=1
	global_load_dwordx2 v[4:5], v28, s[26:27] offset:40
	global_load_dwordx2 v[12:13], v28, s[26:27] offset:24 glc
	global_load_dwordx2 v[14:15], v28, s[26:27]
	v_mov_b32_e32 v9, s13
	s_waitcnt vmcnt(0)
	v_add_co_u32_e32 v10, vcc, 1, v4
	v_addc_co_u32_e32 v11, vcc, 0, v5, vcc
	v_add_co_u32_e32 v8, vcc, s12, v10
	v_addc_co_u32_e32 v9, vcc, v11, v9, vcc
	v_cmp_eq_u64_e32 vcc, 0, v[8:9]
	v_cndmask_b32_e32 v9, v9, v11, vcc
	v_cndmask_b32_e32 v8, v8, v10, vcc
	v_and_b32_e32 v5, v9, v5
	v_and_b32_e32 v4, v8, v4
	v_mul_lo_u32 v5, v5, 24
	v_mul_hi_u32 v11, v4, 24
	v_mul_lo_u32 v4, v4, 24
	v_mov_b32_e32 v10, v12
	v_add_u32_e32 v5, v11, v5
	v_add_co_u32_e32 v4, vcc, v14, v4
	v_addc_co_u32_e32 v5, vcc, v15, v5, vcc
	global_store_dwordx2 v[4:5], v[12:13], off
	v_mov_b32_e32 v11, v13
	s_waitcnt vmcnt(0)
	global_atomic_cmpswap_x2 v[10:11], v28, v[8:11], s[26:27] offset:24 glc
	s_waitcnt vmcnt(0)
	v_cmp_ne_u64_e32 vcc, v[10:11], v[12:13]
	s_and_b64 exec, exec, vcc
	s_cbranch_execz .LBB4_189
; %bb.269:                              ;   in Loop: Header=BB4_190 Depth=1
	s_mov_b64 s[4:5], 0
.LBB4_270:                              ;   Parent Loop BB4_190 Depth=1
                                        ; =>  This Inner Loop Header: Depth=2
	s_sleep 1
	global_store_dwordx2 v[4:5], v[10:11], off
	s_waitcnt vmcnt(0)
	global_atomic_cmpswap_x2 v[12:13], v28, v[8:11], s[26:27] offset:24 glc
	s_waitcnt vmcnt(0)
	v_cmp_eq_u64_e32 vcc, v[12:13], v[10:11]
	v_mov_b32_e32 v10, v12
	s_or_b64 s[4:5], vcc, s[4:5]
	v_mov_b32_e32 v11, v13
	s_andn2_b64 exec, exec, s[4:5]
	s_cbranch_execnz .LBB4_270
	s_branch .LBB4_189
.LBB4_271:
	s_branch .LBB4_299
.LBB4_272:
                                        ; implicit-def: $vgpr2_vgpr3
	s_cbranch_execz .LBB4_299
; %bb.273:
	v_readfirstlane_b32 s4, v39
	v_mov_b32_e32 v8, 0
	v_mov_b32_e32 v9, 0
	v_cmp_eq_u32_e64 s[4:5], s4, v39
	s_and_saveexec_b64 s[6:7], s[4:5]
	s_cbranch_execz .LBB4_279
; %bb.274:
	s_waitcnt vmcnt(0)
	v_mov_b32_e32 v2, 0
	global_load_dwordx2 v[5:6], v2, s[26:27] offset:24 glc
	s_waitcnt vmcnt(0)
	buffer_wbinvl1_vol
	global_load_dwordx2 v[3:4], v2, s[26:27] offset:40
	global_load_dwordx2 v[7:8], v2, s[26:27]
	s_waitcnt vmcnt(0)
	v_and_b32_e32 v3, v3, v5
	v_and_b32_e32 v4, v4, v6
	v_mul_lo_u32 v4, v4, 24
	v_mul_hi_u32 v9, v3, 24
	v_mul_lo_u32 v3, v3, 24
	v_add_u32_e32 v4, v9, v4
	v_add_co_u32_e32 v3, vcc, v7, v3
	v_addc_co_u32_e32 v4, vcc, v8, v4, vcc
	global_load_dwordx2 v[3:4], v[3:4], off glc
	s_waitcnt vmcnt(0)
	global_atomic_cmpswap_x2 v[8:9], v2, v[3:6], s[26:27] offset:24 glc
	s_waitcnt vmcnt(0)
	buffer_wbinvl1_vol
	v_cmp_ne_u64_e32 vcc, v[8:9], v[5:6]
	s_and_saveexec_b64 s[8:9], vcc
	s_cbranch_execz .LBB4_278
; %bb.275:
	s_mov_b64 s[10:11], 0
.LBB4_276:                              ; =>This Inner Loop Header: Depth=1
	s_sleep 1
	global_load_dwordx2 v[3:4], v2, s[26:27] offset:40
	global_load_dwordx2 v[10:11], v2, s[26:27]
	v_mov_b32_e32 v5, v8
	v_mov_b32_e32 v6, v9
	s_waitcnt vmcnt(0)
	v_and_b32_e32 v3, v3, v5
	v_mad_u64_u32 v[7:8], s[12:13], v3, 24, v[10:11]
	v_and_b32_e32 v4, v4, v6
	v_mov_b32_e32 v3, v8
	v_mad_u64_u32 v[3:4], s[12:13], v4, 24, v[3:4]
	v_mov_b32_e32 v8, v3
	global_load_dwordx2 v[3:4], v[7:8], off glc
	s_waitcnt vmcnt(0)
	global_atomic_cmpswap_x2 v[8:9], v2, v[3:6], s[26:27] offset:24 glc
	s_waitcnt vmcnt(0)
	buffer_wbinvl1_vol
	v_cmp_eq_u64_e32 vcc, v[8:9], v[5:6]
	s_or_b64 s[10:11], vcc, s[10:11]
	s_andn2_b64 exec, exec, s[10:11]
	s_cbranch_execnz .LBB4_276
; %bb.277:
	s_or_b64 exec, exec, s[10:11]
.LBB4_278:
	s_or_b64 exec, exec, s[8:9]
.LBB4_279:
	s_or_b64 exec, exec, s[6:7]
	s_waitcnt vmcnt(0)
	v_mov_b32_e32 v2, 0
	global_load_dwordx2 v[10:11], v2, s[26:27] offset:40
	global_load_dwordx4 v[4:7], v2, s[26:27]
	v_readfirstlane_b32 s6, v8
	v_readfirstlane_b32 s7, v9
	s_mov_b64 s[8:9], exec
	s_waitcnt vmcnt(0)
	v_readfirstlane_b32 s10, v10
	v_readfirstlane_b32 s11, v11
	s_and_b64 s[10:11], s[6:7], s[10:11]
	s_mul_i32 s12, s11, 24
	s_mul_hi_u32 s13, s10, 24
	s_mul_i32 s14, s10, 24
	s_add_i32 s12, s13, s12
	v_mov_b32_e32 v3, s12
	v_add_co_u32_e32 v8, vcc, s14, v4
	v_addc_co_u32_e32 v9, vcc, v5, v3, vcc
	s_and_saveexec_b64 s[12:13], s[4:5]
	s_cbranch_execz .LBB4_281
; %bb.280:
	v_mov_b32_e32 v11, s9
	v_mov_b32_e32 v10, s8
	;; [unrolled: 1-line block ×4, first 2 shown]
	global_store_dwordx4 v[8:9], v[10:13], off offset:8
.LBB4_281:
	s_or_b64 exec, exec, s[12:13]
	s_lshl_b64 s[8:9], s[10:11], 12
	v_mov_b32_e32 v3, s9
	v_add_co_u32_e32 v10, vcc, s8, v6
	v_addc_co_u32_e32 v11, vcc, v7, v3, vcc
	s_movk_i32 s8, 0xff1f
	v_and_or_b32 v0, v0, s8, 32
	s_mov_b32 s8, 0
	v_mov_b32_e32 v3, v2
	v_readfirstlane_b32 s12, v10
	v_readfirstlane_b32 s13, v11
	v_add_co_u32_e32 v6, vcc, v10, v38
	s_mov_b32 s9, s8
	s_mov_b32 s10, s8
	;; [unrolled: 1-line block ×3, first 2 shown]
	s_nop 0
	global_store_dwordx4 v38, v[0:3], s[12:13]
	v_addc_co_u32_e32 v7, vcc, 0, v11, vcc
	v_mov_b32_e32 v0, s8
	v_mov_b32_e32 v1, s9
	;; [unrolled: 1-line block ×4, first 2 shown]
	global_store_dwordx4 v38, v[0:3], s[12:13] offset:16
	global_store_dwordx4 v38, v[0:3], s[12:13] offset:32
	;; [unrolled: 1-line block ×3, first 2 shown]
	s_and_saveexec_b64 s[8:9], s[4:5]
	s_cbranch_execz .LBB4_289
; %bb.282:
	v_mov_b32_e32 v10, 0
	global_load_dwordx2 v[13:14], v10, s[26:27] offset:32 glc
	global_load_dwordx2 v[0:1], v10, s[26:27] offset:40
	v_mov_b32_e32 v11, s6
	v_mov_b32_e32 v12, s7
	s_waitcnt vmcnt(0)
	v_readfirstlane_b32 s10, v0
	v_readfirstlane_b32 s11, v1
	s_and_b64 s[10:11], s[10:11], s[6:7]
	s_mul_i32 s11, s11, 24
	s_mul_hi_u32 s12, s10, 24
	s_mul_i32 s10, s10, 24
	s_add_i32 s11, s12, s11
	v_mov_b32_e32 v0, s11
	v_add_co_u32_e32 v4, vcc, s10, v4
	v_addc_co_u32_e32 v5, vcc, v5, v0, vcc
	global_store_dwordx2 v[4:5], v[13:14], off
	s_waitcnt vmcnt(0)
	global_atomic_cmpswap_x2 v[2:3], v10, v[11:14], s[26:27] offset:32 glc
	s_waitcnt vmcnt(0)
	v_cmp_ne_u64_e32 vcc, v[2:3], v[13:14]
	s_and_saveexec_b64 s[10:11], vcc
	s_cbranch_execz .LBB4_285
; %bb.283:
	s_mov_b64 s[12:13], 0
.LBB4_284:                              ; =>This Inner Loop Header: Depth=1
	s_sleep 1
	global_store_dwordx2 v[4:5], v[2:3], off
	v_mov_b32_e32 v0, s6
	v_mov_b32_e32 v1, s7
	s_waitcnt vmcnt(0)
	global_atomic_cmpswap_x2 v[0:1], v10, v[0:3], s[26:27] offset:32 glc
	s_waitcnt vmcnt(0)
	v_cmp_eq_u64_e32 vcc, v[0:1], v[2:3]
	v_mov_b32_e32 v3, v1
	s_or_b64 s[12:13], vcc, s[12:13]
	v_mov_b32_e32 v2, v0
	s_andn2_b64 exec, exec, s[12:13]
	s_cbranch_execnz .LBB4_284
.LBB4_285:
	s_or_b64 exec, exec, s[10:11]
	v_mov_b32_e32 v3, 0
	global_load_dwordx2 v[0:1], v3, s[26:27] offset:16
	s_mov_b64 s[10:11], exec
	v_mbcnt_lo_u32_b32 v2, s10, 0
	v_mbcnt_hi_u32_b32 v2, s11, v2
	v_cmp_eq_u32_e32 vcc, 0, v2
	s_and_saveexec_b64 s[12:13], vcc
	s_cbranch_execz .LBB4_287
; %bb.286:
	s_bcnt1_i32_b64 s10, s[10:11]
	v_mov_b32_e32 v2, s10
	s_waitcnt vmcnt(0)
	global_atomic_add_x2 v[0:1], v[2:3], off offset:8
.LBB4_287:
	s_or_b64 exec, exec, s[12:13]
	s_waitcnt vmcnt(0)
	global_load_dwordx2 v[2:3], v[0:1], off offset:16
	s_waitcnt vmcnt(0)
	v_cmp_eq_u64_e32 vcc, 0, v[2:3]
	s_cbranch_vccnz .LBB4_289
; %bb.288:
	global_load_dword v0, v[0:1], off offset:24
	v_mov_b32_e32 v1, 0
	s_waitcnt vmcnt(0)
	global_store_dwordx2 v[2:3], v[0:1], off
	v_and_b32_e32 v0, 0xffffff, v0
	v_readfirstlane_b32 m0, v0
	s_sendmsg sendmsg(MSG_INTERRUPT)
.LBB4_289:
	s_or_b64 exec, exec, s[8:9]
	s_branch .LBB4_293
.LBB4_290:                              ;   in Loop: Header=BB4_293 Depth=1
	s_or_b64 exec, exec, s[8:9]
	v_readfirstlane_b32 s8, v0
	s_cmp_eq_u32 s8, 0
	s_cbranch_scc1 .LBB4_292
; %bb.291:                              ;   in Loop: Header=BB4_293 Depth=1
	s_sleep 1
	s_cbranch_execnz .LBB4_293
	s_branch .LBB4_295
.LBB4_292:
	s_branch .LBB4_295
.LBB4_293:                              ; =>This Inner Loop Header: Depth=1
	v_mov_b32_e32 v0, 1
	s_and_saveexec_b64 s[8:9], s[4:5]
	s_cbranch_execz .LBB4_290
; %bb.294:                              ;   in Loop: Header=BB4_293 Depth=1
	global_load_dword v0, v[8:9], off offset:20 glc
	s_waitcnt vmcnt(0)
	buffer_wbinvl1_vol
	v_and_b32_e32 v0, 1, v0
	s_branch .LBB4_290
.LBB4_295:
	global_load_dwordx2 v[2:3], v[6:7], off
	s_and_saveexec_b64 s[8:9], s[4:5]
	s_cbranch_execz .LBB4_298
; %bb.296:
	v_mov_b32_e32 v8, 0
	global_load_dwordx2 v[0:1], v8, s[26:27] offset:40
	global_load_dwordx2 v[9:10], v8, s[26:27] offset:24 glc
	global_load_dwordx2 v[11:12], v8, s[26:27]
	v_mov_b32_e32 v5, s7
	s_mov_b64 s[4:5], 0
	s_waitcnt vmcnt(0)
	v_add_co_u32_e32 v6, vcc, 1, v0
	v_addc_co_u32_e32 v7, vcc, 0, v1, vcc
	v_add_co_u32_e32 v4, vcc, s6, v6
	v_addc_co_u32_e32 v5, vcc, v7, v5, vcc
	v_cmp_eq_u64_e32 vcc, 0, v[4:5]
	v_cndmask_b32_e32 v5, v5, v7, vcc
	v_cndmask_b32_e32 v4, v4, v6, vcc
	v_and_b32_e32 v1, v5, v1
	v_and_b32_e32 v0, v4, v0
	v_mul_lo_u32 v1, v1, 24
	v_mul_hi_u32 v7, v0, 24
	v_mul_lo_u32 v0, v0, 24
	v_mov_b32_e32 v6, v9
	v_add_u32_e32 v1, v7, v1
	v_add_co_u32_e32 v0, vcc, v11, v0
	v_addc_co_u32_e32 v1, vcc, v12, v1, vcc
	global_store_dwordx2 v[0:1], v[9:10], off
	v_mov_b32_e32 v7, v10
	s_waitcnt vmcnt(0)
	global_atomic_cmpswap_x2 v[6:7], v8, v[4:7], s[26:27] offset:24 glc
	s_waitcnt vmcnt(0)
	v_cmp_ne_u64_e32 vcc, v[6:7], v[9:10]
	s_and_b64 exec, exec, vcc
	s_cbranch_execz .LBB4_298
.LBB4_297:                              ; =>This Inner Loop Header: Depth=1
	s_sleep 1
	global_store_dwordx2 v[0:1], v[6:7], off
	s_waitcnt vmcnt(0)
	global_atomic_cmpswap_x2 v[9:10], v8, v[4:7], s[26:27] offset:24 glc
	s_waitcnt vmcnt(0)
	v_cmp_eq_u64_e32 vcc, v[9:10], v[6:7]
	v_mov_b32_e32 v6, v9
	s_or_b64 s[4:5], vcc, s[4:5]
	v_mov_b32_e32 v7, v10
	s_andn2_b64 exec, exec, s[4:5]
	s_cbranch_execnz .LBB4_297
.LBB4_298:
	s_or_b64 exec, exec, s[8:9]
.LBB4_299:
	v_readfirstlane_b32 s4, v39
	s_waitcnt vmcnt(0)
	v_mov_b32_e32 v0, 0
	v_mov_b32_e32 v1, 0
	v_cmp_eq_u32_e64 s[4:5], s4, v39
	s_and_saveexec_b64 s[6:7], s[4:5]
	s_cbranch_execz .LBB4_305
; %bb.300:
	v_mov_b32_e32 v4, 0
	global_load_dwordx2 v[7:8], v4, s[26:27] offset:24 glc
	s_waitcnt vmcnt(0)
	buffer_wbinvl1_vol
	global_load_dwordx2 v[0:1], v4, s[26:27] offset:40
	global_load_dwordx2 v[5:6], v4, s[26:27]
	s_waitcnt vmcnt(0)
	v_and_b32_e32 v0, v0, v7
	v_and_b32_e32 v1, v1, v8
	v_mul_lo_u32 v1, v1, 24
	v_mul_hi_u32 v9, v0, 24
	v_mul_lo_u32 v0, v0, 24
	v_add_u32_e32 v1, v9, v1
	v_add_co_u32_e32 v0, vcc, v5, v0
	v_addc_co_u32_e32 v1, vcc, v6, v1, vcc
	global_load_dwordx2 v[5:6], v[0:1], off glc
	s_waitcnt vmcnt(0)
	global_atomic_cmpswap_x2 v[0:1], v4, v[5:8], s[26:27] offset:24 glc
	s_waitcnt vmcnt(0)
	buffer_wbinvl1_vol
	v_cmp_ne_u64_e32 vcc, v[0:1], v[7:8]
	s_and_saveexec_b64 s[8:9], vcc
	s_cbranch_execz .LBB4_304
; %bb.301:
	s_mov_b64 s[10:11], 0
.LBB4_302:                              ; =>This Inner Loop Header: Depth=1
	s_sleep 1
	global_load_dwordx2 v[5:6], v4, s[26:27] offset:40
	global_load_dwordx2 v[9:10], v4, s[26:27]
	v_mov_b32_e32 v8, v1
	v_mov_b32_e32 v7, v0
	s_waitcnt vmcnt(0)
	v_and_b32_e32 v0, v5, v7
	v_mad_u64_u32 v[0:1], s[12:13], v0, 24, v[9:10]
	v_and_b32_e32 v5, v6, v8
	v_mad_u64_u32 v[5:6], s[12:13], v5, 24, v[1:2]
	v_mov_b32_e32 v1, v5
	global_load_dwordx2 v[5:6], v[0:1], off glc
	s_waitcnt vmcnt(0)
	global_atomic_cmpswap_x2 v[0:1], v4, v[5:8], s[26:27] offset:24 glc
	s_waitcnt vmcnt(0)
	buffer_wbinvl1_vol
	v_cmp_eq_u64_e32 vcc, v[0:1], v[7:8]
	s_or_b64 s[10:11], vcc, s[10:11]
	s_andn2_b64 exec, exec, s[10:11]
	s_cbranch_execnz .LBB4_302
; %bb.303:
	s_or_b64 exec, exec, s[10:11]
.LBB4_304:
	s_or_b64 exec, exec, s[8:9]
.LBB4_305:
	s_or_b64 exec, exec, s[6:7]
	v_mov_b32_e32 v5, 0
	global_load_dwordx2 v[10:11], v5, s[26:27] offset:40
	global_load_dwordx4 v[6:9], v5, s[26:27]
	v_readfirstlane_b32 s6, v0
	v_readfirstlane_b32 s7, v1
	s_mov_b64 s[8:9], exec
	s_waitcnt vmcnt(0)
	v_readfirstlane_b32 s10, v10
	v_readfirstlane_b32 s11, v11
	s_and_b64 s[10:11], s[6:7], s[10:11]
	s_mul_i32 s12, s11, 24
	s_mul_hi_u32 s13, s10, 24
	s_mul_i32 s14, s10, 24
	s_add_i32 s12, s13, s12
	v_mov_b32_e32 v0, s12
	v_add_co_u32_e32 v10, vcc, s14, v6
	v_addc_co_u32_e32 v11, vcc, v7, v0, vcc
	s_and_saveexec_b64 s[12:13], s[4:5]
	s_cbranch_execz .LBB4_307
; %bb.306:
	v_mov_b32_e32 v13, s9
	v_mov_b32_e32 v12, s8
	;; [unrolled: 1-line block ×4, first 2 shown]
	global_store_dwordx4 v[10:11], v[12:15], off offset:8
.LBB4_307:
	s_or_b64 exec, exec, s[12:13]
	s_lshl_b64 s[8:9], s[10:11], 12
	v_mov_b32_e32 v0, s9
	v_add_co_u32_e32 v1, vcc, s8, v8
	v_addc_co_u32_e32 v0, vcc, v9, v0, vcc
	s_movk_i32 s8, 0xff1d
	s_waitcnt lgkmcnt(0)
	v_bfe_i32 v4, v31, 0, 8
	v_and_or_b32 v2, v2, s8, 34
	s_mov_b32 s8, 0
	v_readfirstlane_b32 s12, v1
	v_readfirstlane_b32 s13, v0
	s_mov_b32 s9, s8
	s_mov_b32 s10, s8
	s_mov_b32 s11, s8
	s_nop 1
	global_store_dwordx4 v38, v[2:5], s[12:13]
	v_mov_b32_e32 v0, s8
	v_mov_b32_e32 v1, s9
	;; [unrolled: 1-line block ×4, first 2 shown]
	global_store_dwordx4 v38, v[0:3], s[12:13] offset:16
	global_store_dwordx4 v38, v[0:3], s[12:13] offset:32
	;; [unrolled: 1-line block ×3, first 2 shown]
	s_and_saveexec_b64 s[8:9], s[4:5]
	s_cbranch_execz .LBB4_315
; %bb.308:
	v_mov_b32_e32 v8, 0
	global_load_dwordx2 v[14:15], v8, s[26:27] offset:32 glc
	global_load_dwordx2 v[0:1], v8, s[26:27] offset:40
	v_mov_b32_e32 v12, s6
	v_mov_b32_e32 v13, s7
	s_waitcnt vmcnt(0)
	v_readfirstlane_b32 s10, v0
	v_readfirstlane_b32 s11, v1
	s_and_b64 s[10:11], s[10:11], s[6:7]
	s_mul_i32 s11, s11, 24
	s_mul_hi_u32 s12, s10, 24
	s_mul_i32 s10, s10, 24
	s_add_i32 s11, s12, s11
	v_mov_b32_e32 v0, s11
	v_add_co_u32_e32 v4, vcc, s10, v6
	v_addc_co_u32_e32 v5, vcc, v7, v0, vcc
	global_store_dwordx2 v[4:5], v[14:15], off
	s_waitcnt vmcnt(0)
	global_atomic_cmpswap_x2 v[2:3], v8, v[12:15], s[26:27] offset:32 glc
	s_waitcnt vmcnt(0)
	v_cmp_ne_u64_e32 vcc, v[2:3], v[14:15]
	s_and_saveexec_b64 s[10:11], vcc
	s_cbranch_execz .LBB4_311
; %bb.309:
	s_mov_b64 s[12:13], 0
.LBB4_310:                              ; =>This Inner Loop Header: Depth=1
	s_sleep 1
	global_store_dwordx2 v[4:5], v[2:3], off
	v_mov_b32_e32 v0, s6
	v_mov_b32_e32 v1, s7
	s_waitcnt vmcnt(0)
	global_atomic_cmpswap_x2 v[0:1], v8, v[0:3], s[26:27] offset:32 glc
	s_waitcnt vmcnt(0)
	v_cmp_eq_u64_e32 vcc, v[0:1], v[2:3]
	v_mov_b32_e32 v3, v1
	s_or_b64 s[12:13], vcc, s[12:13]
	v_mov_b32_e32 v2, v0
	s_andn2_b64 exec, exec, s[12:13]
	s_cbranch_execnz .LBB4_310
.LBB4_311:
	s_or_b64 exec, exec, s[10:11]
	v_mov_b32_e32 v3, 0
	global_load_dwordx2 v[0:1], v3, s[26:27] offset:16
	s_mov_b64 s[10:11], exec
	v_mbcnt_lo_u32_b32 v2, s10, 0
	v_mbcnt_hi_u32_b32 v2, s11, v2
	v_cmp_eq_u32_e32 vcc, 0, v2
	s_and_saveexec_b64 s[12:13], vcc
	s_cbranch_execz .LBB4_313
; %bb.312:
	s_bcnt1_i32_b64 s10, s[10:11]
	v_mov_b32_e32 v2, s10
	s_waitcnt vmcnt(0)
	global_atomic_add_x2 v[0:1], v[2:3], off offset:8
.LBB4_313:
	s_or_b64 exec, exec, s[12:13]
	s_waitcnt vmcnt(0)
	global_load_dwordx2 v[2:3], v[0:1], off offset:16
	s_waitcnt vmcnt(0)
	v_cmp_eq_u64_e32 vcc, 0, v[2:3]
	s_cbranch_vccnz .LBB4_315
; %bb.314:
	global_load_dword v0, v[0:1], off offset:24
	v_mov_b32_e32 v1, 0
	s_waitcnt vmcnt(0)
	global_store_dwordx2 v[2:3], v[0:1], off
	v_and_b32_e32 v0, 0xffffff, v0
	v_readfirstlane_b32 m0, v0
	s_sendmsg sendmsg(MSG_INTERRUPT)
.LBB4_315:
	s_or_b64 exec, exec, s[8:9]
	s_branch .LBB4_319
.LBB4_316:                              ;   in Loop: Header=BB4_319 Depth=1
	s_or_b64 exec, exec, s[8:9]
	v_readfirstlane_b32 s8, v0
	s_cmp_eq_u32 s8, 0
	s_cbranch_scc1 .LBB4_318
; %bb.317:                              ;   in Loop: Header=BB4_319 Depth=1
	s_sleep 1
	s_cbranch_execnz .LBB4_319
	s_branch .LBB4_321
.LBB4_318:
	s_branch .LBB4_321
.LBB4_319:                              ; =>This Inner Loop Header: Depth=1
	v_mov_b32_e32 v0, 1
	s_and_saveexec_b64 s[8:9], s[4:5]
	s_cbranch_execz .LBB4_316
; %bb.320:                              ;   in Loop: Header=BB4_319 Depth=1
	global_load_dword v0, v[10:11], off offset:20 glc
	s_waitcnt vmcnt(0)
	buffer_wbinvl1_vol
	v_and_b32_e32 v0, 1, v0
	s_branch .LBB4_316
.LBB4_321:
	s_and_saveexec_b64 s[8:9], s[4:5]
	s_cbranch_execz .LBB4_324
; %bb.322:
	v_mov_b32_e32 v6, 0
	global_load_dwordx2 v[2:3], v6, s[26:27] offset:40
	global_load_dwordx2 v[7:8], v6, s[26:27] offset:24 glc
	global_load_dwordx2 v[4:5], v6, s[26:27]
	v_mov_b32_e32 v1, s7
	s_mov_b64 s[4:5], 0
	s_waitcnt vmcnt(2)
	v_add_co_u32_e32 v9, vcc, 1, v2
	v_addc_co_u32_e32 v10, vcc, 0, v3, vcc
	v_add_co_u32_e32 v0, vcc, s6, v9
	v_addc_co_u32_e32 v1, vcc, v10, v1, vcc
	v_cmp_eq_u64_e32 vcc, 0, v[0:1]
	v_cndmask_b32_e32 v1, v1, v10, vcc
	v_cndmask_b32_e32 v0, v0, v9, vcc
	v_and_b32_e32 v3, v1, v3
	v_and_b32_e32 v2, v0, v2
	v_mul_lo_u32 v3, v3, 24
	v_mul_hi_u32 v9, v2, 24
	v_mul_lo_u32 v10, v2, 24
	s_waitcnt vmcnt(1)
	v_mov_b32_e32 v2, v7
	v_add_u32_e32 v3, v9, v3
	s_waitcnt vmcnt(0)
	v_add_co_u32_e32 v4, vcc, v4, v10
	v_addc_co_u32_e32 v5, vcc, v5, v3, vcc
	global_store_dwordx2 v[4:5], v[7:8], off
	v_mov_b32_e32 v3, v8
	s_waitcnt vmcnt(0)
	global_atomic_cmpswap_x2 v[2:3], v6, v[0:3], s[26:27] offset:24 glc
	s_waitcnt vmcnt(0)
	v_cmp_ne_u64_e32 vcc, v[2:3], v[7:8]
	s_and_b64 exec, exec, vcc
	s_cbranch_execz .LBB4_324
.LBB4_323:                              ; =>This Inner Loop Header: Depth=1
	s_sleep 1
	global_store_dwordx2 v[4:5], v[2:3], off
	s_waitcnt vmcnt(0)
	global_atomic_cmpswap_x2 v[7:8], v6, v[0:3], s[26:27] offset:24 glc
	s_waitcnt vmcnt(0)
	v_cmp_eq_u64_e32 vcc, v[7:8], v[2:3]
	v_mov_b32_e32 v2, v7
	s_or_b64 s[4:5], vcc, s[4:5]
	v_mov_b32_e32 v3, v8
	s_andn2_b64 exec, exec, s[4:5]
	s_cbranch_execnz .LBB4_323
.LBB4_324:
	s_or_b64 exec, exec, s[8:9]
	v_readlane_b32 s30, v40, 0
	v_readlane_b32 s31, v40, 1
	s_or_saveexec_b64 s[4:5], -1
	buffer_load_dword v40, off, s[0:3], s33 ; 4-byte Folded Reload
	s_mov_b64 exec, s[4:5]
	s_addk_i32 s32, 0xfc00
	s_mov_b32 s33, s23
	s_waitcnt vmcnt(0) lgkmcnt(0)
	s_setpc_b64 s[30:31]
.Lfunc_end4:
	.size	_ZN8migraphx4testlsIKNS_13basic_printerIZNS_4coutEvEUlT_E_EEEERS3_S7_RKNS0_10expressionINS0_14lhs_expressionIRcNS0_3nopEEEcNS0_5equalEEE, .Lfunc_end4-_ZN8migraphx4testlsIKNS_13basic_printerIZNS_4coutEvEUlT_E_EEEERS3_S7_RKNS0_10expressionINS0_14lhs_expressionIRcNS0_3nopEEEcNS0_5equalEEE
                                        ; -- End function
	.section	.AMDGPU.csdata,"",@progbits
; Function info:
; codeLenInByte = 11604
; NumSgprs: 42
; NumVgprs: 41
; ScratchSize: 16
; MemoryBound: 0
	.text
	.p2align	2                               ; -- Begin function _ZN8migraphx4testlsIKNS_13basic_printerIZNS_4coutEvEUlT_E_EEEERS3_S7_RKNS0_10expressionINS0_14lhs_expressionIRiNS0_3nopEEEiNS0_5equalEEE
	.type	_ZN8migraphx4testlsIKNS_13basic_printerIZNS_4coutEvEUlT_E_EEEERS3_S7_RKNS0_10expressionINS0_14lhs_expressionIRiNS0_3nopEEEiNS0_5equalEEE,@function
_ZN8migraphx4testlsIKNS_13basic_printerIZNS_4coutEvEUlT_E_EEEERS3_S7_RKNS0_10expressionINS0_14lhs_expressionIRiNS0_3nopEEEiNS0_5equalEEE: ; @_ZN8migraphx4testlsIKNS_13basic_printerIZNS_4coutEvEUlT_E_EEEERS3_S7_RKNS0_10expressionINS0_14lhs_expressionIRiNS0_3nopEEEiNS0_5equalEEE
; %bb.0:
	s_waitcnt vmcnt(0) expcnt(0) lgkmcnt(0)
	s_mov_b32 s23, s33
	s_mov_b32 s33, s32
	s_or_saveexec_b64 s[4:5], -1
	buffer_store_dword v40, off, s[0:3], s33 ; 4-byte Folded Spill
	s_mov_b64 exec, s[4:5]
	s_addk_i32 s32, 0x400
	v_writelane_b32 v40, s34, 0
	v_writelane_b32 v40, s35, 1
	;; [unrolled: 1-line block ×6, first 2 shown]
	v_mov_b32_e32 v37, v1
	v_mov_b32_e32 v36, v0
	flat_load_dwordx2 v[0:1], v[36:37]
	s_load_dwordx2 s[26:27], s[8:9], 0x50
	v_mov_b32_e32 v5, 0
	s_mov_b64 s[24:25], s[8:9]
	v_mov_b32_e32 v6, 0
	s_waitcnt vmcnt(0) lgkmcnt(0)
	flat_load_dword v31, v[0:1]
	v_mbcnt_lo_u32_b32 v0, -1, 0
	v_mbcnt_hi_u32_b32 v39, -1, v0
	v_readfirstlane_b32 s4, v39
	v_cmp_eq_u32_e64 s[4:5], s4, v39
	s_and_saveexec_b64 s[6:7], s[4:5]
	s_cbranch_execz .LBB5_6
; %bb.1:
	v_mov_b32_e32 v0, 0
	global_load_dwordx2 v[3:4], v0, s[26:27] offset:24 glc
	s_waitcnt vmcnt(0)
	buffer_wbinvl1_vol
	global_load_dwordx2 v[1:2], v0, s[26:27] offset:40
	global_load_dwordx2 v[5:6], v0, s[26:27]
	s_waitcnt vmcnt(0)
	v_and_b32_e32 v1, v1, v3
	v_and_b32_e32 v2, v2, v4
	v_mul_lo_u32 v2, v2, 24
	v_mul_hi_u32 v7, v1, 24
	v_mul_lo_u32 v1, v1, 24
	v_add_u32_e32 v2, v7, v2
	v_add_co_u32_e32 v1, vcc, v5, v1
	v_addc_co_u32_e32 v2, vcc, v6, v2, vcc
	global_load_dwordx2 v[1:2], v[1:2], off glc
	s_waitcnt vmcnt(0)
	global_atomic_cmpswap_x2 v[5:6], v0, v[1:4], s[26:27] offset:24 glc
	s_waitcnt vmcnt(0)
	buffer_wbinvl1_vol
	v_cmp_ne_u64_e32 vcc, v[5:6], v[3:4]
	s_and_saveexec_b64 s[10:11], vcc
	s_cbranch_execz .LBB5_5
; %bb.2:
	s_mov_b64 s[12:13], 0
.LBB5_3:                                ; =>This Inner Loop Header: Depth=1
	s_sleep 1
	global_load_dwordx2 v[1:2], v0, s[26:27] offset:40
	global_load_dwordx2 v[7:8], v0, s[26:27]
	v_mov_b32_e32 v3, v5
	v_mov_b32_e32 v4, v6
	s_waitcnt vmcnt(0)
	v_and_b32_e32 v1, v1, v3
	v_mad_u64_u32 v[5:6], s[14:15], v1, 24, v[7:8]
	v_and_b32_e32 v2, v2, v4
	v_mov_b32_e32 v1, v6
	v_mad_u64_u32 v[1:2], s[14:15], v2, 24, v[1:2]
	v_mov_b32_e32 v6, v1
	global_load_dwordx2 v[1:2], v[5:6], off glc
	s_waitcnt vmcnt(0)
	global_atomic_cmpswap_x2 v[5:6], v0, v[1:4], s[26:27] offset:24 glc
	s_waitcnt vmcnt(0)
	buffer_wbinvl1_vol
	v_cmp_eq_u64_e32 vcc, v[5:6], v[3:4]
	s_or_b64 s[12:13], vcc, s[12:13]
	s_andn2_b64 exec, exec, s[12:13]
	s_cbranch_execnz .LBB5_3
; %bb.4:
	s_or_b64 exec, exec, s[12:13]
.LBB5_5:
	s_or_b64 exec, exec, s[10:11]
.LBB5_6:
	s_or_b64 exec, exec, s[6:7]
	v_mov_b32_e32 v4, 0
	global_load_dwordx2 v[7:8], v4, s[26:27] offset:40
	global_load_dwordx4 v[0:3], v4, s[26:27]
	v_readfirstlane_b32 s6, v5
	v_readfirstlane_b32 s7, v6
	s_mov_b64 s[10:11], exec
	s_waitcnt vmcnt(0)
	v_readfirstlane_b32 s12, v7
	v_readfirstlane_b32 s13, v8
	s_and_b64 s[12:13], s[6:7], s[12:13]
	s_mul_i32 s14, s13, 24
	s_mul_hi_u32 s15, s12, 24
	s_mul_i32 s16, s12, 24
	s_add_i32 s14, s15, s14
	v_mov_b32_e32 v5, s14
	v_add_co_u32_e32 v7, vcc, s16, v0
	v_addc_co_u32_e32 v8, vcc, v1, v5, vcc
	s_and_saveexec_b64 s[14:15], s[4:5]
	s_cbranch_execz .LBB5_8
; %bb.7:
	v_mov_b32_e32 v9, s10
	v_mov_b32_e32 v10, s11
	;; [unrolled: 1-line block ×4, first 2 shown]
	global_store_dwordx4 v[7:8], v[9:12], off offset:8
.LBB5_8:
	s_or_b64 exec, exec, s[14:15]
	s_lshl_b64 s[10:11], s[12:13], 12
	v_mov_b32_e32 v5, s11
	v_add_co_u32_e32 v2, vcc, s10, v2
	v_addc_co_u32_e32 v11, vcc, v3, v5, vcc
	s_mov_b32 s12, 0
	v_lshlrev_b32_e32 v38, 6, v39
	v_mov_b32_e32 v3, 33
	v_mov_b32_e32 v5, v4
	;; [unrolled: 1-line block ×3, first 2 shown]
	v_readfirstlane_b32 s10, v2
	v_readfirstlane_b32 s11, v11
	v_add_co_u32_e32 v9, vcc, v2, v38
	s_mov_b32 s13, s12
	s_mov_b32 s14, s12
	;; [unrolled: 1-line block ×3, first 2 shown]
	s_nop 0
	global_store_dwordx4 v38, v[3:6], s[10:11]
	v_mov_b32_e32 v2, s12
	v_addc_co_u32_e32 v10, vcc, 0, v11, vcc
	v_mov_b32_e32 v3, s13
	v_mov_b32_e32 v4, s14
	;; [unrolled: 1-line block ×3, first 2 shown]
	global_store_dwordx4 v38, v[2:5], s[10:11] offset:16
	global_store_dwordx4 v38, v[2:5], s[10:11] offset:32
	;; [unrolled: 1-line block ×3, first 2 shown]
	s_and_saveexec_b64 s[10:11], s[4:5]
	s_cbranch_execz .LBB5_16
; %bb.9:
	v_mov_b32_e32 v6, 0
	global_load_dwordx2 v[13:14], v6, s[26:27] offset:32 glc
	global_load_dwordx2 v[2:3], v6, s[26:27] offset:40
	v_mov_b32_e32 v11, s6
	v_mov_b32_e32 v12, s7
	s_waitcnt vmcnt(0)
	v_and_b32_e32 v2, s6, v2
	v_and_b32_e32 v3, s7, v3
	v_mul_lo_u32 v3, v3, 24
	v_mul_hi_u32 v4, v2, 24
	v_mul_lo_u32 v2, v2, 24
	v_add_u32_e32 v3, v4, v3
	v_add_co_u32_e32 v4, vcc, v0, v2
	v_addc_co_u32_e32 v5, vcc, v1, v3, vcc
	global_store_dwordx2 v[4:5], v[13:14], off
	s_waitcnt vmcnt(0)
	global_atomic_cmpswap_x2 v[2:3], v6, v[11:14], s[26:27] offset:32 glc
	s_waitcnt vmcnt(0)
	v_cmp_ne_u64_e32 vcc, v[2:3], v[13:14]
	s_and_saveexec_b64 s[12:13], vcc
	s_cbranch_execz .LBB5_12
; %bb.10:
	s_mov_b64 s[14:15], 0
.LBB5_11:                               ; =>This Inner Loop Header: Depth=1
	s_sleep 1
	global_store_dwordx2 v[4:5], v[2:3], off
	v_mov_b32_e32 v0, s6
	v_mov_b32_e32 v1, s7
	s_waitcnt vmcnt(0)
	global_atomic_cmpswap_x2 v[0:1], v6, v[0:3], s[26:27] offset:32 glc
	s_waitcnt vmcnt(0)
	v_cmp_eq_u64_e32 vcc, v[0:1], v[2:3]
	v_mov_b32_e32 v3, v1
	s_or_b64 s[14:15], vcc, s[14:15]
	v_mov_b32_e32 v2, v0
	s_andn2_b64 exec, exec, s[14:15]
	s_cbranch_execnz .LBB5_11
.LBB5_12:
	s_or_b64 exec, exec, s[12:13]
	v_mov_b32_e32 v3, 0
	global_load_dwordx2 v[0:1], v3, s[26:27] offset:16
	s_mov_b64 s[12:13], exec
	v_mbcnt_lo_u32_b32 v2, s12, 0
	v_mbcnt_hi_u32_b32 v2, s13, v2
	v_cmp_eq_u32_e32 vcc, 0, v2
	s_and_saveexec_b64 s[14:15], vcc
	s_cbranch_execz .LBB5_14
; %bb.13:
	s_bcnt1_i32_b64 s12, s[12:13]
	v_mov_b32_e32 v2, s12
	s_waitcnt vmcnt(0)
	global_atomic_add_x2 v[0:1], v[2:3], off offset:8
.LBB5_14:
	s_or_b64 exec, exec, s[14:15]
	s_waitcnt vmcnt(0)
	global_load_dwordx2 v[2:3], v[0:1], off offset:16
	s_waitcnt vmcnt(0)
	v_cmp_eq_u64_e32 vcc, 0, v[2:3]
	s_cbranch_vccnz .LBB5_16
; %bb.15:
	global_load_dword v0, v[0:1], off offset:24
	v_mov_b32_e32 v1, 0
	s_waitcnt vmcnt(0)
	global_store_dwordx2 v[2:3], v[0:1], off
	v_and_b32_e32 v0, 0xffffff, v0
	v_readfirstlane_b32 m0, v0
	s_sendmsg sendmsg(MSG_INTERRUPT)
.LBB5_16:
	s_or_b64 exec, exec, s[10:11]
	s_branch .LBB5_20
.LBB5_17:                               ;   in Loop: Header=BB5_20 Depth=1
	s_or_b64 exec, exec, s[10:11]
	v_readfirstlane_b32 s10, v0
	s_cmp_eq_u32 s10, 0
	s_cbranch_scc1 .LBB5_19
; %bb.18:                               ;   in Loop: Header=BB5_20 Depth=1
	s_sleep 1
	s_cbranch_execnz .LBB5_20
	s_branch .LBB5_22
.LBB5_19:
	s_branch .LBB5_22
.LBB5_20:                               ; =>This Inner Loop Header: Depth=1
	v_mov_b32_e32 v0, 1
	s_and_saveexec_b64 s[10:11], s[4:5]
	s_cbranch_execz .LBB5_17
; %bb.21:                               ;   in Loop: Header=BB5_20 Depth=1
	global_load_dword v0, v[7:8], off offset:20 glc
	s_waitcnt vmcnt(0)
	buffer_wbinvl1_vol
	v_and_b32_e32 v0, 1, v0
	s_branch .LBB5_17
.LBB5_22:
	global_load_dwordx2 v[0:1], v[9:10], off
	s_and_saveexec_b64 s[10:11], s[4:5]
	s_cbranch_execz .LBB5_25
; %bb.23:
	v_mov_b32_e32 v8, 0
	global_load_dwordx2 v[4:5], v8, s[26:27] offset:40
	global_load_dwordx2 v[9:10], v8, s[26:27] offset:24 glc
	global_load_dwordx2 v[6:7], v8, s[26:27]
	v_mov_b32_e32 v3, s7
	s_mov_b64 s[4:5], 0
	s_waitcnt vmcnt(0)
	v_add_co_u32_e32 v11, vcc, 1, v4
	v_addc_co_u32_e32 v12, vcc, 0, v5, vcc
	v_add_co_u32_e32 v2, vcc, s6, v11
	v_addc_co_u32_e32 v3, vcc, v12, v3, vcc
	v_cmp_eq_u64_e32 vcc, 0, v[2:3]
	v_cndmask_b32_e32 v3, v3, v12, vcc
	v_cndmask_b32_e32 v2, v2, v11, vcc
	v_and_b32_e32 v5, v3, v5
	v_and_b32_e32 v4, v2, v4
	v_mul_lo_u32 v5, v5, 24
	v_mul_hi_u32 v11, v4, 24
	v_mul_lo_u32 v12, v4, 24
	v_mov_b32_e32 v4, v9
	v_add_u32_e32 v5, v11, v5
	v_add_co_u32_e32 v6, vcc, v6, v12
	v_addc_co_u32_e32 v7, vcc, v7, v5, vcc
	global_store_dwordx2 v[6:7], v[9:10], off
	v_mov_b32_e32 v5, v10
	s_waitcnt vmcnt(0)
	global_atomic_cmpswap_x2 v[4:5], v8, v[2:5], s[26:27] offset:24 glc
	s_waitcnt vmcnt(0)
	v_cmp_ne_u64_e32 vcc, v[4:5], v[9:10]
	s_and_b64 exec, exec, vcc
	s_cbranch_execz .LBB5_25
.LBB5_24:                               ; =>This Inner Loop Header: Depth=1
	s_sleep 1
	global_store_dwordx2 v[6:7], v[4:5], off
	s_waitcnt vmcnt(0)
	global_atomic_cmpswap_x2 v[9:10], v8, v[2:5], s[26:27] offset:24 glc
	s_waitcnt vmcnt(0)
	v_cmp_eq_u64_e32 vcc, v[9:10], v[4:5]
	v_mov_b32_e32 v4, v9
	s_or_b64 s[4:5], vcc, s[4:5]
	v_mov_b32_e32 v5, v10
	s_andn2_b64 exec, exec, s[4:5]
	s_cbranch_execnz .LBB5_24
.LBB5_25:
	s_or_b64 exec, exec, s[10:11]
	s_getpc_b64 s[6:7]
	s_add_u32 s6, s6, .str.9@rel32@lo+4
	s_addc_u32 s7, s7, .str.9@rel32@hi+12
	s_cmp_lg_u64 s[6:7], 0
	s_cselect_b64 s[28:29], -1, 0
	s_and_b64 vcc, exec, s[28:29]
	s_cbranch_vccz .LBB5_110
; %bb.26:
	s_waitcnt vmcnt(0)
	v_and_b32_e32 v32, 2, v0
	v_mov_b32_e32 v28, 0
	v_and_b32_e32 v2, -3, v0
	v_mov_b32_e32 v3, v1
	s_mov_b64 s[10:11], 4
	v_mov_b32_e32 v6, 2
	v_mov_b32_e32 v7, 1
	s_branch .LBB5_28
.LBB5_27:                               ;   in Loop: Header=BB5_28 Depth=1
	s_or_b64 exec, exec, s[16:17]
	s_sub_u32 s10, s10, s12
	s_subb_u32 s11, s11, s13
	s_add_u32 s6, s6, s12
	s_addc_u32 s7, s7, s13
	s_cmp_lg_u64 s[10:11], 0
	s_cbranch_scc0 .LBB5_109
.LBB5_28:                               ; =>This Loop Header: Depth=1
                                        ;     Child Loop BB5_31 Depth 2
                                        ;     Child Loop BB5_38 Depth 2
                                        ;     Child Loop BB5_46 Depth 2
                                        ;     Child Loop BB5_54 Depth 2
                                        ;     Child Loop BB5_62 Depth 2
                                        ;     Child Loop BB5_70 Depth 2
                                        ;     Child Loop BB5_78 Depth 2
                                        ;     Child Loop BB5_86 Depth 2
                                        ;     Child Loop BB5_94 Depth 2
                                        ;     Child Loop BB5_103 Depth 2
                                        ;     Child Loop BB5_108 Depth 2
	v_cmp_lt_u64_e64 s[4:5], s[10:11], 56
	v_cmp_gt_u64_e64 s[14:15], s[10:11], 7
	s_and_b64 s[4:5], s[4:5], exec
	s_cselect_b32 s13, s11, 0
	s_cselect_b32 s12, s10, 56
	s_and_b64 vcc, exec, s[14:15]
	s_cbranch_vccnz .LBB5_33
; %bb.29:                               ;   in Loop: Header=BB5_28 Depth=1
	v_mov_b32_e32 v10, 0
	s_cmp_eq_u64 s[10:11], 0
	v_mov_b32_e32 v11, 0
	s_mov_b64 s[4:5], 0
	s_cbranch_scc1 .LBB5_32
; %bb.30:                               ;   in Loop: Header=BB5_28 Depth=1
	v_mov_b32_e32 v10, 0
	s_lshl_b64 s[14:15], s[12:13], 3
	s_mov_b64 s[16:17], 0
	v_mov_b32_e32 v11, 0
	s_mov_b64 s[18:19], s[6:7]
.LBB5_31:                               ;   Parent Loop BB5_28 Depth=1
                                        ; =>  This Inner Loop Header: Depth=2
	global_load_ubyte v4, v28, s[18:19]
	s_waitcnt vmcnt(0)
	v_and_b32_e32 v27, 0xffff, v4
	v_lshlrev_b64 v[4:5], s16, v[27:28]
	s_add_u32 s16, s16, 8
	s_addc_u32 s17, s17, 0
	s_add_u32 s18, s18, 1
	s_addc_u32 s19, s19, 0
	v_or_b32_e32 v10, v4, v10
	s_cmp_lg_u32 s14, s16
	v_or_b32_e32 v11, v5, v11
	s_cbranch_scc1 .LBB5_31
.LBB5_32:                               ;   in Loop: Header=BB5_28 Depth=1
	s_mov_b32 s18, 0
	s_andn2_b64 vcc, exec, s[4:5]
	s_mov_b64 s[4:5], s[6:7]
	s_cbranch_vccz .LBB5_34
	s_branch .LBB5_35
.LBB5_33:                               ;   in Loop: Header=BB5_28 Depth=1
                                        ; implicit-def: $vgpr10_vgpr11
                                        ; implicit-def: $sgpr18
	s_mov_b64 s[4:5], s[6:7]
.LBB5_34:                               ;   in Loop: Header=BB5_28 Depth=1
	global_load_dwordx2 v[10:11], v28, s[6:7]
	s_add_i32 s18, s12, -8
	s_add_u32 s4, s6, 8
	s_addc_u32 s5, s7, 0
.LBB5_35:                               ;   in Loop: Header=BB5_28 Depth=1
	s_cmp_gt_u32 s18, 7
	s_cbranch_scc1 .LBB5_39
; %bb.36:                               ;   in Loop: Header=BB5_28 Depth=1
	s_cmp_eq_u32 s18, 0
	s_cbranch_scc1 .LBB5_40
; %bb.37:                               ;   in Loop: Header=BB5_28 Depth=1
	v_mov_b32_e32 v12, 0
	s_mov_b64 s[14:15], 0
	v_mov_b32_e32 v13, 0
	s_mov_b64 s[16:17], 0
.LBB5_38:                               ;   Parent Loop BB5_28 Depth=1
                                        ; =>  This Inner Loop Header: Depth=2
	s_add_u32 s20, s4, s16
	s_addc_u32 s21, s5, s17
	global_load_ubyte v4, v28, s[20:21]
	s_add_u32 s16, s16, 1
	s_addc_u32 s17, s17, 0
	s_waitcnt vmcnt(0)
	v_and_b32_e32 v27, 0xffff, v4
	v_lshlrev_b64 v[4:5], s14, v[27:28]
	s_add_u32 s14, s14, 8
	s_addc_u32 s15, s15, 0
	v_or_b32_e32 v12, v4, v12
	s_cmp_lg_u32 s18, s16
	v_or_b32_e32 v13, v5, v13
	s_cbranch_scc1 .LBB5_38
	s_branch .LBB5_41
.LBB5_39:                               ;   in Loop: Header=BB5_28 Depth=1
                                        ; implicit-def: $vgpr12_vgpr13
                                        ; implicit-def: $sgpr19
	s_branch .LBB5_42
.LBB5_40:                               ;   in Loop: Header=BB5_28 Depth=1
	v_mov_b32_e32 v12, 0
	v_mov_b32_e32 v13, 0
.LBB5_41:                               ;   in Loop: Header=BB5_28 Depth=1
	s_mov_b32 s19, 0
	s_cbranch_execnz .LBB5_43
.LBB5_42:                               ;   in Loop: Header=BB5_28 Depth=1
	global_load_dwordx2 v[12:13], v28, s[4:5]
	s_add_i32 s19, s18, -8
	s_add_u32 s4, s4, 8
	s_addc_u32 s5, s5, 0
.LBB5_43:                               ;   in Loop: Header=BB5_28 Depth=1
	s_cmp_gt_u32 s19, 7
	s_cbranch_scc1 .LBB5_47
; %bb.44:                               ;   in Loop: Header=BB5_28 Depth=1
	s_cmp_eq_u32 s19, 0
	s_cbranch_scc1 .LBB5_48
; %bb.45:                               ;   in Loop: Header=BB5_28 Depth=1
	v_mov_b32_e32 v14, 0
	s_mov_b64 s[14:15], 0
	v_mov_b32_e32 v15, 0
	s_mov_b64 s[16:17], 0
.LBB5_46:                               ;   Parent Loop BB5_28 Depth=1
                                        ; =>  This Inner Loop Header: Depth=2
	s_add_u32 s20, s4, s16
	s_addc_u32 s21, s5, s17
	global_load_ubyte v4, v28, s[20:21]
	s_add_u32 s16, s16, 1
	s_addc_u32 s17, s17, 0
	s_waitcnt vmcnt(0)
	v_and_b32_e32 v27, 0xffff, v4
	v_lshlrev_b64 v[4:5], s14, v[27:28]
	s_add_u32 s14, s14, 8
	s_addc_u32 s15, s15, 0
	v_or_b32_e32 v14, v4, v14
	s_cmp_lg_u32 s19, s16
	v_or_b32_e32 v15, v5, v15
	s_cbranch_scc1 .LBB5_46
	s_branch .LBB5_49
.LBB5_47:                               ;   in Loop: Header=BB5_28 Depth=1
                                        ; implicit-def: $sgpr18
	s_branch .LBB5_50
.LBB5_48:                               ;   in Loop: Header=BB5_28 Depth=1
	v_mov_b32_e32 v14, 0
	v_mov_b32_e32 v15, 0
.LBB5_49:                               ;   in Loop: Header=BB5_28 Depth=1
	s_mov_b32 s18, 0
	s_cbranch_execnz .LBB5_51
.LBB5_50:                               ;   in Loop: Header=BB5_28 Depth=1
	global_load_dwordx2 v[14:15], v28, s[4:5]
	s_add_i32 s18, s19, -8
	s_add_u32 s4, s4, 8
	s_addc_u32 s5, s5, 0
.LBB5_51:                               ;   in Loop: Header=BB5_28 Depth=1
	s_cmp_gt_u32 s18, 7
	s_cbranch_scc1 .LBB5_55
; %bb.52:                               ;   in Loop: Header=BB5_28 Depth=1
	s_cmp_eq_u32 s18, 0
	s_cbranch_scc1 .LBB5_56
; %bb.53:                               ;   in Loop: Header=BB5_28 Depth=1
	v_mov_b32_e32 v16, 0
	s_mov_b64 s[14:15], 0
	v_mov_b32_e32 v17, 0
	s_mov_b64 s[16:17], 0
.LBB5_54:                               ;   Parent Loop BB5_28 Depth=1
                                        ; =>  This Inner Loop Header: Depth=2
	s_add_u32 s20, s4, s16
	s_addc_u32 s21, s5, s17
	global_load_ubyte v4, v28, s[20:21]
	s_add_u32 s16, s16, 1
	s_addc_u32 s17, s17, 0
	s_waitcnt vmcnt(0)
	v_and_b32_e32 v27, 0xffff, v4
	v_lshlrev_b64 v[4:5], s14, v[27:28]
	s_add_u32 s14, s14, 8
	s_addc_u32 s15, s15, 0
	v_or_b32_e32 v16, v4, v16
	s_cmp_lg_u32 s18, s16
	v_or_b32_e32 v17, v5, v17
	s_cbranch_scc1 .LBB5_54
	s_branch .LBB5_57
.LBB5_55:                               ;   in Loop: Header=BB5_28 Depth=1
                                        ; implicit-def: $vgpr16_vgpr17
                                        ; implicit-def: $sgpr19
	s_branch .LBB5_58
.LBB5_56:                               ;   in Loop: Header=BB5_28 Depth=1
	v_mov_b32_e32 v16, 0
	v_mov_b32_e32 v17, 0
.LBB5_57:                               ;   in Loop: Header=BB5_28 Depth=1
	s_mov_b32 s19, 0
	s_cbranch_execnz .LBB5_59
.LBB5_58:                               ;   in Loop: Header=BB5_28 Depth=1
	global_load_dwordx2 v[16:17], v28, s[4:5]
	s_add_i32 s19, s18, -8
	s_add_u32 s4, s4, 8
	s_addc_u32 s5, s5, 0
.LBB5_59:                               ;   in Loop: Header=BB5_28 Depth=1
	s_cmp_gt_u32 s19, 7
	s_cbranch_scc1 .LBB5_63
; %bb.60:                               ;   in Loop: Header=BB5_28 Depth=1
	s_cmp_eq_u32 s19, 0
	s_cbranch_scc1 .LBB5_64
; %bb.61:                               ;   in Loop: Header=BB5_28 Depth=1
	v_mov_b32_e32 v18, 0
	s_mov_b64 s[14:15], 0
	v_mov_b32_e32 v19, 0
	s_mov_b64 s[16:17], 0
.LBB5_62:                               ;   Parent Loop BB5_28 Depth=1
                                        ; =>  This Inner Loop Header: Depth=2
	s_add_u32 s20, s4, s16
	s_addc_u32 s21, s5, s17
	global_load_ubyte v4, v28, s[20:21]
	s_add_u32 s16, s16, 1
	s_addc_u32 s17, s17, 0
	s_waitcnt vmcnt(0)
	v_and_b32_e32 v27, 0xffff, v4
	v_lshlrev_b64 v[4:5], s14, v[27:28]
	s_add_u32 s14, s14, 8
	s_addc_u32 s15, s15, 0
	v_or_b32_e32 v18, v4, v18
	s_cmp_lg_u32 s19, s16
	v_or_b32_e32 v19, v5, v19
	s_cbranch_scc1 .LBB5_62
	s_branch .LBB5_65
.LBB5_63:                               ;   in Loop: Header=BB5_28 Depth=1
                                        ; implicit-def: $sgpr18
	s_branch .LBB5_66
.LBB5_64:                               ;   in Loop: Header=BB5_28 Depth=1
	v_mov_b32_e32 v18, 0
	v_mov_b32_e32 v19, 0
.LBB5_65:                               ;   in Loop: Header=BB5_28 Depth=1
	s_mov_b32 s18, 0
	s_cbranch_execnz .LBB5_67
.LBB5_66:                               ;   in Loop: Header=BB5_28 Depth=1
	global_load_dwordx2 v[18:19], v28, s[4:5]
	s_add_i32 s18, s19, -8
	s_add_u32 s4, s4, 8
	s_addc_u32 s5, s5, 0
.LBB5_67:                               ;   in Loop: Header=BB5_28 Depth=1
	s_cmp_gt_u32 s18, 7
	s_cbranch_scc1 .LBB5_71
; %bb.68:                               ;   in Loop: Header=BB5_28 Depth=1
	s_cmp_eq_u32 s18, 0
	s_cbranch_scc1 .LBB5_72
; %bb.69:                               ;   in Loop: Header=BB5_28 Depth=1
	v_mov_b32_e32 v20, 0
	s_mov_b64 s[14:15], 0
	v_mov_b32_e32 v21, 0
	s_mov_b64 s[16:17], 0
.LBB5_70:                               ;   Parent Loop BB5_28 Depth=1
                                        ; =>  This Inner Loop Header: Depth=2
	s_add_u32 s20, s4, s16
	s_addc_u32 s21, s5, s17
	global_load_ubyte v4, v28, s[20:21]
	s_add_u32 s16, s16, 1
	s_addc_u32 s17, s17, 0
	s_waitcnt vmcnt(0)
	v_and_b32_e32 v27, 0xffff, v4
	v_lshlrev_b64 v[4:5], s14, v[27:28]
	s_add_u32 s14, s14, 8
	s_addc_u32 s15, s15, 0
	v_or_b32_e32 v20, v4, v20
	s_cmp_lg_u32 s18, s16
	v_or_b32_e32 v21, v5, v21
	s_cbranch_scc1 .LBB5_70
	s_branch .LBB5_73
.LBB5_71:                               ;   in Loop: Header=BB5_28 Depth=1
                                        ; implicit-def: $vgpr20_vgpr21
                                        ; implicit-def: $sgpr19
	s_branch .LBB5_74
.LBB5_72:                               ;   in Loop: Header=BB5_28 Depth=1
	v_mov_b32_e32 v20, 0
	v_mov_b32_e32 v21, 0
.LBB5_73:                               ;   in Loop: Header=BB5_28 Depth=1
	s_mov_b32 s19, 0
	s_cbranch_execnz .LBB5_75
.LBB5_74:                               ;   in Loop: Header=BB5_28 Depth=1
	global_load_dwordx2 v[20:21], v28, s[4:5]
	s_add_i32 s19, s18, -8
	s_add_u32 s4, s4, 8
	s_addc_u32 s5, s5, 0
.LBB5_75:                               ;   in Loop: Header=BB5_28 Depth=1
	s_cmp_gt_u32 s19, 7
	s_cbranch_scc1 .LBB5_79
; %bb.76:                               ;   in Loop: Header=BB5_28 Depth=1
	s_cmp_eq_u32 s19, 0
	s_cbranch_scc1 .LBB5_80
; %bb.77:                               ;   in Loop: Header=BB5_28 Depth=1
	v_mov_b32_e32 v22, 0
	s_mov_b64 s[14:15], 0
	v_mov_b32_e32 v23, 0
	s_mov_b64 s[16:17], s[4:5]
.LBB5_78:                               ;   Parent Loop BB5_28 Depth=1
                                        ; =>  This Inner Loop Header: Depth=2
	global_load_ubyte v4, v28, s[16:17]
	s_add_i32 s19, s19, -1
	s_waitcnt vmcnt(0)
	v_and_b32_e32 v27, 0xffff, v4
	v_lshlrev_b64 v[4:5], s14, v[27:28]
	s_add_u32 s14, s14, 8
	s_addc_u32 s15, s15, 0
	s_add_u32 s16, s16, 1
	s_addc_u32 s17, s17, 0
	v_or_b32_e32 v22, v4, v22
	s_cmp_lg_u32 s19, 0
	v_or_b32_e32 v23, v5, v23
	s_cbranch_scc1 .LBB5_78
	s_branch .LBB5_81
.LBB5_79:                               ;   in Loop: Header=BB5_28 Depth=1
	s_branch .LBB5_82
.LBB5_80:                               ;   in Loop: Header=BB5_28 Depth=1
	v_mov_b32_e32 v22, 0
	v_mov_b32_e32 v23, 0
.LBB5_81:                               ;   in Loop: Header=BB5_28 Depth=1
	s_cbranch_execnz .LBB5_83
.LBB5_82:                               ;   in Loop: Header=BB5_28 Depth=1
	global_load_dwordx2 v[22:23], v28, s[4:5]
.LBB5_83:                               ;   in Loop: Header=BB5_28 Depth=1
	v_readfirstlane_b32 s4, v39
	s_waitcnt vmcnt(0)
	v_mov_b32_e32 v4, 0
	v_mov_b32_e32 v5, 0
	v_cmp_eq_u32_e64 s[4:5], s4, v39
	s_and_saveexec_b64 s[14:15], s[4:5]
	s_cbranch_execz .LBB5_89
; %bb.84:                               ;   in Loop: Header=BB5_28 Depth=1
	global_load_dwordx2 v[26:27], v28, s[26:27] offset:24 glc
	s_waitcnt vmcnt(0)
	buffer_wbinvl1_vol
	global_load_dwordx2 v[4:5], v28, s[26:27] offset:40
	global_load_dwordx2 v[8:9], v28, s[26:27]
	s_waitcnt vmcnt(0)
	v_and_b32_e32 v4, v4, v26
	v_and_b32_e32 v5, v5, v27
	v_mul_lo_u32 v5, v5, 24
	v_mul_hi_u32 v24, v4, 24
	v_mul_lo_u32 v4, v4, 24
	v_add_u32_e32 v5, v24, v5
	v_add_co_u32_e32 v4, vcc, v8, v4
	v_addc_co_u32_e32 v5, vcc, v9, v5, vcc
	global_load_dwordx2 v[24:25], v[4:5], off glc
	s_waitcnt vmcnt(0)
	global_atomic_cmpswap_x2 v[4:5], v28, v[24:27], s[26:27] offset:24 glc
	s_waitcnt vmcnt(0)
	buffer_wbinvl1_vol
	v_cmp_ne_u64_e32 vcc, v[4:5], v[26:27]
	s_and_saveexec_b64 s[16:17], vcc
	s_cbranch_execz .LBB5_88
; %bb.85:                               ;   in Loop: Header=BB5_28 Depth=1
	s_mov_b64 s[18:19], 0
.LBB5_86:                               ;   Parent Loop BB5_28 Depth=1
                                        ; =>  This Inner Loop Header: Depth=2
	s_sleep 1
	global_load_dwordx2 v[8:9], v28, s[26:27] offset:40
	global_load_dwordx2 v[24:25], v28, s[26:27]
	v_mov_b32_e32 v27, v5
	v_mov_b32_e32 v26, v4
	s_waitcnt vmcnt(0)
	v_and_b32_e32 v4, v8, v26
	v_mad_u64_u32 v[4:5], s[20:21], v4, 24, v[24:25]
	v_and_b32_e32 v8, v9, v27
	v_mad_u64_u32 v[8:9], s[20:21], v8, 24, v[5:6]
	v_mov_b32_e32 v5, v8
	global_load_dwordx2 v[24:25], v[4:5], off glc
	s_waitcnt vmcnt(0)
	global_atomic_cmpswap_x2 v[4:5], v28, v[24:27], s[26:27] offset:24 glc
	s_waitcnt vmcnt(0)
	buffer_wbinvl1_vol
	v_cmp_eq_u64_e32 vcc, v[4:5], v[26:27]
	s_or_b64 s[18:19], vcc, s[18:19]
	s_andn2_b64 exec, exec, s[18:19]
	s_cbranch_execnz .LBB5_86
; %bb.87:                               ;   in Loop: Header=BB5_28 Depth=1
	s_or_b64 exec, exec, s[18:19]
.LBB5_88:                               ;   in Loop: Header=BB5_28 Depth=1
	s_or_b64 exec, exec, s[16:17]
.LBB5_89:                               ;   in Loop: Header=BB5_28 Depth=1
	s_or_b64 exec, exec, s[14:15]
	global_load_dwordx2 v[8:9], v28, s[26:27] offset:40
	global_load_dwordx4 v[24:27], v28, s[26:27]
	v_readfirstlane_b32 s14, v4
	v_readfirstlane_b32 s15, v5
	s_mov_b64 s[16:17], exec
	s_waitcnt vmcnt(0)
	v_readfirstlane_b32 s18, v8
	v_readfirstlane_b32 s19, v9
	s_and_b64 s[18:19], s[14:15], s[18:19]
	s_mul_i32 s20, s19, 24
	s_mul_hi_u32 s21, s18, 24
	s_mul_i32 s22, s18, 24
	s_add_i32 s20, s21, s20
	v_mov_b32_e32 v4, s20
	v_add_co_u32_e32 v29, vcc, s22, v24
	v_addc_co_u32_e32 v30, vcc, v25, v4, vcc
	s_and_saveexec_b64 s[20:21], s[4:5]
	s_cbranch_execz .LBB5_91
; %bb.90:                               ;   in Loop: Header=BB5_28 Depth=1
	v_mov_b32_e32 v4, s16
	v_mov_b32_e32 v5, s17
	global_store_dwordx4 v[29:30], v[4:7], off offset:8
.LBB5_91:                               ;   in Loop: Header=BB5_28 Depth=1
	s_or_b64 exec, exec, s[20:21]
	s_lshl_b64 s[16:17], s[18:19], 12
	v_mov_b32_e32 v4, s17
	v_add_co_u32_e32 v26, vcc, s16, v26
	v_addc_co_u32_e32 v33, vcc, v27, v4, vcc
	v_cmp_gt_u64_e64 vcc, s[10:11], 56
	v_or_b32_e32 v5, v2, v32
	s_lshl_b32 s16, s12, 2
	v_cndmask_b32_e32 v2, v5, v2, vcc
	s_add_i32 s16, s16, 28
	v_or_b32_e32 v4, 0, v3
	s_and_b32 s16, s16, 0x1e0
	v_and_b32_e32 v2, 0xffffff1f, v2
	v_cndmask_b32_e32 v9, v4, v3, vcc
	v_or_b32_e32 v8, s16, v2
	v_readfirstlane_b32 s16, v26
	v_readfirstlane_b32 s17, v33
	s_nop 4
	global_store_dwordx4 v38, v[8:11], s[16:17]
	global_store_dwordx4 v38, v[12:15], s[16:17] offset:16
	global_store_dwordx4 v38, v[16:19], s[16:17] offset:32
	;; [unrolled: 1-line block ×3, first 2 shown]
	s_and_saveexec_b64 s[16:17], s[4:5]
	s_cbranch_execz .LBB5_99
; %bb.92:                               ;   in Loop: Header=BB5_28 Depth=1
	global_load_dwordx2 v[12:13], v28, s[26:27] offset:32 glc
	global_load_dwordx2 v[2:3], v28, s[26:27] offset:40
	v_mov_b32_e32 v10, s14
	v_mov_b32_e32 v11, s15
	s_waitcnt vmcnt(0)
	v_readfirstlane_b32 s18, v2
	v_readfirstlane_b32 s19, v3
	s_and_b64 s[18:19], s[18:19], s[14:15]
	s_mul_i32 s19, s19, 24
	s_mul_hi_u32 s20, s18, 24
	s_mul_i32 s18, s18, 24
	s_add_i32 s19, s20, s19
	v_mov_b32_e32 v2, s19
	v_add_co_u32_e32 v8, vcc, s18, v24
	v_addc_co_u32_e32 v9, vcc, v25, v2, vcc
	global_store_dwordx2 v[8:9], v[12:13], off
	s_waitcnt vmcnt(0)
	global_atomic_cmpswap_x2 v[4:5], v28, v[10:13], s[26:27] offset:32 glc
	s_waitcnt vmcnt(0)
	v_cmp_ne_u64_e32 vcc, v[4:5], v[12:13]
	s_and_saveexec_b64 s[18:19], vcc
	s_cbranch_execz .LBB5_95
; %bb.93:                               ;   in Loop: Header=BB5_28 Depth=1
	s_mov_b64 s[20:21], 0
.LBB5_94:                               ;   Parent Loop BB5_28 Depth=1
                                        ; =>  This Inner Loop Header: Depth=2
	s_sleep 1
	global_store_dwordx2 v[8:9], v[4:5], off
	v_mov_b32_e32 v2, s14
	v_mov_b32_e32 v3, s15
	s_waitcnt vmcnt(0)
	global_atomic_cmpswap_x2 v[2:3], v28, v[2:5], s[26:27] offset:32 glc
	s_waitcnt vmcnt(0)
	v_cmp_eq_u64_e32 vcc, v[2:3], v[4:5]
	v_mov_b32_e32 v5, v3
	s_or_b64 s[20:21], vcc, s[20:21]
	v_mov_b32_e32 v4, v2
	s_andn2_b64 exec, exec, s[20:21]
	s_cbranch_execnz .LBB5_94
.LBB5_95:                               ;   in Loop: Header=BB5_28 Depth=1
	s_or_b64 exec, exec, s[18:19]
	global_load_dwordx2 v[2:3], v28, s[26:27] offset:16
	s_mov_b64 s[20:21], exec
	v_mbcnt_lo_u32_b32 v4, s20, 0
	v_mbcnt_hi_u32_b32 v4, s21, v4
	v_cmp_eq_u32_e32 vcc, 0, v4
	s_and_saveexec_b64 s[18:19], vcc
	s_cbranch_execz .LBB5_97
; %bb.96:                               ;   in Loop: Header=BB5_28 Depth=1
	s_bcnt1_i32_b64 s20, s[20:21]
	v_mov_b32_e32 v27, s20
	s_waitcnt vmcnt(0)
	global_atomic_add_x2 v[2:3], v[27:28], off offset:8
.LBB5_97:                               ;   in Loop: Header=BB5_28 Depth=1
	s_or_b64 exec, exec, s[18:19]
	s_waitcnt vmcnt(0)
	global_load_dwordx2 v[4:5], v[2:3], off offset:16
	s_waitcnt vmcnt(0)
	v_cmp_eq_u64_e32 vcc, 0, v[4:5]
	s_cbranch_vccnz .LBB5_99
; %bb.98:                               ;   in Loop: Header=BB5_28 Depth=1
	global_load_dword v27, v[2:3], off offset:24
	s_waitcnt vmcnt(0)
	v_and_b32_e32 v2, 0xffffff, v27
	v_readfirstlane_b32 m0, v2
	global_store_dwordx2 v[4:5], v[27:28], off
	s_sendmsg sendmsg(MSG_INTERRUPT)
.LBB5_99:                               ;   in Loop: Header=BB5_28 Depth=1
	s_or_b64 exec, exec, s[16:17]
	v_add_co_u32_e32 v2, vcc, v26, v38
	v_addc_co_u32_e32 v3, vcc, 0, v33, vcc
	s_branch .LBB5_103
.LBB5_100:                              ;   in Loop: Header=BB5_103 Depth=2
	s_or_b64 exec, exec, s[16:17]
	v_readfirstlane_b32 s16, v4
	s_cmp_eq_u32 s16, 0
	s_cbranch_scc1 .LBB5_102
; %bb.101:                              ;   in Loop: Header=BB5_103 Depth=2
	s_sleep 1
	s_cbranch_execnz .LBB5_103
	s_branch .LBB5_105
.LBB5_102:                              ;   in Loop: Header=BB5_28 Depth=1
	s_branch .LBB5_105
.LBB5_103:                              ;   Parent Loop BB5_28 Depth=1
                                        ; =>  This Inner Loop Header: Depth=2
	v_mov_b32_e32 v4, 1
	s_and_saveexec_b64 s[16:17], s[4:5]
	s_cbranch_execz .LBB5_100
; %bb.104:                              ;   in Loop: Header=BB5_103 Depth=2
	global_load_dword v4, v[29:30], off offset:20 glc
	s_waitcnt vmcnt(0)
	buffer_wbinvl1_vol
	v_and_b32_e32 v4, 1, v4
	s_branch .LBB5_100
.LBB5_105:                              ;   in Loop: Header=BB5_28 Depth=1
	global_load_dwordx4 v[2:5], v[2:3], off
	s_and_saveexec_b64 s[16:17], s[4:5]
	s_cbranch_execz .LBB5_27
; %bb.106:                              ;   in Loop: Header=BB5_28 Depth=1
	global_load_dwordx2 v[4:5], v28, s[26:27] offset:40
	global_load_dwordx2 v[12:13], v28, s[26:27] offset:24 glc
	global_load_dwordx2 v[14:15], v28, s[26:27]
	v_mov_b32_e32 v9, s15
	s_waitcnt vmcnt(0)
	v_add_co_u32_e32 v10, vcc, 1, v4
	v_addc_co_u32_e32 v11, vcc, 0, v5, vcc
	v_add_co_u32_e32 v8, vcc, s14, v10
	v_addc_co_u32_e32 v9, vcc, v11, v9, vcc
	v_cmp_eq_u64_e32 vcc, 0, v[8:9]
	v_cndmask_b32_e32 v9, v9, v11, vcc
	v_cndmask_b32_e32 v8, v8, v10, vcc
	v_and_b32_e32 v5, v9, v5
	v_and_b32_e32 v4, v8, v4
	v_mul_lo_u32 v5, v5, 24
	v_mul_hi_u32 v11, v4, 24
	v_mul_lo_u32 v4, v4, 24
	v_mov_b32_e32 v10, v12
	v_add_u32_e32 v5, v11, v5
	v_add_co_u32_e32 v4, vcc, v14, v4
	v_addc_co_u32_e32 v5, vcc, v15, v5, vcc
	global_store_dwordx2 v[4:5], v[12:13], off
	v_mov_b32_e32 v11, v13
	s_waitcnt vmcnt(0)
	global_atomic_cmpswap_x2 v[10:11], v28, v[8:11], s[26:27] offset:24 glc
	s_waitcnt vmcnt(0)
	v_cmp_ne_u64_e32 vcc, v[10:11], v[12:13]
	s_and_b64 exec, exec, vcc
	s_cbranch_execz .LBB5_27
; %bb.107:                              ;   in Loop: Header=BB5_28 Depth=1
	s_mov_b64 s[4:5], 0
.LBB5_108:                              ;   Parent Loop BB5_28 Depth=1
                                        ; =>  This Inner Loop Header: Depth=2
	s_sleep 1
	global_store_dwordx2 v[4:5], v[10:11], off
	s_waitcnt vmcnt(0)
	global_atomic_cmpswap_x2 v[12:13], v28, v[8:11], s[26:27] offset:24 glc
	s_waitcnt vmcnt(0)
	v_cmp_eq_u64_e32 vcc, v[12:13], v[10:11]
	v_mov_b32_e32 v10, v12
	s_or_b64 s[4:5], vcc, s[4:5]
	v_mov_b32_e32 v11, v13
	s_andn2_b64 exec, exec, s[4:5]
	s_cbranch_execnz .LBB5_108
	s_branch .LBB5_27
.LBB5_109:
	s_branch .LBB5_137
.LBB5_110:
                                        ; implicit-def: $vgpr2_vgpr3
	s_cbranch_execz .LBB5_137
; %bb.111:
	v_readfirstlane_b32 s4, v39
	v_mov_b32_e32 v8, 0
	v_mov_b32_e32 v9, 0
	v_cmp_eq_u32_e64 s[4:5], s4, v39
	s_and_saveexec_b64 s[6:7], s[4:5]
	s_cbranch_execz .LBB5_117
; %bb.112:
	s_waitcnt vmcnt(0)
	v_mov_b32_e32 v2, 0
	global_load_dwordx2 v[5:6], v2, s[26:27] offset:24 glc
	s_waitcnt vmcnt(0)
	buffer_wbinvl1_vol
	global_load_dwordx2 v[3:4], v2, s[26:27] offset:40
	global_load_dwordx2 v[7:8], v2, s[26:27]
	s_waitcnt vmcnt(0)
	v_and_b32_e32 v3, v3, v5
	v_and_b32_e32 v4, v4, v6
	v_mul_lo_u32 v4, v4, 24
	v_mul_hi_u32 v9, v3, 24
	v_mul_lo_u32 v3, v3, 24
	v_add_u32_e32 v4, v9, v4
	v_add_co_u32_e32 v3, vcc, v7, v3
	v_addc_co_u32_e32 v4, vcc, v8, v4, vcc
	global_load_dwordx2 v[3:4], v[3:4], off glc
	s_waitcnt vmcnt(0)
	global_atomic_cmpswap_x2 v[8:9], v2, v[3:6], s[26:27] offset:24 glc
	s_waitcnt vmcnt(0)
	buffer_wbinvl1_vol
	v_cmp_ne_u64_e32 vcc, v[8:9], v[5:6]
	s_and_saveexec_b64 s[10:11], vcc
	s_cbranch_execz .LBB5_116
; %bb.113:
	s_mov_b64 s[12:13], 0
.LBB5_114:                              ; =>This Inner Loop Header: Depth=1
	s_sleep 1
	global_load_dwordx2 v[3:4], v2, s[26:27] offset:40
	global_load_dwordx2 v[10:11], v2, s[26:27]
	v_mov_b32_e32 v5, v8
	v_mov_b32_e32 v6, v9
	s_waitcnt vmcnt(0)
	v_and_b32_e32 v3, v3, v5
	v_mad_u64_u32 v[7:8], s[14:15], v3, 24, v[10:11]
	v_and_b32_e32 v4, v4, v6
	v_mov_b32_e32 v3, v8
	v_mad_u64_u32 v[3:4], s[14:15], v4, 24, v[3:4]
	v_mov_b32_e32 v8, v3
	global_load_dwordx2 v[3:4], v[7:8], off glc
	s_waitcnt vmcnt(0)
	global_atomic_cmpswap_x2 v[8:9], v2, v[3:6], s[26:27] offset:24 glc
	s_waitcnt vmcnt(0)
	buffer_wbinvl1_vol
	v_cmp_eq_u64_e32 vcc, v[8:9], v[5:6]
	s_or_b64 s[12:13], vcc, s[12:13]
	s_andn2_b64 exec, exec, s[12:13]
	s_cbranch_execnz .LBB5_114
; %bb.115:
	s_or_b64 exec, exec, s[12:13]
.LBB5_116:
	s_or_b64 exec, exec, s[10:11]
.LBB5_117:
	s_or_b64 exec, exec, s[6:7]
	s_waitcnt vmcnt(0)
	v_mov_b32_e32 v2, 0
	global_load_dwordx2 v[10:11], v2, s[26:27] offset:40
	global_load_dwordx4 v[4:7], v2, s[26:27]
	v_readfirstlane_b32 s6, v8
	v_readfirstlane_b32 s7, v9
	s_mov_b64 s[10:11], exec
	s_waitcnt vmcnt(0)
	v_readfirstlane_b32 s12, v10
	v_readfirstlane_b32 s13, v11
	s_and_b64 s[12:13], s[6:7], s[12:13]
	s_mul_i32 s14, s13, 24
	s_mul_hi_u32 s15, s12, 24
	s_mul_i32 s16, s12, 24
	s_add_i32 s14, s15, s14
	v_mov_b32_e32 v3, s14
	v_add_co_u32_e32 v8, vcc, s16, v4
	v_addc_co_u32_e32 v9, vcc, v5, v3, vcc
	s_and_saveexec_b64 s[14:15], s[4:5]
	s_cbranch_execz .LBB5_119
; %bb.118:
	v_mov_b32_e32 v10, s10
	v_mov_b32_e32 v11, s11
	v_mov_b32_e32 v12, 2
	v_mov_b32_e32 v13, 1
	global_store_dwordx4 v[8:9], v[10:13], off offset:8
.LBB5_119:
	s_or_b64 exec, exec, s[14:15]
	s_lshl_b64 s[10:11], s[12:13], 12
	v_mov_b32_e32 v3, s11
	v_add_co_u32_e32 v10, vcc, s10, v6
	v_addc_co_u32_e32 v11, vcc, v7, v3, vcc
	s_movk_i32 s10, 0xff1f
	v_and_or_b32 v0, v0, s10, 32
	s_mov_b32 s12, 0
	v_mov_b32_e32 v3, v2
	v_readfirstlane_b32 s10, v10
	v_readfirstlane_b32 s11, v11
	v_add_co_u32_e32 v6, vcc, v10, v38
	s_mov_b32 s13, s12
	s_mov_b32 s14, s12
	;; [unrolled: 1-line block ×3, first 2 shown]
	s_nop 0
	global_store_dwordx4 v38, v[0:3], s[10:11]
	v_addc_co_u32_e32 v7, vcc, 0, v11, vcc
	v_mov_b32_e32 v0, s12
	v_mov_b32_e32 v1, s13
	;; [unrolled: 1-line block ×4, first 2 shown]
	global_store_dwordx4 v38, v[0:3], s[10:11] offset:16
	global_store_dwordx4 v38, v[0:3], s[10:11] offset:32
	;; [unrolled: 1-line block ×3, first 2 shown]
	s_and_saveexec_b64 s[10:11], s[4:5]
	s_cbranch_execz .LBB5_127
; %bb.120:
	v_mov_b32_e32 v10, 0
	global_load_dwordx2 v[13:14], v10, s[26:27] offset:32 glc
	global_load_dwordx2 v[0:1], v10, s[26:27] offset:40
	v_mov_b32_e32 v11, s6
	v_mov_b32_e32 v12, s7
	s_waitcnt vmcnt(0)
	v_readfirstlane_b32 s12, v0
	v_readfirstlane_b32 s13, v1
	s_and_b64 s[12:13], s[12:13], s[6:7]
	s_mul_i32 s13, s13, 24
	s_mul_hi_u32 s14, s12, 24
	s_mul_i32 s12, s12, 24
	s_add_i32 s13, s14, s13
	v_mov_b32_e32 v0, s13
	v_add_co_u32_e32 v4, vcc, s12, v4
	v_addc_co_u32_e32 v5, vcc, v5, v0, vcc
	global_store_dwordx2 v[4:5], v[13:14], off
	s_waitcnt vmcnt(0)
	global_atomic_cmpswap_x2 v[2:3], v10, v[11:14], s[26:27] offset:32 glc
	s_waitcnt vmcnt(0)
	v_cmp_ne_u64_e32 vcc, v[2:3], v[13:14]
	s_and_saveexec_b64 s[12:13], vcc
	s_cbranch_execz .LBB5_123
; %bb.121:
	s_mov_b64 s[14:15], 0
.LBB5_122:                              ; =>This Inner Loop Header: Depth=1
	s_sleep 1
	global_store_dwordx2 v[4:5], v[2:3], off
	v_mov_b32_e32 v0, s6
	v_mov_b32_e32 v1, s7
	s_waitcnt vmcnt(0)
	global_atomic_cmpswap_x2 v[0:1], v10, v[0:3], s[26:27] offset:32 glc
	s_waitcnt vmcnt(0)
	v_cmp_eq_u64_e32 vcc, v[0:1], v[2:3]
	v_mov_b32_e32 v3, v1
	s_or_b64 s[14:15], vcc, s[14:15]
	v_mov_b32_e32 v2, v0
	s_andn2_b64 exec, exec, s[14:15]
	s_cbranch_execnz .LBB5_122
.LBB5_123:
	s_or_b64 exec, exec, s[12:13]
	v_mov_b32_e32 v3, 0
	global_load_dwordx2 v[0:1], v3, s[26:27] offset:16
	s_mov_b64 s[12:13], exec
	v_mbcnt_lo_u32_b32 v2, s12, 0
	v_mbcnt_hi_u32_b32 v2, s13, v2
	v_cmp_eq_u32_e32 vcc, 0, v2
	s_and_saveexec_b64 s[14:15], vcc
	s_cbranch_execz .LBB5_125
; %bb.124:
	s_bcnt1_i32_b64 s12, s[12:13]
	v_mov_b32_e32 v2, s12
	s_waitcnt vmcnt(0)
	global_atomic_add_x2 v[0:1], v[2:3], off offset:8
.LBB5_125:
	s_or_b64 exec, exec, s[14:15]
	s_waitcnt vmcnt(0)
	global_load_dwordx2 v[2:3], v[0:1], off offset:16
	s_waitcnt vmcnt(0)
	v_cmp_eq_u64_e32 vcc, 0, v[2:3]
	s_cbranch_vccnz .LBB5_127
; %bb.126:
	global_load_dword v0, v[0:1], off offset:24
	v_mov_b32_e32 v1, 0
	s_waitcnt vmcnt(0)
	global_store_dwordx2 v[2:3], v[0:1], off
	v_and_b32_e32 v0, 0xffffff, v0
	v_readfirstlane_b32 m0, v0
	s_sendmsg sendmsg(MSG_INTERRUPT)
.LBB5_127:
	s_or_b64 exec, exec, s[10:11]
	s_branch .LBB5_131
.LBB5_128:                              ;   in Loop: Header=BB5_131 Depth=1
	s_or_b64 exec, exec, s[10:11]
	v_readfirstlane_b32 s10, v0
	s_cmp_eq_u32 s10, 0
	s_cbranch_scc1 .LBB5_130
; %bb.129:                              ;   in Loop: Header=BB5_131 Depth=1
	s_sleep 1
	s_cbranch_execnz .LBB5_131
	s_branch .LBB5_133
.LBB5_130:
	s_branch .LBB5_133
.LBB5_131:                              ; =>This Inner Loop Header: Depth=1
	v_mov_b32_e32 v0, 1
	s_and_saveexec_b64 s[10:11], s[4:5]
	s_cbranch_execz .LBB5_128
; %bb.132:                              ;   in Loop: Header=BB5_131 Depth=1
	global_load_dword v0, v[8:9], off offset:20 glc
	s_waitcnt vmcnt(0)
	buffer_wbinvl1_vol
	v_and_b32_e32 v0, 1, v0
	s_branch .LBB5_128
.LBB5_133:
	global_load_dwordx2 v[2:3], v[6:7], off
	s_and_saveexec_b64 s[10:11], s[4:5]
	s_cbranch_execz .LBB5_136
; %bb.134:
	v_mov_b32_e32 v8, 0
	global_load_dwordx2 v[0:1], v8, s[26:27] offset:40
	global_load_dwordx2 v[9:10], v8, s[26:27] offset:24 glc
	global_load_dwordx2 v[11:12], v8, s[26:27]
	v_mov_b32_e32 v5, s7
	s_mov_b64 s[4:5], 0
	s_waitcnt vmcnt(0)
	v_add_co_u32_e32 v6, vcc, 1, v0
	v_addc_co_u32_e32 v7, vcc, 0, v1, vcc
	v_add_co_u32_e32 v4, vcc, s6, v6
	v_addc_co_u32_e32 v5, vcc, v7, v5, vcc
	v_cmp_eq_u64_e32 vcc, 0, v[4:5]
	v_cndmask_b32_e32 v5, v5, v7, vcc
	v_cndmask_b32_e32 v4, v4, v6, vcc
	v_and_b32_e32 v1, v5, v1
	v_and_b32_e32 v0, v4, v0
	v_mul_lo_u32 v1, v1, 24
	v_mul_hi_u32 v7, v0, 24
	v_mul_lo_u32 v0, v0, 24
	v_mov_b32_e32 v6, v9
	v_add_u32_e32 v1, v7, v1
	v_add_co_u32_e32 v0, vcc, v11, v0
	v_addc_co_u32_e32 v1, vcc, v12, v1, vcc
	global_store_dwordx2 v[0:1], v[9:10], off
	v_mov_b32_e32 v7, v10
	s_waitcnt vmcnt(0)
	global_atomic_cmpswap_x2 v[6:7], v8, v[4:7], s[26:27] offset:24 glc
	s_waitcnt vmcnt(0)
	v_cmp_ne_u64_e32 vcc, v[6:7], v[9:10]
	s_and_b64 exec, exec, vcc
	s_cbranch_execz .LBB5_136
.LBB5_135:                              ; =>This Inner Loop Header: Depth=1
	s_sleep 1
	global_store_dwordx2 v[0:1], v[6:7], off
	s_waitcnt vmcnt(0)
	global_atomic_cmpswap_x2 v[9:10], v8, v[4:7], s[26:27] offset:24 glc
	s_waitcnt vmcnt(0)
	v_cmp_eq_u64_e32 vcc, v[9:10], v[6:7]
	v_mov_b32_e32 v6, v9
	s_or_b64 s[4:5], vcc, s[4:5]
	v_mov_b32_e32 v7, v10
	s_andn2_b64 exec, exec, s[4:5]
	s_cbranch_execnz .LBB5_135
.LBB5_136:
	s_or_b64 exec, exec, s[10:11]
.LBB5_137:
	v_readfirstlane_b32 s4, v39
	s_waitcnt vmcnt(0)
	v_mov_b32_e32 v0, 0
	v_mov_b32_e32 v1, 0
	v_cmp_eq_u32_e64 s[4:5], s4, v39
	s_and_saveexec_b64 s[6:7], s[4:5]
	s_cbranch_execz .LBB5_143
; %bb.138:
	v_mov_b32_e32 v4, 0
	global_load_dwordx2 v[7:8], v4, s[26:27] offset:24 glc
	s_waitcnt vmcnt(0)
	buffer_wbinvl1_vol
	global_load_dwordx2 v[0:1], v4, s[26:27] offset:40
	global_load_dwordx2 v[5:6], v4, s[26:27]
	s_waitcnt vmcnt(0)
	v_and_b32_e32 v0, v0, v7
	v_and_b32_e32 v1, v1, v8
	v_mul_lo_u32 v1, v1, 24
	v_mul_hi_u32 v9, v0, 24
	v_mul_lo_u32 v0, v0, 24
	v_add_u32_e32 v1, v9, v1
	v_add_co_u32_e32 v0, vcc, v5, v0
	v_addc_co_u32_e32 v1, vcc, v6, v1, vcc
	global_load_dwordx2 v[5:6], v[0:1], off glc
	s_waitcnt vmcnt(0)
	global_atomic_cmpswap_x2 v[0:1], v4, v[5:8], s[26:27] offset:24 glc
	s_waitcnt vmcnt(0)
	buffer_wbinvl1_vol
	v_cmp_ne_u64_e32 vcc, v[0:1], v[7:8]
	s_and_saveexec_b64 s[10:11], vcc
	s_cbranch_execz .LBB5_142
; %bb.139:
	s_mov_b64 s[12:13], 0
.LBB5_140:                              ; =>This Inner Loop Header: Depth=1
	s_sleep 1
	global_load_dwordx2 v[5:6], v4, s[26:27] offset:40
	global_load_dwordx2 v[9:10], v4, s[26:27]
	v_mov_b32_e32 v8, v1
	v_mov_b32_e32 v7, v0
	s_waitcnt vmcnt(0)
	v_and_b32_e32 v0, v5, v7
	v_mad_u64_u32 v[0:1], s[14:15], v0, 24, v[9:10]
	v_and_b32_e32 v5, v6, v8
	v_mad_u64_u32 v[5:6], s[14:15], v5, 24, v[1:2]
	v_mov_b32_e32 v1, v5
	global_load_dwordx2 v[5:6], v[0:1], off glc
	s_waitcnt vmcnt(0)
	global_atomic_cmpswap_x2 v[0:1], v4, v[5:8], s[26:27] offset:24 glc
	s_waitcnt vmcnt(0)
	buffer_wbinvl1_vol
	v_cmp_eq_u64_e32 vcc, v[0:1], v[7:8]
	s_or_b64 s[12:13], vcc, s[12:13]
	s_andn2_b64 exec, exec, s[12:13]
	s_cbranch_execnz .LBB5_140
; %bb.141:
	s_or_b64 exec, exec, s[12:13]
.LBB5_142:
	s_or_b64 exec, exec, s[10:11]
.LBB5_143:
	s_or_b64 exec, exec, s[6:7]
	v_mov_b32_e32 v10, 0
	global_load_dwordx2 v[4:5], v10, s[26:27] offset:40
	global_load_dwordx4 v[6:9], v10, s[26:27]
	v_readfirstlane_b32 s6, v0
	v_readfirstlane_b32 s7, v1
	s_mov_b64 s[10:11], exec
	s_waitcnt vmcnt(0)
	v_readfirstlane_b32 s12, v4
	v_readfirstlane_b32 s13, v5
	s_and_b64 s[12:13], s[6:7], s[12:13]
	s_mul_i32 s14, s13, 24
	s_mul_hi_u32 s15, s12, 24
	s_mul_i32 s16, s12, 24
	s_add_i32 s14, s15, s14
	v_mov_b32_e32 v0, s14
	v_add_co_u32_e32 v10, vcc, s16, v6
	v_addc_co_u32_e32 v11, vcc, v7, v0, vcc
	s_and_saveexec_b64 s[14:15], s[4:5]
	s_cbranch_execz .LBB5_145
; %bb.144:
	v_mov_b32_e32 v13, s11
	v_mov_b32_e32 v12, s10
	;; [unrolled: 1-line block ×4, first 2 shown]
	global_store_dwordx4 v[10:11], v[12:15], off offset:8
.LBB5_145:
	s_or_b64 exec, exec, s[14:15]
	s_lshl_b64 s[10:11], s[12:13], 12
	v_mov_b32_e32 v0, s11
	v_add_co_u32_e32 v1, vcc, s10, v8
	v_addc_co_u32_e32 v0, vcc, v9, v0, vcc
	s_movk_i32 s10, 0xff1d
	v_and_or_b32 v2, v2, s10, 34
	s_waitcnt lgkmcnt(0)
	v_ashrrev_i32_e32 v5, 31, v31
	v_mov_b32_e32 v4, v31
	v_readfirstlane_b32 s10, v1
	v_readfirstlane_b32 s11, v0
	s_mov_b32 s12, 0
	s_mov_b32 s13, s12
	s_mov_b32 s14, s12
	s_mov_b32 s15, s12
	s_nop 0
	global_store_dwordx4 v38, v[2:5], s[10:11]
	v_mov_b32_e32 v0, s12
	v_mov_b32_e32 v1, s13
	;; [unrolled: 1-line block ×4, first 2 shown]
	global_store_dwordx4 v38, v[0:3], s[10:11] offset:16
	global_store_dwordx4 v38, v[0:3], s[10:11] offset:32
	;; [unrolled: 1-line block ×3, first 2 shown]
	s_and_saveexec_b64 s[10:11], s[4:5]
	s_cbranch_execz .LBB5_153
; %bb.146:
	v_mov_b32_e32 v8, 0
	global_load_dwordx2 v[14:15], v8, s[26:27] offset:32 glc
	global_load_dwordx2 v[0:1], v8, s[26:27] offset:40
	v_mov_b32_e32 v12, s6
	v_mov_b32_e32 v13, s7
	s_waitcnt vmcnt(0)
	v_readfirstlane_b32 s12, v0
	v_readfirstlane_b32 s13, v1
	s_and_b64 s[12:13], s[12:13], s[6:7]
	s_mul_i32 s13, s13, 24
	s_mul_hi_u32 s14, s12, 24
	s_mul_i32 s12, s12, 24
	s_add_i32 s13, s14, s13
	v_mov_b32_e32 v0, s13
	v_add_co_u32_e32 v4, vcc, s12, v6
	v_addc_co_u32_e32 v5, vcc, v7, v0, vcc
	global_store_dwordx2 v[4:5], v[14:15], off
	s_waitcnt vmcnt(0)
	global_atomic_cmpswap_x2 v[2:3], v8, v[12:15], s[26:27] offset:32 glc
	s_waitcnt vmcnt(0)
	v_cmp_ne_u64_e32 vcc, v[2:3], v[14:15]
	s_and_saveexec_b64 s[12:13], vcc
	s_cbranch_execz .LBB5_149
; %bb.147:
	s_mov_b64 s[14:15], 0
.LBB5_148:                              ; =>This Inner Loop Header: Depth=1
	s_sleep 1
	global_store_dwordx2 v[4:5], v[2:3], off
	v_mov_b32_e32 v0, s6
	v_mov_b32_e32 v1, s7
	s_waitcnt vmcnt(0)
	global_atomic_cmpswap_x2 v[0:1], v8, v[0:3], s[26:27] offset:32 glc
	s_waitcnt vmcnt(0)
	v_cmp_eq_u64_e32 vcc, v[0:1], v[2:3]
	v_mov_b32_e32 v3, v1
	s_or_b64 s[14:15], vcc, s[14:15]
	v_mov_b32_e32 v2, v0
	s_andn2_b64 exec, exec, s[14:15]
	s_cbranch_execnz .LBB5_148
.LBB5_149:
	s_or_b64 exec, exec, s[12:13]
	v_mov_b32_e32 v3, 0
	global_load_dwordx2 v[0:1], v3, s[26:27] offset:16
	s_mov_b64 s[12:13], exec
	v_mbcnt_lo_u32_b32 v2, s12, 0
	v_mbcnt_hi_u32_b32 v2, s13, v2
	v_cmp_eq_u32_e32 vcc, 0, v2
	s_and_saveexec_b64 s[14:15], vcc
	s_cbranch_execz .LBB5_151
; %bb.150:
	s_bcnt1_i32_b64 s12, s[12:13]
	v_mov_b32_e32 v2, s12
	s_waitcnt vmcnt(0)
	global_atomic_add_x2 v[0:1], v[2:3], off offset:8
.LBB5_151:
	s_or_b64 exec, exec, s[14:15]
	s_waitcnt vmcnt(0)
	global_load_dwordx2 v[2:3], v[0:1], off offset:16
	s_waitcnt vmcnt(0)
	v_cmp_eq_u64_e32 vcc, 0, v[2:3]
	s_cbranch_vccnz .LBB5_153
; %bb.152:
	global_load_dword v0, v[0:1], off offset:24
	v_mov_b32_e32 v1, 0
	s_waitcnt vmcnt(0)
	global_store_dwordx2 v[2:3], v[0:1], off
	v_and_b32_e32 v0, 0xffffff, v0
	v_readfirstlane_b32 m0, v0
	s_sendmsg sendmsg(MSG_INTERRUPT)
.LBB5_153:
	s_or_b64 exec, exec, s[10:11]
	s_branch .LBB5_157
.LBB5_154:                              ;   in Loop: Header=BB5_157 Depth=1
	s_or_b64 exec, exec, s[10:11]
	v_readfirstlane_b32 s10, v0
	s_cmp_eq_u32 s10, 0
	s_cbranch_scc1 .LBB5_156
; %bb.155:                              ;   in Loop: Header=BB5_157 Depth=1
	s_sleep 1
	s_cbranch_execnz .LBB5_157
	s_branch .LBB5_159
.LBB5_156:
	s_branch .LBB5_159
.LBB5_157:                              ; =>This Inner Loop Header: Depth=1
	v_mov_b32_e32 v0, 1
	s_and_saveexec_b64 s[10:11], s[4:5]
	s_cbranch_execz .LBB5_154
; %bb.158:                              ;   in Loop: Header=BB5_157 Depth=1
	global_load_dword v0, v[10:11], off offset:20 glc
	s_waitcnt vmcnt(0)
	buffer_wbinvl1_vol
	v_and_b32_e32 v0, 1, v0
	s_branch .LBB5_154
.LBB5_159:
	s_and_saveexec_b64 s[10:11], s[4:5]
	s_cbranch_execz .LBB5_162
; %bb.160:
	v_mov_b32_e32 v6, 0
	global_load_dwordx2 v[2:3], v6, s[26:27] offset:40
	global_load_dwordx2 v[7:8], v6, s[26:27] offset:24 glc
	global_load_dwordx2 v[4:5], v6, s[26:27]
	v_mov_b32_e32 v1, s7
	s_mov_b64 s[4:5], 0
	s_waitcnt vmcnt(2)
	v_add_co_u32_e32 v9, vcc, 1, v2
	v_addc_co_u32_e32 v10, vcc, 0, v3, vcc
	v_add_co_u32_e32 v0, vcc, s6, v9
	v_addc_co_u32_e32 v1, vcc, v10, v1, vcc
	v_cmp_eq_u64_e32 vcc, 0, v[0:1]
	v_cndmask_b32_e32 v1, v1, v10, vcc
	v_cndmask_b32_e32 v0, v0, v9, vcc
	v_and_b32_e32 v3, v1, v3
	v_and_b32_e32 v2, v0, v2
	v_mul_lo_u32 v3, v3, 24
	v_mul_hi_u32 v9, v2, 24
	v_mul_lo_u32 v10, v2, 24
	s_waitcnt vmcnt(1)
	v_mov_b32_e32 v2, v7
	v_add_u32_e32 v3, v9, v3
	s_waitcnt vmcnt(0)
	v_add_co_u32_e32 v4, vcc, v4, v10
	v_addc_co_u32_e32 v5, vcc, v5, v3, vcc
	global_store_dwordx2 v[4:5], v[7:8], off
	v_mov_b32_e32 v3, v8
	s_waitcnt vmcnt(0)
	global_atomic_cmpswap_x2 v[2:3], v6, v[0:3], s[26:27] offset:24 glc
	s_waitcnt vmcnt(0)
	v_cmp_ne_u64_e32 vcc, v[2:3], v[7:8]
	s_and_b64 exec, exec, vcc
	s_cbranch_execz .LBB5_162
.LBB5_161:                              ; =>This Inner Loop Header: Depth=1
	s_sleep 1
	global_store_dwordx2 v[4:5], v[2:3], off
	s_waitcnt vmcnt(0)
	global_atomic_cmpswap_x2 v[7:8], v6, v[0:3], s[26:27] offset:24 glc
	s_waitcnt vmcnt(0)
	v_cmp_eq_u64_e32 vcc, v[7:8], v[2:3]
	v_mov_b32_e32 v2, v7
	s_or_b64 s[4:5], vcc, s[4:5]
	v_mov_b32_e32 v3, v8
	s_andn2_b64 exec, exec, s[4:5]
	s_cbranch_execnz .LBB5_161
.LBB5_162:
	s_or_b64 exec, exec, s[10:11]
	s_getpc_b64 s[34:35]
	s_add_u32 s34, s34, .str.10@rel32@lo+4
	s_addc_u32 s35, s35, .str.10@rel32@hi+12
	s_mov_b64 s[8:9], s[24:25]
	v_mov_b32_e32 v0, s34
	v_mov_b32_e32 v1, s35
	s_getpc_b64 s[36:37]
	s_add_u32 s36, s36, _ZNK8migraphx13basic_printerIZNS_4coutEvEUlT_E_ElsEPKc@rel32@lo+4
	s_addc_u32 s37, s37, _ZNK8migraphx13basic_printerIZNS_4coutEvEUlT_E_ElsEPKc@rel32@hi+12
	s_swappc_b64 s[30:31], s[36:37]
	s_getpc_b64 s[4:5]
	s_add_u32 s4, s4, .str.14@rel32@lo+4
	s_addc_u32 s5, s5, .str.14@rel32@hi+12
	s_mov_b64 s[8:9], s[24:25]
	v_mov_b32_e32 v0, s4
	v_mov_b32_e32 v1, s5
	s_swappc_b64 s[30:31], s[36:37]
	s_mov_b64 s[8:9], s[24:25]
	v_mov_b32_e32 v0, s34
	v_mov_b32_e32 v1, s35
	s_swappc_b64 s[30:31], s[36:37]
	flat_load_dword v31, v[36:37] offset:8
	v_readfirstlane_b32 s4, v39
	v_mov_b32_e32 v5, 0
	v_mov_b32_e32 v6, 0
	v_cmp_eq_u32_e64 s[4:5], s4, v39
	s_and_saveexec_b64 s[6:7], s[4:5]
	s_cbranch_execz .LBB5_168
; %bb.163:
	v_mov_b32_e32 v0, 0
	global_load_dwordx2 v[3:4], v0, s[26:27] offset:24 glc
	s_waitcnt vmcnt(0)
	buffer_wbinvl1_vol
	global_load_dwordx2 v[1:2], v0, s[26:27] offset:40
	global_load_dwordx2 v[5:6], v0, s[26:27]
	s_waitcnt vmcnt(0)
	v_and_b32_e32 v1, v1, v3
	v_and_b32_e32 v2, v2, v4
	v_mul_lo_u32 v2, v2, 24
	v_mul_hi_u32 v7, v1, 24
	v_mul_lo_u32 v1, v1, 24
	v_add_u32_e32 v2, v7, v2
	v_add_co_u32_e32 v1, vcc, v5, v1
	v_addc_co_u32_e32 v2, vcc, v6, v2, vcc
	global_load_dwordx2 v[1:2], v[1:2], off glc
	s_waitcnt vmcnt(0)
	global_atomic_cmpswap_x2 v[5:6], v0, v[1:4], s[26:27] offset:24 glc
	s_waitcnt vmcnt(0)
	buffer_wbinvl1_vol
	v_cmp_ne_u64_e32 vcc, v[5:6], v[3:4]
	s_and_saveexec_b64 s[8:9], vcc
	s_cbranch_execz .LBB5_167
; %bb.164:
	s_mov_b64 s[10:11], 0
.LBB5_165:                              ; =>This Inner Loop Header: Depth=1
	s_sleep 1
	global_load_dwordx2 v[1:2], v0, s[26:27] offset:40
	global_load_dwordx2 v[7:8], v0, s[26:27]
	v_mov_b32_e32 v3, v5
	v_mov_b32_e32 v4, v6
	s_waitcnt vmcnt(0)
	v_and_b32_e32 v1, v1, v3
	v_mad_u64_u32 v[5:6], s[12:13], v1, 24, v[7:8]
	v_and_b32_e32 v2, v2, v4
	v_mov_b32_e32 v1, v6
	v_mad_u64_u32 v[1:2], s[12:13], v2, 24, v[1:2]
	v_mov_b32_e32 v6, v1
	global_load_dwordx2 v[1:2], v[5:6], off glc
	s_waitcnt vmcnt(0)
	global_atomic_cmpswap_x2 v[5:6], v0, v[1:4], s[26:27] offset:24 glc
	s_waitcnt vmcnt(0)
	buffer_wbinvl1_vol
	v_cmp_eq_u64_e32 vcc, v[5:6], v[3:4]
	s_or_b64 s[10:11], vcc, s[10:11]
	s_andn2_b64 exec, exec, s[10:11]
	s_cbranch_execnz .LBB5_165
; %bb.166:
	s_or_b64 exec, exec, s[10:11]
.LBB5_167:
	s_or_b64 exec, exec, s[8:9]
.LBB5_168:
	s_or_b64 exec, exec, s[6:7]
	v_mov_b32_e32 v4, 0
	global_load_dwordx2 v[7:8], v4, s[26:27] offset:40
	global_load_dwordx4 v[0:3], v4, s[26:27]
	v_readfirstlane_b32 s6, v5
	v_readfirstlane_b32 s7, v6
	s_mov_b64 s[8:9], exec
	s_waitcnt vmcnt(0)
	v_readfirstlane_b32 s10, v7
	v_readfirstlane_b32 s11, v8
	s_and_b64 s[10:11], s[6:7], s[10:11]
	s_mul_i32 s12, s11, 24
	s_mul_hi_u32 s13, s10, 24
	s_mul_i32 s14, s10, 24
	s_add_i32 s12, s13, s12
	v_mov_b32_e32 v5, s12
	v_add_co_u32_e32 v7, vcc, s14, v0
	v_addc_co_u32_e32 v8, vcc, v1, v5, vcc
	s_and_saveexec_b64 s[12:13], s[4:5]
	s_cbranch_execz .LBB5_170
; %bb.169:
	v_mov_b32_e32 v10, s9
	v_mov_b32_e32 v9, s8
	;; [unrolled: 1-line block ×4, first 2 shown]
	global_store_dwordx4 v[7:8], v[9:12], off offset:8
.LBB5_170:
	s_or_b64 exec, exec, s[12:13]
	s_lshl_b64 s[8:9], s[10:11], 12
	v_mov_b32_e32 v5, s9
	v_add_co_u32_e32 v2, vcc, s8, v2
	v_addc_co_u32_e32 v11, vcc, v3, v5, vcc
	s_mov_b32 s8, 0
	v_mov_b32_e32 v3, 33
	v_mov_b32_e32 v5, v4
	;; [unrolled: 1-line block ×3, first 2 shown]
	v_readfirstlane_b32 s12, v2
	v_readfirstlane_b32 s13, v11
	v_add_co_u32_e32 v9, vcc, v2, v38
	s_mov_b32 s9, s8
	s_mov_b32 s10, s8
	;; [unrolled: 1-line block ×3, first 2 shown]
	s_nop 0
	global_store_dwordx4 v38, v[3:6], s[12:13]
	v_mov_b32_e32 v2, s8
	v_addc_co_u32_e32 v10, vcc, 0, v11, vcc
	v_mov_b32_e32 v3, s9
	v_mov_b32_e32 v4, s10
	;; [unrolled: 1-line block ×3, first 2 shown]
	global_store_dwordx4 v38, v[2:5], s[12:13] offset:16
	global_store_dwordx4 v38, v[2:5], s[12:13] offset:32
	;; [unrolled: 1-line block ×3, first 2 shown]
	s_and_saveexec_b64 s[8:9], s[4:5]
	s_cbranch_execz .LBB5_178
; %bb.171:
	v_mov_b32_e32 v6, 0
	global_load_dwordx2 v[13:14], v6, s[26:27] offset:32 glc
	global_load_dwordx2 v[2:3], v6, s[26:27] offset:40
	v_mov_b32_e32 v11, s6
	v_mov_b32_e32 v12, s7
	s_waitcnt vmcnt(0)
	v_readfirstlane_b32 s10, v2
	v_readfirstlane_b32 s11, v3
	s_and_b64 s[10:11], s[10:11], s[6:7]
	s_mul_i32 s11, s11, 24
	s_mul_hi_u32 s12, s10, 24
	s_mul_i32 s10, s10, 24
	s_add_i32 s11, s12, s11
	v_mov_b32_e32 v2, s11
	v_add_co_u32_e32 v4, vcc, s10, v0
	v_addc_co_u32_e32 v5, vcc, v1, v2, vcc
	global_store_dwordx2 v[4:5], v[13:14], off
	s_waitcnt vmcnt(0)
	global_atomic_cmpswap_x2 v[2:3], v6, v[11:14], s[26:27] offset:32 glc
	s_waitcnt vmcnt(0)
	v_cmp_ne_u64_e32 vcc, v[2:3], v[13:14]
	s_and_saveexec_b64 s[10:11], vcc
	s_cbranch_execz .LBB5_174
; %bb.172:
	s_mov_b64 s[12:13], 0
.LBB5_173:                              ; =>This Inner Loop Header: Depth=1
	s_sleep 1
	global_store_dwordx2 v[4:5], v[2:3], off
	v_mov_b32_e32 v0, s6
	v_mov_b32_e32 v1, s7
	s_waitcnt vmcnt(0)
	global_atomic_cmpswap_x2 v[0:1], v6, v[0:3], s[26:27] offset:32 glc
	s_waitcnt vmcnt(0)
	v_cmp_eq_u64_e32 vcc, v[0:1], v[2:3]
	v_mov_b32_e32 v3, v1
	s_or_b64 s[12:13], vcc, s[12:13]
	v_mov_b32_e32 v2, v0
	s_andn2_b64 exec, exec, s[12:13]
	s_cbranch_execnz .LBB5_173
.LBB5_174:
	s_or_b64 exec, exec, s[10:11]
	v_mov_b32_e32 v3, 0
	global_load_dwordx2 v[0:1], v3, s[26:27] offset:16
	s_mov_b64 s[10:11], exec
	v_mbcnt_lo_u32_b32 v2, s10, 0
	v_mbcnt_hi_u32_b32 v2, s11, v2
	v_cmp_eq_u32_e32 vcc, 0, v2
	s_and_saveexec_b64 s[12:13], vcc
	s_cbranch_execz .LBB5_176
; %bb.175:
	s_bcnt1_i32_b64 s10, s[10:11]
	v_mov_b32_e32 v2, s10
	s_waitcnt vmcnt(0)
	global_atomic_add_x2 v[0:1], v[2:3], off offset:8
.LBB5_176:
	s_or_b64 exec, exec, s[12:13]
	s_waitcnt vmcnt(0)
	global_load_dwordx2 v[2:3], v[0:1], off offset:16
	s_waitcnt vmcnt(0)
	v_cmp_eq_u64_e32 vcc, 0, v[2:3]
	s_cbranch_vccnz .LBB5_178
; %bb.177:
	global_load_dword v0, v[0:1], off offset:24
	v_mov_b32_e32 v1, 0
	s_waitcnt vmcnt(0)
	global_store_dwordx2 v[2:3], v[0:1], off
	v_and_b32_e32 v0, 0xffffff, v0
	v_readfirstlane_b32 m0, v0
	s_sendmsg sendmsg(MSG_INTERRUPT)
.LBB5_178:
	s_or_b64 exec, exec, s[8:9]
	s_branch .LBB5_182
.LBB5_179:                              ;   in Loop: Header=BB5_182 Depth=1
	s_or_b64 exec, exec, s[8:9]
	v_readfirstlane_b32 s8, v0
	s_cmp_eq_u32 s8, 0
	s_cbranch_scc1 .LBB5_181
; %bb.180:                              ;   in Loop: Header=BB5_182 Depth=1
	s_sleep 1
	s_cbranch_execnz .LBB5_182
	s_branch .LBB5_184
.LBB5_181:
	s_branch .LBB5_184
.LBB5_182:                              ; =>This Inner Loop Header: Depth=1
	v_mov_b32_e32 v0, 1
	s_and_saveexec_b64 s[8:9], s[4:5]
	s_cbranch_execz .LBB5_179
; %bb.183:                              ;   in Loop: Header=BB5_182 Depth=1
	global_load_dword v0, v[7:8], off offset:20 glc
	s_waitcnt vmcnt(0)
	buffer_wbinvl1_vol
	v_and_b32_e32 v0, 1, v0
	s_branch .LBB5_179
.LBB5_184:
	global_load_dwordx2 v[0:1], v[9:10], off
	s_and_saveexec_b64 s[8:9], s[4:5]
	s_cbranch_execz .LBB5_187
; %bb.185:
	v_mov_b32_e32 v8, 0
	global_load_dwordx2 v[4:5], v8, s[26:27] offset:40
	global_load_dwordx2 v[9:10], v8, s[26:27] offset:24 glc
	global_load_dwordx2 v[6:7], v8, s[26:27]
	v_mov_b32_e32 v3, s7
	s_mov_b64 s[4:5], 0
	s_waitcnt vmcnt(0)
	v_add_co_u32_e32 v11, vcc, 1, v4
	v_addc_co_u32_e32 v12, vcc, 0, v5, vcc
	v_add_co_u32_e32 v2, vcc, s6, v11
	v_addc_co_u32_e32 v3, vcc, v12, v3, vcc
	v_cmp_eq_u64_e32 vcc, 0, v[2:3]
	v_cndmask_b32_e32 v3, v3, v12, vcc
	v_cndmask_b32_e32 v2, v2, v11, vcc
	v_and_b32_e32 v5, v3, v5
	v_and_b32_e32 v4, v2, v4
	v_mul_lo_u32 v5, v5, 24
	v_mul_hi_u32 v11, v4, 24
	v_mul_lo_u32 v12, v4, 24
	v_mov_b32_e32 v4, v9
	v_add_u32_e32 v5, v11, v5
	v_add_co_u32_e32 v6, vcc, v6, v12
	v_addc_co_u32_e32 v7, vcc, v7, v5, vcc
	global_store_dwordx2 v[6:7], v[9:10], off
	v_mov_b32_e32 v5, v10
	s_waitcnt vmcnt(0)
	global_atomic_cmpswap_x2 v[4:5], v8, v[2:5], s[26:27] offset:24 glc
	s_waitcnt vmcnt(0)
	v_cmp_ne_u64_e32 vcc, v[4:5], v[9:10]
	s_and_b64 exec, exec, vcc
	s_cbranch_execz .LBB5_187
.LBB5_186:                              ; =>This Inner Loop Header: Depth=1
	s_sleep 1
	global_store_dwordx2 v[6:7], v[4:5], off
	s_waitcnt vmcnt(0)
	global_atomic_cmpswap_x2 v[9:10], v8, v[2:5], s[26:27] offset:24 glc
	s_waitcnt vmcnt(0)
	v_cmp_eq_u64_e32 vcc, v[9:10], v[4:5]
	v_mov_b32_e32 v4, v9
	s_or_b64 s[4:5], vcc, s[4:5]
	v_mov_b32_e32 v5, v10
	s_andn2_b64 exec, exec, s[4:5]
	s_cbranch_execnz .LBB5_186
.LBB5_187:
	s_or_b64 exec, exec, s[8:9]
	s_and_b64 vcc, exec, s[28:29]
	s_cbranch_vccz .LBB5_272
; %bb.188:
	s_waitcnt vmcnt(0)
	v_and_b32_e32 v32, 2, v0
	v_mov_b32_e32 v28, 0
	v_and_b32_e32 v2, -3, v0
	v_mov_b32_e32 v3, v1
	s_mov_b64 s[8:9], 4
	v_mov_b32_e32 v6, 2
	v_mov_b32_e32 v7, 1
	s_getpc_b64 s[6:7]
	s_add_u32 s6, s6, .str.9@rel32@lo+4
	s_addc_u32 s7, s7, .str.9@rel32@hi+12
	s_branch .LBB5_190
.LBB5_189:                              ;   in Loop: Header=BB5_190 Depth=1
	s_or_b64 exec, exec, s[14:15]
	s_sub_u32 s8, s8, s10
	s_subb_u32 s9, s9, s11
	s_add_u32 s6, s6, s10
	s_addc_u32 s7, s7, s11
	s_cmp_lg_u64 s[8:9], 0
	s_cbranch_scc0 .LBB5_271
.LBB5_190:                              ; =>This Loop Header: Depth=1
                                        ;     Child Loop BB5_193 Depth 2
                                        ;     Child Loop BB5_200 Depth 2
	;; [unrolled: 1-line block ×11, first 2 shown]
	v_cmp_lt_u64_e64 s[4:5], s[8:9], 56
	v_cmp_gt_u64_e64 s[12:13], s[8:9], 7
	s_and_b64 s[4:5], s[4:5], exec
	s_cselect_b32 s11, s9, 0
	s_cselect_b32 s10, s8, 56
	s_and_b64 vcc, exec, s[12:13]
	s_cbranch_vccnz .LBB5_195
; %bb.191:                              ;   in Loop: Header=BB5_190 Depth=1
	v_mov_b32_e32 v10, 0
	s_cmp_eq_u64 s[8:9], 0
	v_mov_b32_e32 v11, 0
	s_mov_b64 s[4:5], 0
	s_cbranch_scc1 .LBB5_194
; %bb.192:                              ;   in Loop: Header=BB5_190 Depth=1
	v_mov_b32_e32 v10, 0
	s_lshl_b64 s[12:13], s[10:11], 3
	s_mov_b64 s[14:15], 0
	v_mov_b32_e32 v11, 0
	s_mov_b64 s[16:17], s[6:7]
.LBB5_193:                              ;   Parent Loop BB5_190 Depth=1
                                        ; =>  This Inner Loop Header: Depth=2
	global_load_ubyte v4, v28, s[16:17]
	s_waitcnt vmcnt(0)
	v_and_b32_e32 v27, 0xffff, v4
	v_lshlrev_b64 v[4:5], s14, v[27:28]
	s_add_u32 s14, s14, 8
	s_addc_u32 s15, s15, 0
	s_add_u32 s16, s16, 1
	s_addc_u32 s17, s17, 0
	v_or_b32_e32 v10, v4, v10
	s_cmp_lg_u32 s12, s14
	v_or_b32_e32 v11, v5, v11
	s_cbranch_scc1 .LBB5_193
.LBB5_194:                              ;   in Loop: Header=BB5_190 Depth=1
	s_mov_b32 s16, 0
	s_andn2_b64 vcc, exec, s[4:5]
	s_mov_b64 s[4:5], s[6:7]
	s_cbranch_vccz .LBB5_196
	s_branch .LBB5_197
.LBB5_195:                              ;   in Loop: Header=BB5_190 Depth=1
                                        ; implicit-def: $vgpr10_vgpr11
                                        ; implicit-def: $sgpr16
	s_mov_b64 s[4:5], s[6:7]
.LBB5_196:                              ;   in Loop: Header=BB5_190 Depth=1
	global_load_dwordx2 v[10:11], v28, s[6:7]
	s_add_i32 s16, s10, -8
	s_add_u32 s4, s6, 8
	s_addc_u32 s5, s7, 0
.LBB5_197:                              ;   in Loop: Header=BB5_190 Depth=1
	s_cmp_gt_u32 s16, 7
	s_cbranch_scc1 .LBB5_201
; %bb.198:                              ;   in Loop: Header=BB5_190 Depth=1
	s_cmp_eq_u32 s16, 0
	s_cbranch_scc1 .LBB5_202
; %bb.199:                              ;   in Loop: Header=BB5_190 Depth=1
	v_mov_b32_e32 v12, 0
	s_mov_b64 s[12:13], 0
	v_mov_b32_e32 v13, 0
	s_mov_b64 s[14:15], 0
.LBB5_200:                              ;   Parent Loop BB5_190 Depth=1
                                        ; =>  This Inner Loop Header: Depth=2
	s_add_u32 s18, s4, s14
	s_addc_u32 s19, s5, s15
	global_load_ubyte v4, v28, s[18:19]
	s_add_u32 s14, s14, 1
	s_addc_u32 s15, s15, 0
	s_waitcnt vmcnt(0)
	v_and_b32_e32 v27, 0xffff, v4
	v_lshlrev_b64 v[4:5], s12, v[27:28]
	s_add_u32 s12, s12, 8
	s_addc_u32 s13, s13, 0
	v_or_b32_e32 v12, v4, v12
	s_cmp_lg_u32 s16, s14
	v_or_b32_e32 v13, v5, v13
	s_cbranch_scc1 .LBB5_200
	s_branch .LBB5_203
.LBB5_201:                              ;   in Loop: Header=BB5_190 Depth=1
                                        ; implicit-def: $vgpr12_vgpr13
                                        ; implicit-def: $sgpr17
	s_branch .LBB5_204
.LBB5_202:                              ;   in Loop: Header=BB5_190 Depth=1
	v_mov_b32_e32 v12, 0
	v_mov_b32_e32 v13, 0
.LBB5_203:                              ;   in Loop: Header=BB5_190 Depth=1
	s_mov_b32 s17, 0
	s_cbranch_execnz .LBB5_205
.LBB5_204:                              ;   in Loop: Header=BB5_190 Depth=1
	global_load_dwordx2 v[12:13], v28, s[4:5]
	s_add_i32 s17, s16, -8
	s_add_u32 s4, s4, 8
	s_addc_u32 s5, s5, 0
.LBB5_205:                              ;   in Loop: Header=BB5_190 Depth=1
	s_cmp_gt_u32 s17, 7
	s_cbranch_scc1 .LBB5_209
; %bb.206:                              ;   in Loop: Header=BB5_190 Depth=1
	s_cmp_eq_u32 s17, 0
	s_cbranch_scc1 .LBB5_210
; %bb.207:                              ;   in Loop: Header=BB5_190 Depth=1
	v_mov_b32_e32 v14, 0
	s_mov_b64 s[12:13], 0
	v_mov_b32_e32 v15, 0
	s_mov_b64 s[14:15], 0
.LBB5_208:                              ;   Parent Loop BB5_190 Depth=1
                                        ; =>  This Inner Loop Header: Depth=2
	s_add_u32 s18, s4, s14
	s_addc_u32 s19, s5, s15
	global_load_ubyte v4, v28, s[18:19]
	s_add_u32 s14, s14, 1
	s_addc_u32 s15, s15, 0
	s_waitcnt vmcnt(0)
	v_and_b32_e32 v27, 0xffff, v4
	v_lshlrev_b64 v[4:5], s12, v[27:28]
	s_add_u32 s12, s12, 8
	s_addc_u32 s13, s13, 0
	v_or_b32_e32 v14, v4, v14
	s_cmp_lg_u32 s17, s14
	v_or_b32_e32 v15, v5, v15
	s_cbranch_scc1 .LBB5_208
	s_branch .LBB5_211
.LBB5_209:                              ;   in Loop: Header=BB5_190 Depth=1
                                        ; implicit-def: $sgpr16
	s_branch .LBB5_212
.LBB5_210:                              ;   in Loop: Header=BB5_190 Depth=1
	v_mov_b32_e32 v14, 0
	v_mov_b32_e32 v15, 0
.LBB5_211:                              ;   in Loop: Header=BB5_190 Depth=1
	s_mov_b32 s16, 0
	s_cbranch_execnz .LBB5_213
.LBB5_212:                              ;   in Loop: Header=BB5_190 Depth=1
	global_load_dwordx2 v[14:15], v28, s[4:5]
	s_add_i32 s16, s17, -8
	s_add_u32 s4, s4, 8
	s_addc_u32 s5, s5, 0
.LBB5_213:                              ;   in Loop: Header=BB5_190 Depth=1
	s_cmp_gt_u32 s16, 7
	s_cbranch_scc1 .LBB5_217
; %bb.214:                              ;   in Loop: Header=BB5_190 Depth=1
	s_cmp_eq_u32 s16, 0
	s_cbranch_scc1 .LBB5_218
; %bb.215:                              ;   in Loop: Header=BB5_190 Depth=1
	v_mov_b32_e32 v16, 0
	s_mov_b64 s[12:13], 0
	v_mov_b32_e32 v17, 0
	s_mov_b64 s[14:15], 0
.LBB5_216:                              ;   Parent Loop BB5_190 Depth=1
                                        ; =>  This Inner Loop Header: Depth=2
	s_add_u32 s18, s4, s14
	s_addc_u32 s19, s5, s15
	global_load_ubyte v4, v28, s[18:19]
	s_add_u32 s14, s14, 1
	s_addc_u32 s15, s15, 0
	s_waitcnt vmcnt(0)
	v_and_b32_e32 v27, 0xffff, v4
	v_lshlrev_b64 v[4:5], s12, v[27:28]
	s_add_u32 s12, s12, 8
	s_addc_u32 s13, s13, 0
	v_or_b32_e32 v16, v4, v16
	s_cmp_lg_u32 s16, s14
	v_or_b32_e32 v17, v5, v17
	s_cbranch_scc1 .LBB5_216
	s_branch .LBB5_219
.LBB5_217:                              ;   in Loop: Header=BB5_190 Depth=1
                                        ; implicit-def: $vgpr16_vgpr17
                                        ; implicit-def: $sgpr17
	s_branch .LBB5_220
.LBB5_218:                              ;   in Loop: Header=BB5_190 Depth=1
	v_mov_b32_e32 v16, 0
	v_mov_b32_e32 v17, 0
.LBB5_219:                              ;   in Loop: Header=BB5_190 Depth=1
	s_mov_b32 s17, 0
	s_cbranch_execnz .LBB5_221
.LBB5_220:                              ;   in Loop: Header=BB5_190 Depth=1
	global_load_dwordx2 v[16:17], v28, s[4:5]
	s_add_i32 s17, s16, -8
	s_add_u32 s4, s4, 8
	s_addc_u32 s5, s5, 0
.LBB5_221:                              ;   in Loop: Header=BB5_190 Depth=1
	s_cmp_gt_u32 s17, 7
	s_cbranch_scc1 .LBB5_225
; %bb.222:                              ;   in Loop: Header=BB5_190 Depth=1
	s_cmp_eq_u32 s17, 0
	s_cbranch_scc1 .LBB5_226
; %bb.223:                              ;   in Loop: Header=BB5_190 Depth=1
	v_mov_b32_e32 v18, 0
	s_mov_b64 s[12:13], 0
	v_mov_b32_e32 v19, 0
	s_mov_b64 s[14:15], 0
.LBB5_224:                              ;   Parent Loop BB5_190 Depth=1
                                        ; =>  This Inner Loop Header: Depth=2
	s_add_u32 s18, s4, s14
	s_addc_u32 s19, s5, s15
	global_load_ubyte v4, v28, s[18:19]
	s_add_u32 s14, s14, 1
	s_addc_u32 s15, s15, 0
	s_waitcnt vmcnt(0)
	v_and_b32_e32 v27, 0xffff, v4
	v_lshlrev_b64 v[4:5], s12, v[27:28]
	s_add_u32 s12, s12, 8
	s_addc_u32 s13, s13, 0
	v_or_b32_e32 v18, v4, v18
	s_cmp_lg_u32 s17, s14
	v_or_b32_e32 v19, v5, v19
	s_cbranch_scc1 .LBB5_224
	s_branch .LBB5_227
.LBB5_225:                              ;   in Loop: Header=BB5_190 Depth=1
                                        ; implicit-def: $sgpr16
	s_branch .LBB5_228
.LBB5_226:                              ;   in Loop: Header=BB5_190 Depth=1
	v_mov_b32_e32 v18, 0
	v_mov_b32_e32 v19, 0
.LBB5_227:                              ;   in Loop: Header=BB5_190 Depth=1
	s_mov_b32 s16, 0
	s_cbranch_execnz .LBB5_229
.LBB5_228:                              ;   in Loop: Header=BB5_190 Depth=1
	global_load_dwordx2 v[18:19], v28, s[4:5]
	s_add_i32 s16, s17, -8
	s_add_u32 s4, s4, 8
	s_addc_u32 s5, s5, 0
.LBB5_229:                              ;   in Loop: Header=BB5_190 Depth=1
	s_cmp_gt_u32 s16, 7
	s_cbranch_scc1 .LBB5_233
; %bb.230:                              ;   in Loop: Header=BB5_190 Depth=1
	s_cmp_eq_u32 s16, 0
	s_cbranch_scc1 .LBB5_234
; %bb.231:                              ;   in Loop: Header=BB5_190 Depth=1
	v_mov_b32_e32 v20, 0
	s_mov_b64 s[12:13], 0
	v_mov_b32_e32 v21, 0
	s_mov_b64 s[14:15], 0
.LBB5_232:                              ;   Parent Loop BB5_190 Depth=1
                                        ; =>  This Inner Loop Header: Depth=2
	s_add_u32 s18, s4, s14
	s_addc_u32 s19, s5, s15
	global_load_ubyte v4, v28, s[18:19]
	s_add_u32 s14, s14, 1
	s_addc_u32 s15, s15, 0
	s_waitcnt vmcnt(0)
	v_and_b32_e32 v27, 0xffff, v4
	v_lshlrev_b64 v[4:5], s12, v[27:28]
	s_add_u32 s12, s12, 8
	s_addc_u32 s13, s13, 0
	v_or_b32_e32 v20, v4, v20
	s_cmp_lg_u32 s16, s14
	v_or_b32_e32 v21, v5, v21
	s_cbranch_scc1 .LBB5_232
	s_branch .LBB5_235
.LBB5_233:                              ;   in Loop: Header=BB5_190 Depth=1
                                        ; implicit-def: $vgpr20_vgpr21
                                        ; implicit-def: $sgpr17
	s_branch .LBB5_236
.LBB5_234:                              ;   in Loop: Header=BB5_190 Depth=1
	v_mov_b32_e32 v20, 0
	v_mov_b32_e32 v21, 0
.LBB5_235:                              ;   in Loop: Header=BB5_190 Depth=1
	s_mov_b32 s17, 0
	s_cbranch_execnz .LBB5_237
.LBB5_236:                              ;   in Loop: Header=BB5_190 Depth=1
	global_load_dwordx2 v[20:21], v28, s[4:5]
	s_add_i32 s17, s16, -8
	s_add_u32 s4, s4, 8
	s_addc_u32 s5, s5, 0
.LBB5_237:                              ;   in Loop: Header=BB5_190 Depth=1
	s_cmp_gt_u32 s17, 7
	s_cbranch_scc1 .LBB5_241
; %bb.238:                              ;   in Loop: Header=BB5_190 Depth=1
	s_cmp_eq_u32 s17, 0
	s_cbranch_scc1 .LBB5_242
; %bb.239:                              ;   in Loop: Header=BB5_190 Depth=1
	v_mov_b32_e32 v22, 0
	s_mov_b64 s[12:13], 0
	v_mov_b32_e32 v23, 0
	s_mov_b64 s[14:15], s[4:5]
.LBB5_240:                              ;   Parent Loop BB5_190 Depth=1
                                        ; =>  This Inner Loop Header: Depth=2
	global_load_ubyte v4, v28, s[14:15]
	s_add_i32 s17, s17, -1
	s_waitcnt vmcnt(0)
	v_and_b32_e32 v27, 0xffff, v4
	v_lshlrev_b64 v[4:5], s12, v[27:28]
	s_add_u32 s12, s12, 8
	s_addc_u32 s13, s13, 0
	s_add_u32 s14, s14, 1
	s_addc_u32 s15, s15, 0
	v_or_b32_e32 v22, v4, v22
	s_cmp_lg_u32 s17, 0
	v_or_b32_e32 v23, v5, v23
	s_cbranch_scc1 .LBB5_240
	s_branch .LBB5_243
.LBB5_241:                              ;   in Loop: Header=BB5_190 Depth=1
	s_branch .LBB5_244
.LBB5_242:                              ;   in Loop: Header=BB5_190 Depth=1
	v_mov_b32_e32 v22, 0
	v_mov_b32_e32 v23, 0
.LBB5_243:                              ;   in Loop: Header=BB5_190 Depth=1
	s_cbranch_execnz .LBB5_245
.LBB5_244:                              ;   in Loop: Header=BB5_190 Depth=1
	global_load_dwordx2 v[22:23], v28, s[4:5]
.LBB5_245:                              ;   in Loop: Header=BB5_190 Depth=1
	v_readfirstlane_b32 s4, v39
	s_waitcnt vmcnt(0)
	v_mov_b32_e32 v4, 0
	v_mov_b32_e32 v5, 0
	v_cmp_eq_u32_e64 s[4:5], s4, v39
	s_and_saveexec_b64 s[12:13], s[4:5]
	s_cbranch_execz .LBB5_251
; %bb.246:                              ;   in Loop: Header=BB5_190 Depth=1
	global_load_dwordx2 v[26:27], v28, s[26:27] offset:24 glc
	s_waitcnt vmcnt(0)
	buffer_wbinvl1_vol
	global_load_dwordx2 v[4:5], v28, s[26:27] offset:40
	global_load_dwordx2 v[8:9], v28, s[26:27]
	s_waitcnt vmcnt(0)
	v_and_b32_e32 v4, v4, v26
	v_and_b32_e32 v5, v5, v27
	v_mul_lo_u32 v5, v5, 24
	v_mul_hi_u32 v24, v4, 24
	v_mul_lo_u32 v4, v4, 24
	v_add_u32_e32 v5, v24, v5
	v_add_co_u32_e32 v4, vcc, v8, v4
	v_addc_co_u32_e32 v5, vcc, v9, v5, vcc
	global_load_dwordx2 v[24:25], v[4:5], off glc
	s_waitcnt vmcnt(0)
	global_atomic_cmpswap_x2 v[4:5], v28, v[24:27], s[26:27] offset:24 glc
	s_waitcnt vmcnt(0)
	buffer_wbinvl1_vol
	v_cmp_ne_u64_e32 vcc, v[4:5], v[26:27]
	s_and_saveexec_b64 s[14:15], vcc
	s_cbranch_execz .LBB5_250
; %bb.247:                              ;   in Loop: Header=BB5_190 Depth=1
	s_mov_b64 s[16:17], 0
.LBB5_248:                              ;   Parent Loop BB5_190 Depth=1
                                        ; =>  This Inner Loop Header: Depth=2
	s_sleep 1
	global_load_dwordx2 v[8:9], v28, s[26:27] offset:40
	global_load_dwordx2 v[24:25], v28, s[26:27]
	v_mov_b32_e32 v27, v5
	v_mov_b32_e32 v26, v4
	s_waitcnt vmcnt(0)
	v_and_b32_e32 v4, v8, v26
	v_mad_u64_u32 v[4:5], s[18:19], v4, 24, v[24:25]
	v_and_b32_e32 v8, v9, v27
	v_mad_u64_u32 v[8:9], s[18:19], v8, 24, v[5:6]
	v_mov_b32_e32 v5, v8
	global_load_dwordx2 v[24:25], v[4:5], off glc
	s_waitcnt vmcnt(0)
	global_atomic_cmpswap_x2 v[4:5], v28, v[24:27], s[26:27] offset:24 glc
	s_waitcnt vmcnt(0)
	buffer_wbinvl1_vol
	v_cmp_eq_u64_e32 vcc, v[4:5], v[26:27]
	s_or_b64 s[16:17], vcc, s[16:17]
	s_andn2_b64 exec, exec, s[16:17]
	s_cbranch_execnz .LBB5_248
; %bb.249:                              ;   in Loop: Header=BB5_190 Depth=1
	s_or_b64 exec, exec, s[16:17]
.LBB5_250:                              ;   in Loop: Header=BB5_190 Depth=1
	s_or_b64 exec, exec, s[14:15]
.LBB5_251:                              ;   in Loop: Header=BB5_190 Depth=1
	s_or_b64 exec, exec, s[12:13]
	global_load_dwordx2 v[8:9], v28, s[26:27] offset:40
	global_load_dwordx4 v[24:27], v28, s[26:27]
	v_readfirstlane_b32 s12, v4
	v_readfirstlane_b32 s13, v5
	s_mov_b64 s[14:15], exec
	s_waitcnt vmcnt(0)
	v_readfirstlane_b32 s16, v8
	v_readfirstlane_b32 s17, v9
	s_and_b64 s[16:17], s[12:13], s[16:17]
	s_mul_i32 s18, s17, 24
	s_mul_hi_u32 s19, s16, 24
	s_mul_i32 s20, s16, 24
	s_add_i32 s18, s19, s18
	v_mov_b32_e32 v4, s18
	v_add_co_u32_e32 v29, vcc, s20, v24
	v_addc_co_u32_e32 v30, vcc, v25, v4, vcc
	s_and_saveexec_b64 s[18:19], s[4:5]
	s_cbranch_execz .LBB5_253
; %bb.252:                              ;   in Loop: Header=BB5_190 Depth=1
	v_mov_b32_e32 v4, s14
	v_mov_b32_e32 v5, s15
	global_store_dwordx4 v[29:30], v[4:7], off offset:8
.LBB5_253:                              ;   in Loop: Header=BB5_190 Depth=1
	s_or_b64 exec, exec, s[18:19]
	s_lshl_b64 s[14:15], s[16:17], 12
	v_mov_b32_e32 v4, s15
	v_add_co_u32_e32 v26, vcc, s14, v26
	v_addc_co_u32_e32 v33, vcc, v27, v4, vcc
	v_cmp_gt_u64_e64 vcc, s[8:9], 56
	v_or_b32_e32 v5, v2, v32
	s_lshl_b32 s14, s10, 2
	v_cndmask_b32_e32 v2, v5, v2, vcc
	s_add_i32 s14, s14, 28
	v_or_b32_e32 v4, 0, v3
	s_and_b32 s14, s14, 0x1e0
	v_and_b32_e32 v2, 0xffffff1f, v2
	v_cndmask_b32_e32 v9, v4, v3, vcc
	v_or_b32_e32 v8, s14, v2
	v_readfirstlane_b32 s14, v26
	v_readfirstlane_b32 s15, v33
	s_nop 4
	global_store_dwordx4 v38, v[8:11], s[14:15]
	global_store_dwordx4 v38, v[12:15], s[14:15] offset:16
	global_store_dwordx4 v38, v[16:19], s[14:15] offset:32
	;; [unrolled: 1-line block ×3, first 2 shown]
	s_and_saveexec_b64 s[14:15], s[4:5]
	s_cbranch_execz .LBB5_261
; %bb.254:                              ;   in Loop: Header=BB5_190 Depth=1
	global_load_dwordx2 v[12:13], v28, s[26:27] offset:32 glc
	global_load_dwordx2 v[2:3], v28, s[26:27] offset:40
	v_mov_b32_e32 v10, s12
	v_mov_b32_e32 v11, s13
	s_waitcnt vmcnt(0)
	v_readfirstlane_b32 s16, v2
	v_readfirstlane_b32 s17, v3
	s_and_b64 s[16:17], s[16:17], s[12:13]
	s_mul_i32 s17, s17, 24
	s_mul_hi_u32 s18, s16, 24
	s_mul_i32 s16, s16, 24
	s_add_i32 s17, s18, s17
	v_mov_b32_e32 v2, s17
	v_add_co_u32_e32 v8, vcc, s16, v24
	v_addc_co_u32_e32 v9, vcc, v25, v2, vcc
	global_store_dwordx2 v[8:9], v[12:13], off
	s_waitcnt vmcnt(0)
	global_atomic_cmpswap_x2 v[4:5], v28, v[10:13], s[26:27] offset:32 glc
	s_waitcnt vmcnt(0)
	v_cmp_ne_u64_e32 vcc, v[4:5], v[12:13]
	s_and_saveexec_b64 s[16:17], vcc
	s_cbranch_execz .LBB5_257
; %bb.255:                              ;   in Loop: Header=BB5_190 Depth=1
	s_mov_b64 s[18:19], 0
.LBB5_256:                              ;   Parent Loop BB5_190 Depth=1
                                        ; =>  This Inner Loop Header: Depth=2
	s_sleep 1
	global_store_dwordx2 v[8:9], v[4:5], off
	v_mov_b32_e32 v2, s12
	v_mov_b32_e32 v3, s13
	s_waitcnt vmcnt(0)
	global_atomic_cmpswap_x2 v[2:3], v28, v[2:5], s[26:27] offset:32 glc
	s_waitcnt vmcnt(0)
	v_cmp_eq_u64_e32 vcc, v[2:3], v[4:5]
	v_mov_b32_e32 v5, v3
	s_or_b64 s[18:19], vcc, s[18:19]
	v_mov_b32_e32 v4, v2
	s_andn2_b64 exec, exec, s[18:19]
	s_cbranch_execnz .LBB5_256
.LBB5_257:                              ;   in Loop: Header=BB5_190 Depth=1
	s_or_b64 exec, exec, s[16:17]
	global_load_dwordx2 v[2:3], v28, s[26:27] offset:16
	s_mov_b64 s[18:19], exec
	v_mbcnt_lo_u32_b32 v4, s18, 0
	v_mbcnt_hi_u32_b32 v4, s19, v4
	v_cmp_eq_u32_e32 vcc, 0, v4
	s_and_saveexec_b64 s[16:17], vcc
	s_cbranch_execz .LBB5_259
; %bb.258:                              ;   in Loop: Header=BB5_190 Depth=1
	s_bcnt1_i32_b64 s18, s[18:19]
	v_mov_b32_e32 v27, s18
	s_waitcnt vmcnt(0)
	global_atomic_add_x2 v[2:3], v[27:28], off offset:8
.LBB5_259:                              ;   in Loop: Header=BB5_190 Depth=1
	s_or_b64 exec, exec, s[16:17]
	s_waitcnt vmcnt(0)
	global_load_dwordx2 v[4:5], v[2:3], off offset:16
	s_waitcnt vmcnt(0)
	v_cmp_eq_u64_e32 vcc, 0, v[4:5]
	s_cbranch_vccnz .LBB5_261
; %bb.260:                              ;   in Loop: Header=BB5_190 Depth=1
	global_load_dword v27, v[2:3], off offset:24
	s_waitcnt vmcnt(0)
	v_and_b32_e32 v2, 0xffffff, v27
	v_readfirstlane_b32 m0, v2
	global_store_dwordx2 v[4:5], v[27:28], off
	s_sendmsg sendmsg(MSG_INTERRUPT)
.LBB5_261:                              ;   in Loop: Header=BB5_190 Depth=1
	s_or_b64 exec, exec, s[14:15]
	v_add_co_u32_e32 v2, vcc, v26, v38
	v_addc_co_u32_e32 v3, vcc, 0, v33, vcc
	s_branch .LBB5_265
.LBB5_262:                              ;   in Loop: Header=BB5_265 Depth=2
	s_or_b64 exec, exec, s[14:15]
	v_readfirstlane_b32 s14, v4
	s_cmp_eq_u32 s14, 0
	s_cbranch_scc1 .LBB5_264
; %bb.263:                              ;   in Loop: Header=BB5_265 Depth=2
	s_sleep 1
	s_cbranch_execnz .LBB5_265
	s_branch .LBB5_267
.LBB5_264:                              ;   in Loop: Header=BB5_190 Depth=1
	s_branch .LBB5_267
.LBB5_265:                              ;   Parent Loop BB5_190 Depth=1
                                        ; =>  This Inner Loop Header: Depth=2
	v_mov_b32_e32 v4, 1
	s_and_saveexec_b64 s[14:15], s[4:5]
	s_cbranch_execz .LBB5_262
; %bb.266:                              ;   in Loop: Header=BB5_265 Depth=2
	global_load_dword v4, v[29:30], off offset:20 glc
	s_waitcnt vmcnt(0)
	buffer_wbinvl1_vol
	v_and_b32_e32 v4, 1, v4
	s_branch .LBB5_262
.LBB5_267:                              ;   in Loop: Header=BB5_190 Depth=1
	global_load_dwordx4 v[2:5], v[2:3], off
	s_and_saveexec_b64 s[14:15], s[4:5]
	s_cbranch_execz .LBB5_189
; %bb.268:                              ;   in Loop: Header=BB5_190 Depth=1
	global_load_dwordx2 v[4:5], v28, s[26:27] offset:40
	global_load_dwordx2 v[12:13], v28, s[26:27] offset:24 glc
	global_load_dwordx2 v[14:15], v28, s[26:27]
	v_mov_b32_e32 v9, s13
	s_waitcnt vmcnt(0)
	v_add_co_u32_e32 v10, vcc, 1, v4
	v_addc_co_u32_e32 v11, vcc, 0, v5, vcc
	v_add_co_u32_e32 v8, vcc, s12, v10
	v_addc_co_u32_e32 v9, vcc, v11, v9, vcc
	v_cmp_eq_u64_e32 vcc, 0, v[8:9]
	v_cndmask_b32_e32 v9, v9, v11, vcc
	v_cndmask_b32_e32 v8, v8, v10, vcc
	v_and_b32_e32 v5, v9, v5
	v_and_b32_e32 v4, v8, v4
	v_mul_lo_u32 v5, v5, 24
	v_mul_hi_u32 v11, v4, 24
	v_mul_lo_u32 v4, v4, 24
	v_mov_b32_e32 v10, v12
	v_add_u32_e32 v5, v11, v5
	v_add_co_u32_e32 v4, vcc, v14, v4
	v_addc_co_u32_e32 v5, vcc, v15, v5, vcc
	global_store_dwordx2 v[4:5], v[12:13], off
	v_mov_b32_e32 v11, v13
	s_waitcnt vmcnt(0)
	global_atomic_cmpswap_x2 v[10:11], v28, v[8:11], s[26:27] offset:24 glc
	s_waitcnt vmcnt(0)
	v_cmp_ne_u64_e32 vcc, v[10:11], v[12:13]
	s_and_b64 exec, exec, vcc
	s_cbranch_execz .LBB5_189
; %bb.269:                              ;   in Loop: Header=BB5_190 Depth=1
	s_mov_b64 s[4:5], 0
.LBB5_270:                              ;   Parent Loop BB5_190 Depth=1
                                        ; =>  This Inner Loop Header: Depth=2
	s_sleep 1
	global_store_dwordx2 v[4:5], v[10:11], off
	s_waitcnt vmcnt(0)
	global_atomic_cmpswap_x2 v[12:13], v28, v[8:11], s[26:27] offset:24 glc
	s_waitcnt vmcnt(0)
	v_cmp_eq_u64_e32 vcc, v[12:13], v[10:11]
	v_mov_b32_e32 v10, v12
	s_or_b64 s[4:5], vcc, s[4:5]
	v_mov_b32_e32 v11, v13
	s_andn2_b64 exec, exec, s[4:5]
	s_cbranch_execnz .LBB5_270
	s_branch .LBB5_189
.LBB5_271:
	s_branch .LBB5_299
.LBB5_272:
                                        ; implicit-def: $vgpr2_vgpr3
	s_cbranch_execz .LBB5_299
; %bb.273:
	v_readfirstlane_b32 s4, v39
	v_mov_b32_e32 v8, 0
	v_mov_b32_e32 v9, 0
	v_cmp_eq_u32_e64 s[4:5], s4, v39
	s_and_saveexec_b64 s[6:7], s[4:5]
	s_cbranch_execz .LBB5_279
; %bb.274:
	s_waitcnt vmcnt(0)
	v_mov_b32_e32 v2, 0
	global_load_dwordx2 v[5:6], v2, s[26:27] offset:24 glc
	s_waitcnt vmcnt(0)
	buffer_wbinvl1_vol
	global_load_dwordx2 v[3:4], v2, s[26:27] offset:40
	global_load_dwordx2 v[7:8], v2, s[26:27]
	s_waitcnt vmcnt(0)
	v_and_b32_e32 v3, v3, v5
	v_and_b32_e32 v4, v4, v6
	v_mul_lo_u32 v4, v4, 24
	v_mul_hi_u32 v9, v3, 24
	v_mul_lo_u32 v3, v3, 24
	v_add_u32_e32 v4, v9, v4
	v_add_co_u32_e32 v3, vcc, v7, v3
	v_addc_co_u32_e32 v4, vcc, v8, v4, vcc
	global_load_dwordx2 v[3:4], v[3:4], off glc
	s_waitcnt vmcnt(0)
	global_atomic_cmpswap_x2 v[8:9], v2, v[3:6], s[26:27] offset:24 glc
	s_waitcnt vmcnt(0)
	buffer_wbinvl1_vol
	v_cmp_ne_u64_e32 vcc, v[8:9], v[5:6]
	s_and_saveexec_b64 s[8:9], vcc
	s_cbranch_execz .LBB5_278
; %bb.275:
	s_mov_b64 s[10:11], 0
.LBB5_276:                              ; =>This Inner Loop Header: Depth=1
	s_sleep 1
	global_load_dwordx2 v[3:4], v2, s[26:27] offset:40
	global_load_dwordx2 v[10:11], v2, s[26:27]
	v_mov_b32_e32 v5, v8
	v_mov_b32_e32 v6, v9
	s_waitcnt vmcnt(0)
	v_and_b32_e32 v3, v3, v5
	v_mad_u64_u32 v[7:8], s[12:13], v3, 24, v[10:11]
	v_and_b32_e32 v4, v4, v6
	v_mov_b32_e32 v3, v8
	v_mad_u64_u32 v[3:4], s[12:13], v4, 24, v[3:4]
	v_mov_b32_e32 v8, v3
	global_load_dwordx2 v[3:4], v[7:8], off glc
	s_waitcnt vmcnt(0)
	global_atomic_cmpswap_x2 v[8:9], v2, v[3:6], s[26:27] offset:24 glc
	s_waitcnt vmcnt(0)
	buffer_wbinvl1_vol
	v_cmp_eq_u64_e32 vcc, v[8:9], v[5:6]
	s_or_b64 s[10:11], vcc, s[10:11]
	s_andn2_b64 exec, exec, s[10:11]
	s_cbranch_execnz .LBB5_276
; %bb.277:
	s_or_b64 exec, exec, s[10:11]
.LBB5_278:
	s_or_b64 exec, exec, s[8:9]
.LBB5_279:
	s_or_b64 exec, exec, s[6:7]
	s_waitcnt vmcnt(0)
	v_mov_b32_e32 v2, 0
	global_load_dwordx2 v[10:11], v2, s[26:27] offset:40
	global_load_dwordx4 v[4:7], v2, s[26:27]
	v_readfirstlane_b32 s6, v8
	v_readfirstlane_b32 s7, v9
	s_mov_b64 s[8:9], exec
	s_waitcnt vmcnt(0)
	v_readfirstlane_b32 s10, v10
	v_readfirstlane_b32 s11, v11
	s_and_b64 s[10:11], s[6:7], s[10:11]
	s_mul_i32 s12, s11, 24
	s_mul_hi_u32 s13, s10, 24
	s_mul_i32 s14, s10, 24
	s_add_i32 s12, s13, s12
	v_mov_b32_e32 v3, s12
	v_add_co_u32_e32 v8, vcc, s14, v4
	v_addc_co_u32_e32 v9, vcc, v5, v3, vcc
	s_and_saveexec_b64 s[12:13], s[4:5]
	s_cbranch_execz .LBB5_281
; %bb.280:
	v_mov_b32_e32 v11, s9
	v_mov_b32_e32 v10, s8
	;; [unrolled: 1-line block ×4, first 2 shown]
	global_store_dwordx4 v[8:9], v[10:13], off offset:8
.LBB5_281:
	s_or_b64 exec, exec, s[12:13]
	s_lshl_b64 s[8:9], s[10:11], 12
	v_mov_b32_e32 v3, s9
	v_add_co_u32_e32 v10, vcc, s8, v6
	v_addc_co_u32_e32 v11, vcc, v7, v3, vcc
	s_movk_i32 s8, 0xff1f
	v_and_or_b32 v0, v0, s8, 32
	s_mov_b32 s8, 0
	v_mov_b32_e32 v3, v2
	v_readfirstlane_b32 s12, v10
	v_readfirstlane_b32 s13, v11
	v_add_co_u32_e32 v6, vcc, v10, v38
	s_mov_b32 s9, s8
	s_mov_b32 s10, s8
	s_mov_b32 s11, s8
	s_nop 0
	global_store_dwordx4 v38, v[0:3], s[12:13]
	v_addc_co_u32_e32 v7, vcc, 0, v11, vcc
	v_mov_b32_e32 v0, s8
	v_mov_b32_e32 v1, s9
	;; [unrolled: 1-line block ×4, first 2 shown]
	global_store_dwordx4 v38, v[0:3], s[12:13] offset:16
	global_store_dwordx4 v38, v[0:3], s[12:13] offset:32
	;; [unrolled: 1-line block ×3, first 2 shown]
	s_and_saveexec_b64 s[8:9], s[4:5]
	s_cbranch_execz .LBB5_289
; %bb.282:
	v_mov_b32_e32 v10, 0
	global_load_dwordx2 v[13:14], v10, s[26:27] offset:32 glc
	global_load_dwordx2 v[0:1], v10, s[26:27] offset:40
	v_mov_b32_e32 v11, s6
	v_mov_b32_e32 v12, s7
	s_waitcnt vmcnt(0)
	v_readfirstlane_b32 s10, v0
	v_readfirstlane_b32 s11, v1
	s_and_b64 s[10:11], s[10:11], s[6:7]
	s_mul_i32 s11, s11, 24
	s_mul_hi_u32 s12, s10, 24
	s_mul_i32 s10, s10, 24
	s_add_i32 s11, s12, s11
	v_mov_b32_e32 v0, s11
	v_add_co_u32_e32 v4, vcc, s10, v4
	v_addc_co_u32_e32 v5, vcc, v5, v0, vcc
	global_store_dwordx2 v[4:5], v[13:14], off
	s_waitcnt vmcnt(0)
	global_atomic_cmpswap_x2 v[2:3], v10, v[11:14], s[26:27] offset:32 glc
	s_waitcnt vmcnt(0)
	v_cmp_ne_u64_e32 vcc, v[2:3], v[13:14]
	s_and_saveexec_b64 s[10:11], vcc
	s_cbranch_execz .LBB5_285
; %bb.283:
	s_mov_b64 s[12:13], 0
.LBB5_284:                              ; =>This Inner Loop Header: Depth=1
	s_sleep 1
	global_store_dwordx2 v[4:5], v[2:3], off
	v_mov_b32_e32 v0, s6
	v_mov_b32_e32 v1, s7
	s_waitcnt vmcnt(0)
	global_atomic_cmpswap_x2 v[0:1], v10, v[0:3], s[26:27] offset:32 glc
	s_waitcnt vmcnt(0)
	v_cmp_eq_u64_e32 vcc, v[0:1], v[2:3]
	v_mov_b32_e32 v3, v1
	s_or_b64 s[12:13], vcc, s[12:13]
	v_mov_b32_e32 v2, v0
	s_andn2_b64 exec, exec, s[12:13]
	s_cbranch_execnz .LBB5_284
.LBB5_285:
	s_or_b64 exec, exec, s[10:11]
	v_mov_b32_e32 v3, 0
	global_load_dwordx2 v[0:1], v3, s[26:27] offset:16
	s_mov_b64 s[10:11], exec
	v_mbcnt_lo_u32_b32 v2, s10, 0
	v_mbcnt_hi_u32_b32 v2, s11, v2
	v_cmp_eq_u32_e32 vcc, 0, v2
	s_and_saveexec_b64 s[12:13], vcc
	s_cbranch_execz .LBB5_287
; %bb.286:
	s_bcnt1_i32_b64 s10, s[10:11]
	v_mov_b32_e32 v2, s10
	s_waitcnt vmcnt(0)
	global_atomic_add_x2 v[0:1], v[2:3], off offset:8
.LBB5_287:
	s_or_b64 exec, exec, s[12:13]
	s_waitcnt vmcnt(0)
	global_load_dwordx2 v[2:3], v[0:1], off offset:16
	s_waitcnt vmcnt(0)
	v_cmp_eq_u64_e32 vcc, 0, v[2:3]
	s_cbranch_vccnz .LBB5_289
; %bb.288:
	global_load_dword v0, v[0:1], off offset:24
	v_mov_b32_e32 v1, 0
	s_waitcnt vmcnt(0)
	global_store_dwordx2 v[2:3], v[0:1], off
	v_and_b32_e32 v0, 0xffffff, v0
	v_readfirstlane_b32 m0, v0
	s_sendmsg sendmsg(MSG_INTERRUPT)
.LBB5_289:
	s_or_b64 exec, exec, s[8:9]
	s_branch .LBB5_293
.LBB5_290:                              ;   in Loop: Header=BB5_293 Depth=1
	s_or_b64 exec, exec, s[8:9]
	v_readfirstlane_b32 s8, v0
	s_cmp_eq_u32 s8, 0
	s_cbranch_scc1 .LBB5_292
; %bb.291:                              ;   in Loop: Header=BB5_293 Depth=1
	s_sleep 1
	s_cbranch_execnz .LBB5_293
	s_branch .LBB5_295
.LBB5_292:
	s_branch .LBB5_295
.LBB5_293:                              ; =>This Inner Loop Header: Depth=1
	v_mov_b32_e32 v0, 1
	s_and_saveexec_b64 s[8:9], s[4:5]
	s_cbranch_execz .LBB5_290
; %bb.294:                              ;   in Loop: Header=BB5_293 Depth=1
	global_load_dword v0, v[8:9], off offset:20 glc
	s_waitcnt vmcnt(0)
	buffer_wbinvl1_vol
	v_and_b32_e32 v0, 1, v0
	s_branch .LBB5_290
.LBB5_295:
	global_load_dwordx2 v[2:3], v[6:7], off
	s_and_saveexec_b64 s[8:9], s[4:5]
	s_cbranch_execz .LBB5_298
; %bb.296:
	v_mov_b32_e32 v8, 0
	global_load_dwordx2 v[0:1], v8, s[26:27] offset:40
	global_load_dwordx2 v[9:10], v8, s[26:27] offset:24 glc
	global_load_dwordx2 v[11:12], v8, s[26:27]
	v_mov_b32_e32 v5, s7
	s_mov_b64 s[4:5], 0
	s_waitcnt vmcnt(0)
	v_add_co_u32_e32 v6, vcc, 1, v0
	v_addc_co_u32_e32 v7, vcc, 0, v1, vcc
	v_add_co_u32_e32 v4, vcc, s6, v6
	v_addc_co_u32_e32 v5, vcc, v7, v5, vcc
	v_cmp_eq_u64_e32 vcc, 0, v[4:5]
	v_cndmask_b32_e32 v5, v5, v7, vcc
	v_cndmask_b32_e32 v4, v4, v6, vcc
	v_and_b32_e32 v1, v5, v1
	v_and_b32_e32 v0, v4, v0
	v_mul_lo_u32 v1, v1, 24
	v_mul_hi_u32 v7, v0, 24
	v_mul_lo_u32 v0, v0, 24
	v_mov_b32_e32 v6, v9
	v_add_u32_e32 v1, v7, v1
	v_add_co_u32_e32 v0, vcc, v11, v0
	v_addc_co_u32_e32 v1, vcc, v12, v1, vcc
	global_store_dwordx2 v[0:1], v[9:10], off
	v_mov_b32_e32 v7, v10
	s_waitcnt vmcnt(0)
	global_atomic_cmpswap_x2 v[6:7], v8, v[4:7], s[26:27] offset:24 glc
	s_waitcnt vmcnt(0)
	v_cmp_ne_u64_e32 vcc, v[6:7], v[9:10]
	s_and_b64 exec, exec, vcc
	s_cbranch_execz .LBB5_298
.LBB5_297:                              ; =>This Inner Loop Header: Depth=1
	s_sleep 1
	global_store_dwordx2 v[0:1], v[6:7], off
	s_waitcnt vmcnt(0)
	global_atomic_cmpswap_x2 v[9:10], v8, v[4:7], s[26:27] offset:24 glc
	s_waitcnt vmcnt(0)
	v_cmp_eq_u64_e32 vcc, v[9:10], v[6:7]
	v_mov_b32_e32 v6, v9
	s_or_b64 s[4:5], vcc, s[4:5]
	v_mov_b32_e32 v7, v10
	s_andn2_b64 exec, exec, s[4:5]
	s_cbranch_execnz .LBB5_297
.LBB5_298:
	s_or_b64 exec, exec, s[8:9]
.LBB5_299:
	v_readfirstlane_b32 s4, v39
	s_waitcnt vmcnt(0)
	v_mov_b32_e32 v0, 0
	v_mov_b32_e32 v1, 0
	v_cmp_eq_u32_e64 s[4:5], s4, v39
	s_and_saveexec_b64 s[6:7], s[4:5]
	s_cbranch_execz .LBB5_305
; %bb.300:
	v_mov_b32_e32 v4, 0
	global_load_dwordx2 v[7:8], v4, s[26:27] offset:24 glc
	s_waitcnt vmcnt(0)
	buffer_wbinvl1_vol
	global_load_dwordx2 v[0:1], v4, s[26:27] offset:40
	global_load_dwordx2 v[5:6], v4, s[26:27]
	s_waitcnt vmcnt(0)
	v_and_b32_e32 v0, v0, v7
	v_and_b32_e32 v1, v1, v8
	v_mul_lo_u32 v1, v1, 24
	v_mul_hi_u32 v9, v0, 24
	v_mul_lo_u32 v0, v0, 24
	v_add_u32_e32 v1, v9, v1
	v_add_co_u32_e32 v0, vcc, v5, v0
	v_addc_co_u32_e32 v1, vcc, v6, v1, vcc
	global_load_dwordx2 v[5:6], v[0:1], off glc
	s_waitcnt vmcnt(0)
	global_atomic_cmpswap_x2 v[0:1], v4, v[5:8], s[26:27] offset:24 glc
	s_waitcnt vmcnt(0)
	buffer_wbinvl1_vol
	v_cmp_ne_u64_e32 vcc, v[0:1], v[7:8]
	s_and_saveexec_b64 s[8:9], vcc
	s_cbranch_execz .LBB5_304
; %bb.301:
	s_mov_b64 s[10:11], 0
.LBB5_302:                              ; =>This Inner Loop Header: Depth=1
	s_sleep 1
	global_load_dwordx2 v[5:6], v4, s[26:27] offset:40
	global_load_dwordx2 v[9:10], v4, s[26:27]
	v_mov_b32_e32 v8, v1
	v_mov_b32_e32 v7, v0
	s_waitcnt vmcnt(0)
	v_and_b32_e32 v0, v5, v7
	v_mad_u64_u32 v[0:1], s[12:13], v0, 24, v[9:10]
	v_and_b32_e32 v5, v6, v8
	v_mad_u64_u32 v[5:6], s[12:13], v5, 24, v[1:2]
	v_mov_b32_e32 v1, v5
	global_load_dwordx2 v[5:6], v[0:1], off glc
	s_waitcnt vmcnt(0)
	global_atomic_cmpswap_x2 v[0:1], v4, v[5:8], s[26:27] offset:24 glc
	s_waitcnt vmcnt(0)
	buffer_wbinvl1_vol
	v_cmp_eq_u64_e32 vcc, v[0:1], v[7:8]
	s_or_b64 s[10:11], vcc, s[10:11]
	s_andn2_b64 exec, exec, s[10:11]
	s_cbranch_execnz .LBB5_302
; %bb.303:
	s_or_b64 exec, exec, s[10:11]
.LBB5_304:
	s_or_b64 exec, exec, s[8:9]
.LBB5_305:
	s_or_b64 exec, exec, s[6:7]
	v_mov_b32_e32 v10, 0
	global_load_dwordx2 v[4:5], v10, s[26:27] offset:40
	global_load_dwordx4 v[6:9], v10, s[26:27]
	v_readfirstlane_b32 s6, v0
	v_readfirstlane_b32 s7, v1
	s_mov_b64 s[8:9], exec
	s_waitcnt vmcnt(0)
	v_readfirstlane_b32 s10, v4
	v_readfirstlane_b32 s11, v5
	s_and_b64 s[10:11], s[6:7], s[10:11]
	s_mul_i32 s12, s11, 24
	s_mul_hi_u32 s13, s10, 24
	s_mul_i32 s14, s10, 24
	s_add_i32 s12, s13, s12
	v_mov_b32_e32 v0, s12
	v_add_co_u32_e32 v10, vcc, s14, v6
	v_addc_co_u32_e32 v11, vcc, v7, v0, vcc
	s_and_saveexec_b64 s[12:13], s[4:5]
	s_cbranch_execz .LBB5_307
; %bb.306:
	v_mov_b32_e32 v13, s9
	v_mov_b32_e32 v12, s8
	v_mov_b32_e32 v14, 2
	v_mov_b32_e32 v15, 1
	global_store_dwordx4 v[10:11], v[12:15], off offset:8
.LBB5_307:
	s_or_b64 exec, exec, s[12:13]
	s_lshl_b64 s[8:9], s[10:11], 12
	v_mov_b32_e32 v0, s9
	v_add_co_u32_e32 v1, vcc, s8, v8
	v_addc_co_u32_e32 v0, vcc, v9, v0, vcc
	s_movk_i32 s8, 0xff1d
	v_and_or_b32 v2, v2, s8, 34
	s_waitcnt lgkmcnt(0)
	v_ashrrev_i32_e32 v5, 31, v31
	v_mov_b32_e32 v4, v31
	v_readfirstlane_b32 s12, v1
	v_readfirstlane_b32 s13, v0
	s_mov_b32 s8, 0
	s_mov_b32 s9, s8
	;; [unrolled: 1-line block ×4, first 2 shown]
	s_nop 0
	global_store_dwordx4 v38, v[2:5], s[12:13]
	v_mov_b32_e32 v0, s8
	v_mov_b32_e32 v1, s9
	v_mov_b32_e32 v2, s10
	v_mov_b32_e32 v3, s11
	global_store_dwordx4 v38, v[0:3], s[12:13] offset:16
	global_store_dwordx4 v38, v[0:3], s[12:13] offset:32
	;; [unrolled: 1-line block ×3, first 2 shown]
	s_and_saveexec_b64 s[8:9], s[4:5]
	s_cbranch_execz .LBB5_315
; %bb.308:
	v_mov_b32_e32 v8, 0
	global_load_dwordx2 v[14:15], v8, s[26:27] offset:32 glc
	global_load_dwordx2 v[0:1], v8, s[26:27] offset:40
	v_mov_b32_e32 v12, s6
	v_mov_b32_e32 v13, s7
	s_waitcnt vmcnt(0)
	v_readfirstlane_b32 s10, v0
	v_readfirstlane_b32 s11, v1
	s_and_b64 s[10:11], s[10:11], s[6:7]
	s_mul_i32 s11, s11, 24
	s_mul_hi_u32 s12, s10, 24
	s_mul_i32 s10, s10, 24
	s_add_i32 s11, s12, s11
	v_mov_b32_e32 v0, s11
	v_add_co_u32_e32 v4, vcc, s10, v6
	v_addc_co_u32_e32 v5, vcc, v7, v0, vcc
	global_store_dwordx2 v[4:5], v[14:15], off
	s_waitcnt vmcnt(0)
	global_atomic_cmpswap_x2 v[2:3], v8, v[12:15], s[26:27] offset:32 glc
	s_waitcnt vmcnt(0)
	v_cmp_ne_u64_e32 vcc, v[2:3], v[14:15]
	s_and_saveexec_b64 s[10:11], vcc
	s_cbranch_execz .LBB5_311
; %bb.309:
	s_mov_b64 s[12:13], 0
.LBB5_310:                              ; =>This Inner Loop Header: Depth=1
	s_sleep 1
	global_store_dwordx2 v[4:5], v[2:3], off
	v_mov_b32_e32 v0, s6
	v_mov_b32_e32 v1, s7
	s_waitcnt vmcnt(0)
	global_atomic_cmpswap_x2 v[0:1], v8, v[0:3], s[26:27] offset:32 glc
	s_waitcnt vmcnt(0)
	v_cmp_eq_u64_e32 vcc, v[0:1], v[2:3]
	v_mov_b32_e32 v3, v1
	s_or_b64 s[12:13], vcc, s[12:13]
	v_mov_b32_e32 v2, v0
	s_andn2_b64 exec, exec, s[12:13]
	s_cbranch_execnz .LBB5_310
.LBB5_311:
	s_or_b64 exec, exec, s[10:11]
	v_mov_b32_e32 v3, 0
	global_load_dwordx2 v[0:1], v3, s[26:27] offset:16
	s_mov_b64 s[10:11], exec
	v_mbcnt_lo_u32_b32 v2, s10, 0
	v_mbcnt_hi_u32_b32 v2, s11, v2
	v_cmp_eq_u32_e32 vcc, 0, v2
	s_and_saveexec_b64 s[12:13], vcc
	s_cbranch_execz .LBB5_313
; %bb.312:
	s_bcnt1_i32_b64 s10, s[10:11]
	v_mov_b32_e32 v2, s10
	s_waitcnt vmcnt(0)
	global_atomic_add_x2 v[0:1], v[2:3], off offset:8
.LBB5_313:
	s_or_b64 exec, exec, s[12:13]
	s_waitcnt vmcnt(0)
	global_load_dwordx2 v[2:3], v[0:1], off offset:16
	s_waitcnt vmcnt(0)
	v_cmp_eq_u64_e32 vcc, 0, v[2:3]
	s_cbranch_vccnz .LBB5_315
; %bb.314:
	global_load_dword v0, v[0:1], off offset:24
	v_mov_b32_e32 v1, 0
	s_waitcnt vmcnt(0)
	global_store_dwordx2 v[2:3], v[0:1], off
	v_and_b32_e32 v0, 0xffffff, v0
	v_readfirstlane_b32 m0, v0
	s_sendmsg sendmsg(MSG_INTERRUPT)
.LBB5_315:
	s_or_b64 exec, exec, s[8:9]
	s_branch .LBB5_319
.LBB5_316:                              ;   in Loop: Header=BB5_319 Depth=1
	s_or_b64 exec, exec, s[8:9]
	v_readfirstlane_b32 s8, v0
	s_cmp_eq_u32 s8, 0
	s_cbranch_scc1 .LBB5_318
; %bb.317:                              ;   in Loop: Header=BB5_319 Depth=1
	s_sleep 1
	s_cbranch_execnz .LBB5_319
	s_branch .LBB5_321
.LBB5_318:
	s_branch .LBB5_321
.LBB5_319:                              ; =>This Inner Loop Header: Depth=1
	v_mov_b32_e32 v0, 1
	s_and_saveexec_b64 s[8:9], s[4:5]
	s_cbranch_execz .LBB5_316
; %bb.320:                              ;   in Loop: Header=BB5_319 Depth=1
	global_load_dword v0, v[10:11], off offset:20 glc
	s_waitcnt vmcnt(0)
	buffer_wbinvl1_vol
	v_and_b32_e32 v0, 1, v0
	s_branch .LBB5_316
.LBB5_321:
	s_and_saveexec_b64 s[8:9], s[4:5]
	s_cbranch_execz .LBB5_324
; %bb.322:
	v_mov_b32_e32 v6, 0
	global_load_dwordx2 v[2:3], v6, s[26:27] offset:40
	global_load_dwordx2 v[7:8], v6, s[26:27] offset:24 glc
	global_load_dwordx2 v[4:5], v6, s[26:27]
	v_mov_b32_e32 v1, s7
	s_mov_b64 s[4:5], 0
	s_waitcnt vmcnt(2)
	v_add_co_u32_e32 v9, vcc, 1, v2
	v_addc_co_u32_e32 v10, vcc, 0, v3, vcc
	v_add_co_u32_e32 v0, vcc, s6, v9
	v_addc_co_u32_e32 v1, vcc, v10, v1, vcc
	v_cmp_eq_u64_e32 vcc, 0, v[0:1]
	v_cndmask_b32_e32 v1, v1, v10, vcc
	v_cndmask_b32_e32 v0, v0, v9, vcc
	v_and_b32_e32 v3, v1, v3
	v_and_b32_e32 v2, v0, v2
	v_mul_lo_u32 v3, v3, 24
	v_mul_hi_u32 v9, v2, 24
	v_mul_lo_u32 v10, v2, 24
	s_waitcnt vmcnt(1)
	v_mov_b32_e32 v2, v7
	v_add_u32_e32 v3, v9, v3
	s_waitcnt vmcnt(0)
	v_add_co_u32_e32 v4, vcc, v4, v10
	v_addc_co_u32_e32 v5, vcc, v5, v3, vcc
	global_store_dwordx2 v[4:5], v[7:8], off
	v_mov_b32_e32 v3, v8
	s_waitcnt vmcnt(0)
	global_atomic_cmpswap_x2 v[2:3], v6, v[0:3], s[26:27] offset:24 glc
	s_waitcnt vmcnt(0)
	v_cmp_ne_u64_e32 vcc, v[2:3], v[7:8]
	s_and_b64 exec, exec, vcc
	s_cbranch_execz .LBB5_324
.LBB5_323:                              ; =>This Inner Loop Header: Depth=1
	s_sleep 1
	global_store_dwordx2 v[4:5], v[2:3], off
	s_waitcnt vmcnt(0)
	global_atomic_cmpswap_x2 v[7:8], v6, v[0:3], s[26:27] offset:24 glc
	s_waitcnt vmcnt(0)
	v_cmp_eq_u64_e32 vcc, v[7:8], v[2:3]
	v_mov_b32_e32 v2, v7
	s_or_b64 s[4:5], vcc, s[4:5]
	v_mov_b32_e32 v3, v8
	s_andn2_b64 exec, exec, s[4:5]
	s_cbranch_execnz .LBB5_323
.LBB5_324:
	s_or_b64 exec, exec, s[8:9]
	v_readlane_b32 s30, v40, 4
	v_readlane_b32 s31, v40, 5
	;; [unrolled: 1-line block ×6, first 2 shown]
	s_or_saveexec_b64 s[4:5], -1
	buffer_load_dword v40, off, s[0:3], s33 ; 4-byte Folded Reload
	s_mov_b64 exec, s[4:5]
	s_addk_i32 s32, 0xfc00
	s_mov_b32 s33, s23
	s_waitcnt vmcnt(0) lgkmcnt(0)
	s_setpc_b64 s[30:31]
.Lfunc_end5:
	.size	_ZN8migraphx4testlsIKNS_13basic_printerIZNS_4coutEvEUlT_E_EEEERS3_S7_RKNS0_10expressionINS0_14lhs_expressionIRiNS0_3nopEEEiNS0_5equalEEE, .Lfunc_end5-_ZN8migraphx4testlsIKNS_13basic_printerIZNS_4coutEvEUlT_E_EEEERS3_S7_RKNS0_10expressionINS0_14lhs_expressionIRiNS0_3nopEEEiNS0_5equalEEE
                                        ; -- End function
	.section	.AMDGPU.csdata,"",@progbits
; Function info:
; codeLenInByte = 11668
; NumSgprs: 42
; NumVgprs: 41
; ScratchSize: 16
; MemoryBound: 0
	.text
	.p2align	2                               ; -- Begin function _ZN8migraphx4test12test_manager6failedINS0_10expressionINS0_14lhs_expressionIRiNS0_3nopEEEiNS0_5equalEEEPFvvEEEvRKT_PKcSG_SG_iT0_
	.type	_ZN8migraphx4test12test_manager6failedINS0_10expressionINS0_14lhs_expressionIRiNS0_3nopEEEiNS0_5equalEEEPFvvEEEvRKT_PKcSG_SG_iT0_,@function
_ZN8migraphx4test12test_manager6failedINS0_10expressionINS0_14lhs_expressionIRiNS0_3nopEEEiNS0_5equalEEEPFvvEEEvRKT_PKcSG_SG_iT0_: ; @_ZN8migraphx4test12test_manager6failedINS0_10expressionINS0_14lhs_expressionIRiNS0_3nopEEEiNS0_5equalEEEPFvvEEEvRKT_PKcSG_SG_iT0_
; %bb.0:
	s_waitcnt vmcnt(0) expcnt(0) lgkmcnt(0)
	s_mov_b32 s4, s33
	s_mov_b32 s33, s32
	s_or_saveexec_b64 s[6:7], -1
	buffer_store_dword v41, off, s[0:3], s33 ; 4-byte Folded Spill
	s_mov_b64 exec, s[6:7]
	v_writelane_b32 v41, s4, 2
	v_writelane_b32 v41, s30, 0
	s_addk_i32 s32, 0x400
	v_writelane_b32 v41, s31, 1
	v_mov_b32_e32 v37, v3
	v_mov_b32_e32 v36, v2
	;; [unrolled: 1-line block ×4, first 2 shown]
	flat_load_dwordx3 v[0:2], v[36:37]
	s_waitcnt vmcnt(0) lgkmcnt(0)
	flat_load_dword v0, v[0:1]
	s_waitcnt vmcnt(0) lgkmcnt(0)
	v_cmp_ne_u32_e32 vcc, v0, v2
	s_and_saveexec_b64 s[40:41], vcc
	s_cbranch_execz .LBB6_1729
; %bb.1:
	v_and_b32_e32 v0, 0x3ff, v31
	v_cmp_eq_u32_e32 vcc, 0, v0
	s_and_saveexec_b64 s[42:43], vcc
	s_cbranch_execz .LBB6_1728
; %bb.2:
	s_load_dwordx2 s[44:45], s[8:9], 0x50
	v_mbcnt_lo_u32_b32 v0, -1, 0
	v_mbcnt_hi_u32_b32 v51, -1, v0
	v_readfirstlane_b32 s4, v51
	v_mov_b32_e32 v11, 0
	v_mov_b32_e32 v12, 0
	v_cmp_eq_u32_e64 s[4:5], s4, v51
	s_and_saveexec_b64 s[6:7], s[4:5]
	s_cbranch_execz .LBB6_8
; %bb.3:
	v_mov_b32_e32 v0, 0
	s_waitcnt lgkmcnt(0)
	global_load_dwordx2 v[13:14], v0, s[44:45] offset:24 glc
	s_waitcnt vmcnt(0)
	buffer_wbinvl1_vol
	global_load_dwordx2 v[1:2], v0, s[44:45] offset:40
	global_load_dwordx2 v[9:10], v0, s[44:45]
	s_waitcnt vmcnt(1)
	v_and_b32_e32 v1, v1, v13
	v_and_b32_e32 v2, v2, v14
	v_mul_lo_u32 v2, v2, 24
	v_mul_hi_u32 v3, v1, 24
	v_mul_lo_u32 v1, v1, 24
	v_add_u32_e32 v2, v3, v2
	s_waitcnt vmcnt(0)
	v_add_co_u32_e32 v1, vcc, v9, v1
	v_addc_co_u32_e32 v2, vcc, v10, v2, vcc
	global_load_dwordx2 v[11:12], v[1:2], off glc
	s_waitcnt vmcnt(0)
	global_atomic_cmpswap_x2 v[11:12], v0, v[11:14], s[44:45] offset:24 glc
	s_waitcnt vmcnt(0)
	buffer_wbinvl1_vol
	v_cmp_ne_u64_e32 vcc, v[11:12], v[13:14]
	s_and_saveexec_b64 s[10:11], vcc
	s_cbranch_execz .LBB6_7
; %bb.4:
	s_mov_b64 s[16:17], 0
.LBB6_5:                                ; =>This Inner Loop Header: Depth=1
	s_sleep 1
	global_load_dwordx2 v[1:2], v0, s[44:45] offset:40
	global_load_dwordx2 v[9:10], v0, s[44:45]
	v_mov_b32_e32 v14, v12
	v_mov_b32_e32 v13, v11
	s_waitcnt vmcnt(1)
	v_and_b32_e32 v1, v1, v13
	s_waitcnt vmcnt(0)
	v_mad_u64_u32 v[9:10], s[18:19], v1, 24, v[9:10]
	v_and_b32_e32 v2, v2, v14
	v_mov_b32_e32 v1, v10
	v_mad_u64_u32 v[1:2], s[18:19], v2, 24, v[1:2]
	v_mov_b32_e32 v10, v1
	global_load_dwordx2 v[11:12], v[9:10], off glc
	s_waitcnt vmcnt(0)
	global_atomic_cmpswap_x2 v[11:12], v0, v[11:14], s[44:45] offset:24 glc
	s_waitcnt vmcnt(0)
	buffer_wbinvl1_vol
	v_cmp_eq_u64_e32 vcc, v[11:12], v[13:14]
	s_or_b64 s[16:17], vcc, s[16:17]
	s_andn2_b64 exec, exec, s[16:17]
	s_cbranch_execnz .LBB6_5
; %bb.6:
	s_or_b64 exec, exec, s[16:17]
.LBB6_7:
	s_or_b64 exec, exec, s[10:11]
.LBB6_8:
	s_or_b64 exec, exec, s[6:7]
	v_mov_b32_e32 v10, 0
	s_waitcnt lgkmcnt(0)
	global_load_dwordx2 v[13:14], v10, s[44:45] offset:40
	global_load_dwordx4 v[0:3], v10, s[44:45]
	v_readfirstlane_b32 s6, v11
	v_readfirstlane_b32 s7, v12
	s_mov_b64 s[10:11], exec
	s_waitcnt vmcnt(1)
	v_readfirstlane_b32 s16, v13
	v_readfirstlane_b32 s17, v14
	s_and_b64 s[16:17], s[6:7], s[16:17]
	s_mul_i32 s15, s17, 24
	s_mul_hi_u32 s18, s16, 24
	s_mul_i32 s19, s16, 24
	s_add_i32 s15, s18, s15
	v_mov_b32_e32 v9, s15
	s_waitcnt vmcnt(0)
	v_add_co_u32_e32 v13, vcc, s19, v0
	v_addc_co_u32_e32 v14, vcc, v1, v9, vcc
	s_and_saveexec_b64 s[18:19], s[4:5]
	s_cbranch_execz .LBB6_10
; %bb.9:
	v_mov_b32_e32 v16, s11
	v_mov_b32_e32 v15, s10
	;; [unrolled: 1-line block ×4, first 2 shown]
	global_store_dwordx4 v[13:14], v[15:18], off offset:8
.LBB6_10:
	s_or_b64 exec, exec, s[18:19]
	s_lshl_b64 s[10:11], s[16:17], 12
	v_mov_b32_e32 v9, s11
	v_add_co_u32_e32 v2, vcc, s10, v2
	v_addc_co_u32_e32 v3, vcc, v3, v9, vcc
	s_mov_b32 s16, 0
	v_lshlrev_b32_e32 v50, 6, v51
	v_mov_b32_e32 v9, 33
	v_mov_b32_e32 v11, v10
	v_mov_b32_e32 v12, v10
	v_readfirstlane_b32 s10, v2
	v_readfirstlane_b32 s11, v3
	v_add_co_u32_e32 v15, vcc, v2, v50
	s_mov_b32 s17, s16
	s_mov_b32 s18, s16
	;; [unrolled: 1-line block ×3, first 2 shown]
	s_nop 0
	global_store_dwordx4 v50, v[9:12], s[10:11]
	v_addc_co_u32_e32 v16, vcc, 0, v3, vcc
	v_mov_b32_e32 v9, s16
	v_mov_b32_e32 v10, s17
	v_mov_b32_e32 v11, s18
	v_mov_b32_e32 v12, s19
	global_store_dwordx4 v50, v[9:12], s[10:11] offset:16
	global_store_dwordx4 v50, v[9:12], s[10:11] offset:32
	;; [unrolled: 1-line block ×3, first 2 shown]
	s_and_saveexec_b64 s[10:11], s[4:5]
	s_cbranch_execz .LBB6_18
; %bb.11:
	v_mov_b32_e32 v11, 0
	global_load_dwordx2 v[19:20], v11, s[44:45] offset:32 glc
	global_load_dwordx2 v[2:3], v11, s[44:45] offset:40
	v_mov_b32_e32 v17, s6
	v_mov_b32_e32 v18, s7
	s_waitcnt vmcnt(0)
	v_and_b32_e32 v2, s6, v2
	v_and_b32_e32 v3, s7, v3
	v_mul_lo_u32 v3, v3, 24
	v_mul_hi_u32 v9, v2, 24
	v_mul_lo_u32 v2, v2, 24
	v_add_u32_e32 v3, v9, v3
	v_add_co_u32_e32 v9, vcc, v0, v2
	v_addc_co_u32_e32 v10, vcc, v1, v3, vcc
	global_store_dwordx2 v[9:10], v[19:20], off
	s_waitcnt vmcnt(0)
	global_atomic_cmpswap_x2 v[2:3], v11, v[17:20], s[44:45] offset:32 glc
	s_waitcnt vmcnt(0)
	v_cmp_ne_u64_e32 vcc, v[2:3], v[19:20]
	s_and_saveexec_b64 s[16:17], vcc
	s_cbranch_execz .LBB6_14
; %bb.12:
	s_mov_b64 s[18:19], 0
.LBB6_13:                               ; =>This Inner Loop Header: Depth=1
	s_sleep 1
	global_store_dwordx2 v[9:10], v[2:3], off
	v_mov_b32_e32 v0, s6
	v_mov_b32_e32 v1, s7
	s_waitcnt vmcnt(0)
	global_atomic_cmpswap_x2 v[0:1], v11, v[0:3], s[44:45] offset:32 glc
	s_waitcnt vmcnt(0)
	v_cmp_eq_u64_e32 vcc, v[0:1], v[2:3]
	v_mov_b32_e32 v3, v1
	s_or_b64 s[18:19], vcc, s[18:19]
	v_mov_b32_e32 v2, v0
	s_andn2_b64 exec, exec, s[18:19]
	s_cbranch_execnz .LBB6_13
.LBB6_14:
	s_or_b64 exec, exec, s[16:17]
	v_mov_b32_e32 v3, 0
	global_load_dwordx2 v[0:1], v3, s[44:45] offset:16
	s_mov_b64 s[16:17], exec
	v_mbcnt_lo_u32_b32 v2, s16, 0
	v_mbcnt_hi_u32_b32 v2, s17, v2
	v_cmp_eq_u32_e32 vcc, 0, v2
	s_and_saveexec_b64 s[18:19], vcc
	s_cbranch_execz .LBB6_16
; %bb.15:
	s_bcnt1_i32_b64 s15, s[16:17]
	v_mov_b32_e32 v2, s15
	s_waitcnt vmcnt(0)
	global_atomic_add_x2 v[0:1], v[2:3], off offset:8
.LBB6_16:
	s_or_b64 exec, exec, s[18:19]
	s_waitcnt vmcnt(0)
	global_load_dwordx2 v[2:3], v[0:1], off offset:16
	s_waitcnt vmcnt(0)
	v_cmp_eq_u64_e32 vcc, 0, v[2:3]
	s_cbranch_vccnz .LBB6_18
; %bb.17:
	global_load_dword v0, v[0:1], off offset:24
	v_mov_b32_e32 v1, 0
	s_waitcnt vmcnt(0)
	global_store_dwordx2 v[2:3], v[0:1], off
	v_and_b32_e32 v0, 0xffffff, v0
	v_readfirstlane_b32 m0, v0
	s_sendmsg sendmsg(MSG_INTERRUPT)
.LBB6_18:
	s_or_b64 exec, exec, s[10:11]
	s_branch .LBB6_22
.LBB6_19:                               ;   in Loop: Header=BB6_22 Depth=1
	s_or_b64 exec, exec, s[10:11]
	v_readfirstlane_b32 s10, v0
	s_cmp_eq_u32 s10, 0
	s_cbranch_scc1 .LBB6_21
; %bb.20:                               ;   in Loop: Header=BB6_22 Depth=1
	s_sleep 1
	s_cbranch_execnz .LBB6_22
	s_branch .LBB6_24
.LBB6_21:
	s_branch .LBB6_24
.LBB6_22:                               ; =>This Inner Loop Header: Depth=1
	v_mov_b32_e32 v0, 1
	s_and_saveexec_b64 s[10:11], s[4:5]
	s_cbranch_execz .LBB6_19
; %bb.23:                               ;   in Loop: Header=BB6_22 Depth=1
	global_load_dword v0, v[13:14], off offset:20 glc
	s_waitcnt vmcnt(0)
	buffer_wbinvl1_vol
	v_and_b32_e32 v0, 1, v0
	s_branch .LBB6_19
.LBB6_24:
	global_load_dwordx2 v[9:10], v[15:16], off
	s_and_saveexec_b64 s[10:11], s[4:5]
	s_cbranch_execz .LBB6_27
; %bb.25:
	v_mov_b32_e32 v13, 0
	global_load_dwordx2 v[2:3], v13, s[44:45] offset:40
	global_load_dwordx2 v[14:15], v13, s[44:45] offset:24 glc
	global_load_dwordx2 v[11:12], v13, s[44:45]
	v_mov_b32_e32 v1, s7
	s_mov_b64 s[4:5], 0
	s_waitcnt vmcnt(2)
	v_add_co_u32_e32 v16, vcc, 1, v2
	v_addc_co_u32_e32 v17, vcc, 0, v3, vcc
	v_add_co_u32_e32 v0, vcc, s6, v16
	v_addc_co_u32_e32 v1, vcc, v17, v1, vcc
	v_cmp_eq_u64_e32 vcc, 0, v[0:1]
	v_cndmask_b32_e32 v1, v1, v17, vcc
	v_cndmask_b32_e32 v0, v0, v16, vcc
	v_and_b32_e32 v3, v1, v3
	v_and_b32_e32 v2, v0, v2
	v_mul_lo_u32 v3, v3, 24
	v_mul_hi_u32 v16, v2, 24
	v_mul_lo_u32 v17, v2, 24
	s_waitcnt vmcnt(1)
	v_mov_b32_e32 v2, v14
	v_add_u32_e32 v3, v16, v3
	s_waitcnt vmcnt(0)
	v_add_co_u32_e32 v11, vcc, v11, v17
	v_addc_co_u32_e32 v12, vcc, v12, v3, vcc
	global_store_dwordx2 v[11:12], v[14:15], off
	v_mov_b32_e32 v3, v15
	s_waitcnt vmcnt(0)
	global_atomic_cmpswap_x2 v[2:3], v13, v[0:3], s[44:45] offset:24 glc
	s_waitcnt vmcnt(0)
	v_cmp_ne_u64_e32 vcc, v[2:3], v[14:15]
	s_and_b64 exec, exec, vcc
	s_cbranch_execz .LBB6_27
.LBB6_26:                               ; =>This Inner Loop Header: Depth=1
	s_sleep 1
	global_store_dwordx2 v[11:12], v[2:3], off
	s_waitcnt vmcnt(0)
	global_atomic_cmpswap_x2 v[14:15], v13, v[0:3], s[44:45] offset:24 glc
	s_waitcnt vmcnt(0)
	v_cmp_eq_u64_e32 vcc, v[14:15], v[2:3]
	v_mov_b32_e32 v2, v14
	s_or_b64 s[4:5], vcc, s[4:5]
	v_mov_b32_e32 v3, v15
	s_andn2_b64 exec, exec, s[4:5]
	s_cbranch_execnz .LBB6_26
.LBB6_27:
	s_or_b64 exec, exec, s[10:11]
	s_getpc_b64 s[10:11]
	s_add_u32 s10, s10, .str.7@rel32@lo+4
	s_addc_u32 s11, s11, .str.7@rel32@hi+12
	s_cmp_lg_u64 s[10:11], 0
	s_cselect_b64 s[6:7], -1, 0
	s_and_b64 vcc, exec, s[6:7]
	s_cbranch_vccz .LBB6_112
; %bb.28:
	s_waitcnt vmcnt(0)
	v_and_b32_e32 v34, 2, v9
	v_mov_b32_e32 v31, 0
	v_and_b32_e32 v0, -3, v9
	v_mov_b32_e32 v1, v10
	s_mov_b64 s[16:17], 3
	v_mov_b32_e32 v13, 2
	v_mov_b32_e32 v14, 1
	s_branch .LBB6_30
.LBB6_29:                               ;   in Loop: Header=BB6_30 Depth=1
	s_or_b64 exec, exec, s[22:23]
	s_sub_u32 s16, s16, s18
	s_subb_u32 s17, s17, s19
	s_add_u32 s10, s10, s18
	s_addc_u32 s11, s11, s19
	s_cmp_lg_u64 s[16:17], 0
	s_cbranch_scc0 .LBB6_111
.LBB6_30:                               ; =>This Loop Header: Depth=1
                                        ;     Child Loop BB6_33 Depth 2
                                        ;     Child Loop BB6_40 Depth 2
	;; [unrolled: 1-line block ×11, first 2 shown]
	v_cmp_lt_u64_e64 s[4:5], s[16:17], 56
	v_cmp_gt_u64_e64 s[20:21], s[16:17], 7
	s_and_b64 s[4:5], s[4:5], exec
	s_cselect_b32 s19, s17, 0
	s_cselect_b32 s18, s16, 56
	s_and_b64 vcc, exec, s[20:21]
	s_cbranch_vccnz .LBB6_35
; %bb.31:                               ;   in Loop: Header=BB6_30 Depth=1
	s_waitcnt vmcnt(0)
	v_mov_b32_e32 v2, 0
	s_cmp_eq_u64 s[16:17], 0
	v_mov_b32_e32 v3, 0
	s_mov_b64 s[4:5], 0
	s_cbranch_scc1 .LBB6_34
; %bb.32:                               ;   in Loop: Header=BB6_30 Depth=1
	v_mov_b32_e32 v2, 0
	s_lshl_b64 s[20:21], s[18:19], 3
	s_mov_b64 s[22:23], 0
	v_mov_b32_e32 v3, 0
	s_mov_b64 s[24:25], s[10:11]
.LBB6_33:                               ;   Parent Loop BB6_30 Depth=1
                                        ; =>  This Inner Loop Header: Depth=2
	global_load_ubyte v11, v31, s[24:25]
	s_waitcnt vmcnt(0)
	v_and_b32_e32 v30, 0xffff, v11
	v_lshlrev_b64 v[11:12], s22, v[30:31]
	s_add_u32 s22, s22, 8
	s_addc_u32 s23, s23, 0
	s_add_u32 s24, s24, 1
	s_addc_u32 s25, s25, 0
	v_or_b32_e32 v2, v11, v2
	s_cmp_lg_u32 s20, s22
	v_or_b32_e32 v3, v12, v3
	s_cbranch_scc1 .LBB6_33
.LBB6_34:                               ;   in Loop: Header=BB6_30 Depth=1
	s_mov_b32 s15, 0
	s_andn2_b64 vcc, exec, s[4:5]
	s_mov_b64 s[4:5], s[10:11]
	s_cbranch_vccz .LBB6_36
	s_branch .LBB6_37
.LBB6_35:                               ;   in Loop: Header=BB6_30 Depth=1
                                        ; implicit-def: $vgpr2_vgpr3
                                        ; implicit-def: $sgpr15
	s_mov_b64 s[4:5], s[10:11]
.LBB6_36:                               ;   in Loop: Header=BB6_30 Depth=1
	global_load_dwordx2 v[2:3], v31, s[10:11]
	s_add_i32 s15, s18, -8
	s_add_u32 s4, s10, 8
	s_addc_u32 s5, s11, 0
.LBB6_37:                               ;   in Loop: Header=BB6_30 Depth=1
	s_cmp_gt_u32 s15, 7
	s_cbranch_scc1 .LBB6_41
; %bb.38:                               ;   in Loop: Header=BB6_30 Depth=1
	s_cmp_eq_u32 s15, 0
	s_cbranch_scc1 .LBB6_42
; %bb.39:                               ;   in Loop: Header=BB6_30 Depth=1
	v_mov_b32_e32 v15, 0
	s_mov_b64 s[20:21], 0
	v_mov_b32_e32 v16, 0
	s_mov_b64 s[22:23], 0
.LBB6_40:                               ;   Parent Loop BB6_30 Depth=1
                                        ; =>  This Inner Loop Header: Depth=2
	s_add_u32 s24, s4, s22
	s_addc_u32 s25, s5, s23
	global_load_ubyte v11, v31, s[24:25]
	s_add_u32 s22, s22, 1
	s_addc_u32 s23, s23, 0
	s_waitcnt vmcnt(0)
	v_and_b32_e32 v30, 0xffff, v11
	v_lshlrev_b64 v[11:12], s20, v[30:31]
	s_add_u32 s20, s20, 8
	s_addc_u32 s21, s21, 0
	v_or_b32_e32 v15, v11, v15
	s_cmp_lg_u32 s15, s22
	v_or_b32_e32 v16, v12, v16
	s_cbranch_scc1 .LBB6_40
	s_branch .LBB6_43
.LBB6_41:                               ;   in Loop: Header=BB6_30 Depth=1
                                        ; implicit-def: $vgpr15_vgpr16
                                        ; implicit-def: $sgpr24
	s_branch .LBB6_44
.LBB6_42:                               ;   in Loop: Header=BB6_30 Depth=1
	v_mov_b32_e32 v15, 0
	v_mov_b32_e32 v16, 0
.LBB6_43:                               ;   in Loop: Header=BB6_30 Depth=1
	s_mov_b32 s24, 0
	s_cbranch_execnz .LBB6_45
.LBB6_44:                               ;   in Loop: Header=BB6_30 Depth=1
	global_load_dwordx2 v[15:16], v31, s[4:5]
	s_add_i32 s24, s15, -8
	s_add_u32 s4, s4, 8
	s_addc_u32 s5, s5, 0
.LBB6_45:                               ;   in Loop: Header=BB6_30 Depth=1
	s_cmp_gt_u32 s24, 7
	s_cbranch_scc1 .LBB6_49
; %bb.46:                               ;   in Loop: Header=BB6_30 Depth=1
	s_cmp_eq_u32 s24, 0
	s_cbranch_scc1 .LBB6_50
; %bb.47:                               ;   in Loop: Header=BB6_30 Depth=1
	v_mov_b32_e32 v17, 0
	s_mov_b64 s[20:21], 0
	v_mov_b32_e32 v18, 0
	s_mov_b64 s[22:23], 0
.LBB6_48:                               ;   Parent Loop BB6_30 Depth=1
                                        ; =>  This Inner Loop Header: Depth=2
	s_add_u32 s26, s4, s22
	s_addc_u32 s27, s5, s23
	global_load_ubyte v11, v31, s[26:27]
	s_add_u32 s22, s22, 1
	s_addc_u32 s23, s23, 0
	s_waitcnt vmcnt(0)
	v_and_b32_e32 v30, 0xffff, v11
	v_lshlrev_b64 v[11:12], s20, v[30:31]
	s_add_u32 s20, s20, 8
	s_addc_u32 s21, s21, 0
	v_or_b32_e32 v17, v11, v17
	s_cmp_lg_u32 s24, s22
	v_or_b32_e32 v18, v12, v18
	s_cbranch_scc1 .LBB6_48
	s_branch .LBB6_51
.LBB6_49:                               ;   in Loop: Header=BB6_30 Depth=1
                                        ; implicit-def: $sgpr15
	s_branch .LBB6_52
.LBB6_50:                               ;   in Loop: Header=BB6_30 Depth=1
	v_mov_b32_e32 v17, 0
	v_mov_b32_e32 v18, 0
.LBB6_51:                               ;   in Loop: Header=BB6_30 Depth=1
	s_mov_b32 s15, 0
	s_cbranch_execnz .LBB6_53
.LBB6_52:                               ;   in Loop: Header=BB6_30 Depth=1
	global_load_dwordx2 v[17:18], v31, s[4:5]
	s_add_i32 s15, s24, -8
	s_add_u32 s4, s4, 8
	s_addc_u32 s5, s5, 0
.LBB6_53:                               ;   in Loop: Header=BB6_30 Depth=1
	s_cmp_gt_u32 s15, 7
	s_cbranch_scc1 .LBB6_57
; %bb.54:                               ;   in Loop: Header=BB6_30 Depth=1
	s_cmp_eq_u32 s15, 0
	s_cbranch_scc1 .LBB6_58
; %bb.55:                               ;   in Loop: Header=BB6_30 Depth=1
	v_mov_b32_e32 v19, 0
	s_mov_b64 s[20:21], 0
	v_mov_b32_e32 v20, 0
	s_mov_b64 s[22:23], 0
.LBB6_56:                               ;   Parent Loop BB6_30 Depth=1
                                        ; =>  This Inner Loop Header: Depth=2
	s_add_u32 s24, s4, s22
	s_addc_u32 s25, s5, s23
	global_load_ubyte v11, v31, s[24:25]
	s_add_u32 s22, s22, 1
	s_addc_u32 s23, s23, 0
	s_waitcnt vmcnt(0)
	v_and_b32_e32 v30, 0xffff, v11
	v_lshlrev_b64 v[11:12], s20, v[30:31]
	s_add_u32 s20, s20, 8
	s_addc_u32 s21, s21, 0
	v_or_b32_e32 v19, v11, v19
	s_cmp_lg_u32 s15, s22
	v_or_b32_e32 v20, v12, v20
	s_cbranch_scc1 .LBB6_56
	s_branch .LBB6_59
.LBB6_57:                               ;   in Loop: Header=BB6_30 Depth=1
                                        ; implicit-def: $vgpr19_vgpr20
                                        ; implicit-def: $sgpr24
	s_branch .LBB6_60
.LBB6_58:                               ;   in Loop: Header=BB6_30 Depth=1
	v_mov_b32_e32 v19, 0
	v_mov_b32_e32 v20, 0
.LBB6_59:                               ;   in Loop: Header=BB6_30 Depth=1
	s_mov_b32 s24, 0
	s_cbranch_execnz .LBB6_61
.LBB6_60:                               ;   in Loop: Header=BB6_30 Depth=1
	global_load_dwordx2 v[19:20], v31, s[4:5]
	s_add_i32 s24, s15, -8
	s_add_u32 s4, s4, 8
	s_addc_u32 s5, s5, 0
.LBB6_61:                               ;   in Loop: Header=BB6_30 Depth=1
	s_cmp_gt_u32 s24, 7
	s_cbranch_scc1 .LBB6_65
; %bb.62:                               ;   in Loop: Header=BB6_30 Depth=1
	s_cmp_eq_u32 s24, 0
	s_cbranch_scc1 .LBB6_66
; %bb.63:                               ;   in Loop: Header=BB6_30 Depth=1
	v_mov_b32_e32 v21, 0
	s_mov_b64 s[20:21], 0
	v_mov_b32_e32 v22, 0
	s_mov_b64 s[22:23], 0
.LBB6_64:                               ;   Parent Loop BB6_30 Depth=1
                                        ; =>  This Inner Loop Header: Depth=2
	s_add_u32 s26, s4, s22
	s_addc_u32 s27, s5, s23
	global_load_ubyte v11, v31, s[26:27]
	s_add_u32 s22, s22, 1
	s_addc_u32 s23, s23, 0
	s_waitcnt vmcnt(0)
	v_and_b32_e32 v30, 0xffff, v11
	v_lshlrev_b64 v[11:12], s20, v[30:31]
	s_add_u32 s20, s20, 8
	s_addc_u32 s21, s21, 0
	v_or_b32_e32 v21, v11, v21
	s_cmp_lg_u32 s24, s22
	v_or_b32_e32 v22, v12, v22
	s_cbranch_scc1 .LBB6_64
	s_branch .LBB6_67
.LBB6_65:                               ;   in Loop: Header=BB6_30 Depth=1
                                        ; implicit-def: $sgpr15
	s_branch .LBB6_68
.LBB6_66:                               ;   in Loop: Header=BB6_30 Depth=1
	v_mov_b32_e32 v21, 0
	v_mov_b32_e32 v22, 0
.LBB6_67:                               ;   in Loop: Header=BB6_30 Depth=1
	s_mov_b32 s15, 0
	s_cbranch_execnz .LBB6_69
.LBB6_68:                               ;   in Loop: Header=BB6_30 Depth=1
	global_load_dwordx2 v[21:22], v31, s[4:5]
	s_add_i32 s15, s24, -8
	s_add_u32 s4, s4, 8
	s_addc_u32 s5, s5, 0
.LBB6_69:                               ;   in Loop: Header=BB6_30 Depth=1
	s_cmp_gt_u32 s15, 7
	s_cbranch_scc1 .LBB6_73
; %bb.70:                               ;   in Loop: Header=BB6_30 Depth=1
	s_cmp_eq_u32 s15, 0
	s_cbranch_scc1 .LBB6_74
; %bb.71:                               ;   in Loop: Header=BB6_30 Depth=1
	v_mov_b32_e32 v23, 0
	s_mov_b64 s[20:21], 0
	v_mov_b32_e32 v24, 0
	s_mov_b64 s[22:23], 0
.LBB6_72:                               ;   Parent Loop BB6_30 Depth=1
                                        ; =>  This Inner Loop Header: Depth=2
	s_add_u32 s24, s4, s22
	s_addc_u32 s25, s5, s23
	global_load_ubyte v11, v31, s[24:25]
	s_add_u32 s22, s22, 1
	s_addc_u32 s23, s23, 0
	s_waitcnt vmcnt(0)
	v_and_b32_e32 v30, 0xffff, v11
	v_lshlrev_b64 v[11:12], s20, v[30:31]
	s_add_u32 s20, s20, 8
	s_addc_u32 s21, s21, 0
	v_or_b32_e32 v23, v11, v23
	s_cmp_lg_u32 s15, s22
	v_or_b32_e32 v24, v12, v24
	s_cbranch_scc1 .LBB6_72
	s_branch .LBB6_75
.LBB6_73:                               ;   in Loop: Header=BB6_30 Depth=1
                                        ; implicit-def: $vgpr23_vgpr24
                                        ; implicit-def: $sgpr24
	s_branch .LBB6_76
.LBB6_74:                               ;   in Loop: Header=BB6_30 Depth=1
	v_mov_b32_e32 v23, 0
	v_mov_b32_e32 v24, 0
.LBB6_75:                               ;   in Loop: Header=BB6_30 Depth=1
	s_mov_b32 s24, 0
	s_cbranch_execnz .LBB6_77
.LBB6_76:                               ;   in Loop: Header=BB6_30 Depth=1
	global_load_dwordx2 v[23:24], v31, s[4:5]
	s_add_i32 s24, s15, -8
	s_add_u32 s4, s4, 8
	s_addc_u32 s5, s5, 0
.LBB6_77:                               ;   in Loop: Header=BB6_30 Depth=1
	s_cmp_gt_u32 s24, 7
	s_cbranch_scc1 .LBB6_81
; %bb.78:                               ;   in Loop: Header=BB6_30 Depth=1
	s_cmp_eq_u32 s24, 0
	s_cbranch_scc1 .LBB6_82
; %bb.79:                               ;   in Loop: Header=BB6_30 Depth=1
	v_mov_b32_e32 v25, 0
	s_mov_b64 s[20:21], 0
	v_mov_b32_e32 v26, 0
	s_mov_b64 s[22:23], s[4:5]
.LBB6_80:                               ;   Parent Loop BB6_30 Depth=1
                                        ; =>  This Inner Loop Header: Depth=2
	global_load_ubyte v11, v31, s[22:23]
	s_add_i32 s24, s24, -1
	s_waitcnt vmcnt(0)
	v_and_b32_e32 v30, 0xffff, v11
	v_lshlrev_b64 v[11:12], s20, v[30:31]
	s_add_u32 s20, s20, 8
	s_addc_u32 s21, s21, 0
	s_add_u32 s22, s22, 1
	s_addc_u32 s23, s23, 0
	v_or_b32_e32 v25, v11, v25
	s_cmp_lg_u32 s24, 0
	v_or_b32_e32 v26, v12, v26
	s_cbranch_scc1 .LBB6_80
	s_branch .LBB6_83
.LBB6_81:                               ;   in Loop: Header=BB6_30 Depth=1
	s_branch .LBB6_84
.LBB6_82:                               ;   in Loop: Header=BB6_30 Depth=1
	v_mov_b32_e32 v25, 0
	v_mov_b32_e32 v26, 0
.LBB6_83:                               ;   in Loop: Header=BB6_30 Depth=1
	s_cbranch_execnz .LBB6_85
.LBB6_84:                               ;   in Loop: Header=BB6_30 Depth=1
	global_load_dwordx2 v[25:26], v31, s[4:5]
.LBB6_85:                               ;   in Loop: Header=BB6_30 Depth=1
	v_readfirstlane_b32 s4, v51
	v_mov_b32_e32 v11, 0
	v_mov_b32_e32 v12, 0
	v_cmp_eq_u32_e64 s[4:5], s4, v51
	s_and_saveexec_b64 s[20:21], s[4:5]
	s_cbranch_execz .LBB6_91
; %bb.86:                               ;   in Loop: Header=BB6_30 Depth=1
	global_load_dwordx2 v[29:30], v31, s[44:45] offset:24 glc
	s_waitcnt vmcnt(0)
	buffer_wbinvl1_vol
	global_load_dwordx2 v[11:12], v31, s[44:45] offset:40
	global_load_dwordx2 v[27:28], v31, s[44:45]
	s_waitcnt vmcnt(1)
	v_and_b32_e32 v11, v11, v29
	v_and_b32_e32 v12, v12, v30
	v_mul_lo_u32 v12, v12, 24
	v_mul_hi_u32 v32, v11, 24
	v_mul_lo_u32 v11, v11, 24
	v_add_u32_e32 v12, v32, v12
	s_waitcnt vmcnt(0)
	v_add_co_u32_e32 v11, vcc, v27, v11
	v_addc_co_u32_e32 v12, vcc, v28, v12, vcc
	global_load_dwordx2 v[27:28], v[11:12], off glc
	s_waitcnt vmcnt(0)
	global_atomic_cmpswap_x2 v[11:12], v31, v[27:30], s[44:45] offset:24 glc
	s_waitcnt vmcnt(0)
	buffer_wbinvl1_vol
	v_cmp_ne_u64_e32 vcc, v[11:12], v[29:30]
	s_and_saveexec_b64 s[22:23], vcc
	s_cbranch_execz .LBB6_90
; %bb.87:                               ;   in Loop: Header=BB6_30 Depth=1
	s_mov_b64 s[24:25], 0
.LBB6_88:                               ;   Parent Loop BB6_30 Depth=1
                                        ; =>  This Inner Loop Header: Depth=2
	s_sleep 1
	global_load_dwordx2 v[27:28], v31, s[44:45] offset:40
	global_load_dwordx2 v[32:33], v31, s[44:45]
	v_mov_b32_e32 v30, v12
	v_mov_b32_e32 v29, v11
	s_waitcnt vmcnt(1)
	v_and_b32_e32 v11, v27, v29
	s_waitcnt vmcnt(0)
	v_mad_u64_u32 v[11:12], s[26:27], v11, 24, v[32:33]
	v_and_b32_e32 v27, v28, v30
	v_mad_u64_u32 v[27:28], s[26:27], v27, 24, v[12:13]
	v_mov_b32_e32 v12, v27
	global_load_dwordx2 v[27:28], v[11:12], off glc
	s_waitcnt vmcnt(0)
	global_atomic_cmpswap_x2 v[11:12], v31, v[27:30], s[44:45] offset:24 glc
	s_waitcnt vmcnt(0)
	buffer_wbinvl1_vol
	v_cmp_eq_u64_e32 vcc, v[11:12], v[29:30]
	s_or_b64 s[24:25], vcc, s[24:25]
	s_andn2_b64 exec, exec, s[24:25]
	s_cbranch_execnz .LBB6_88
; %bb.89:                               ;   in Loop: Header=BB6_30 Depth=1
	s_or_b64 exec, exec, s[24:25]
.LBB6_90:                               ;   in Loop: Header=BB6_30 Depth=1
	s_or_b64 exec, exec, s[22:23]
.LBB6_91:                               ;   in Loop: Header=BB6_30 Depth=1
	s_or_b64 exec, exec, s[20:21]
	global_load_dwordx2 v[32:33], v31, s[44:45] offset:40
	global_load_dwordx4 v[27:30], v31, s[44:45]
	v_readfirstlane_b32 s20, v11
	v_readfirstlane_b32 s21, v12
	s_mov_b64 s[22:23], exec
	s_waitcnt vmcnt(1)
	v_readfirstlane_b32 s24, v32
	v_readfirstlane_b32 s25, v33
	s_and_b64 s[24:25], s[20:21], s[24:25]
	s_mul_i32 s15, s25, 24
	s_mul_hi_u32 s26, s24, 24
	s_mul_i32 s27, s24, 24
	s_add_i32 s15, s26, s15
	v_mov_b32_e32 v11, s15
	s_waitcnt vmcnt(0)
	v_add_co_u32_e32 v32, vcc, s27, v27
	v_addc_co_u32_e32 v33, vcc, v28, v11, vcc
	s_and_saveexec_b64 s[26:27], s[4:5]
	s_cbranch_execz .LBB6_93
; %bb.92:                               ;   in Loop: Header=BB6_30 Depth=1
	v_mov_b32_e32 v11, s22
	v_mov_b32_e32 v12, s23
	global_store_dwordx4 v[32:33], v[11:14], off offset:8
.LBB6_93:                               ;   in Loop: Header=BB6_30 Depth=1
	s_or_b64 exec, exec, s[26:27]
	s_lshl_b64 s[22:23], s[24:25], 12
	v_mov_b32_e32 v11, s23
	v_add_co_u32_e32 v29, vcc, s22, v29
	v_addc_co_u32_e32 v35, vcc, v30, v11, vcc
	v_cmp_gt_u64_e64 vcc, s[16:17], 56
	v_or_b32_e32 v12, v0, v34
	s_lshl_b32 s15, s18, 2
	v_cndmask_b32_e32 v0, v12, v0, vcc
	s_add_i32 s15, s15, 28
	v_or_b32_e32 v11, 0, v1
	s_and_b32 s15, s15, 0x1e0
	v_and_b32_e32 v0, 0xffffff1f, v0
	v_cndmask_b32_e32 v1, v11, v1, vcc
	v_or_b32_e32 v0, s15, v0
	v_readfirstlane_b32 s22, v29
	v_readfirstlane_b32 s23, v35
	s_nop 4
	global_store_dwordx4 v50, v[0:3], s[22:23]
	global_store_dwordx4 v50, v[15:18], s[22:23] offset:16
	global_store_dwordx4 v50, v[19:22], s[22:23] offset:32
	;; [unrolled: 1-line block ×3, first 2 shown]
	s_and_saveexec_b64 s[22:23], s[4:5]
	s_cbranch_execz .LBB6_101
; %bb.94:                               ;   in Loop: Header=BB6_30 Depth=1
	global_load_dwordx2 v[17:18], v31, s[44:45] offset:32 glc
	global_load_dwordx2 v[0:1], v31, s[44:45] offset:40
	v_mov_b32_e32 v15, s20
	v_mov_b32_e32 v16, s21
	s_waitcnt vmcnt(0)
	v_readfirstlane_b32 s24, v0
	v_readfirstlane_b32 s25, v1
	s_and_b64 s[24:25], s[24:25], s[20:21]
	s_mul_i32 s15, s25, 24
	s_mul_hi_u32 s25, s24, 24
	s_mul_i32 s24, s24, 24
	s_add_i32 s15, s25, s15
	v_mov_b32_e32 v0, s15
	v_add_co_u32_e32 v11, vcc, s24, v27
	v_addc_co_u32_e32 v12, vcc, v28, v0, vcc
	global_store_dwordx2 v[11:12], v[17:18], off
	s_waitcnt vmcnt(0)
	global_atomic_cmpswap_x2 v[2:3], v31, v[15:18], s[44:45] offset:32 glc
	s_waitcnt vmcnt(0)
	v_cmp_ne_u64_e32 vcc, v[2:3], v[17:18]
	s_and_saveexec_b64 s[24:25], vcc
	s_cbranch_execz .LBB6_97
; %bb.95:                               ;   in Loop: Header=BB6_30 Depth=1
	s_mov_b64 s[26:27], 0
.LBB6_96:                               ;   Parent Loop BB6_30 Depth=1
                                        ; =>  This Inner Loop Header: Depth=2
	s_sleep 1
	global_store_dwordx2 v[11:12], v[2:3], off
	v_mov_b32_e32 v0, s20
	v_mov_b32_e32 v1, s21
	s_waitcnt vmcnt(0)
	global_atomic_cmpswap_x2 v[0:1], v31, v[0:3], s[44:45] offset:32 glc
	s_waitcnt vmcnt(0)
	v_cmp_eq_u64_e32 vcc, v[0:1], v[2:3]
	v_mov_b32_e32 v3, v1
	s_or_b64 s[26:27], vcc, s[26:27]
	v_mov_b32_e32 v2, v0
	s_andn2_b64 exec, exec, s[26:27]
	s_cbranch_execnz .LBB6_96
.LBB6_97:                               ;   in Loop: Header=BB6_30 Depth=1
	s_or_b64 exec, exec, s[24:25]
	global_load_dwordx2 v[0:1], v31, s[44:45] offset:16
	s_mov_b64 s[26:27], exec
	v_mbcnt_lo_u32_b32 v2, s26, 0
	v_mbcnt_hi_u32_b32 v2, s27, v2
	v_cmp_eq_u32_e32 vcc, 0, v2
	s_and_saveexec_b64 s[24:25], vcc
	s_cbranch_execz .LBB6_99
; %bb.98:                               ;   in Loop: Header=BB6_30 Depth=1
	s_bcnt1_i32_b64 s15, s[26:27]
	v_mov_b32_e32 v30, s15
	s_waitcnt vmcnt(0)
	global_atomic_add_x2 v[0:1], v[30:31], off offset:8
.LBB6_99:                               ;   in Loop: Header=BB6_30 Depth=1
	s_or_b64 exec, exec, s[24:25]
	s_waitcnt vmcnt(0)
	global_load_dwordx2 v[2:3], v[0:1], off offset:16
	s_waitcnt vmcnt(0)
	v_cmp_eq_u64_e32 vcc, 0, v[2:3]
	s_cbranch_vccnz .LBB6_101
; %bb.100:                              ;   in Loop: Header=BB6_30 Depth=1
	global_load_dword v30, v[0:1], off offset:24
	s_waitcnt vmcnt(0)
	v_and_b32_e32 v0, 0xffffff, v30
	v_readfirstlane_b32 m0, v0
	global_store_dwordx2 v[2:3], v[30:31], off
	s_sendmsg sendmsg(MSG_INTERRUPT)
.LBB6_101:                              ;   in Loop: Header=BB6_30 Depth=1
	s_or_b64 exec, exec, s[22:23]
	v_add_co_u32_e32 v0, vcc, v29, v50
	v_addc_co_u32_e32 v1, vcc, 0, v35, vcc
	s_branch .LBB6_105
.LBB6_102:                              ;   in Loop: Header=BB6_105 Depth=2
	s_or_b64 exec, exec, s[22:23]
	v_readfirstlane_b32 s15, v2
	s_cmp_eq_u32 s15, 0
	s_cbranch_scc1 .LBB6_104
; %bb.103:                              ;   in Loop: Header=BB6_105 Depth=2
	s_sleep 1
	s_cbranch_execnz .LBB6_105
	s_branch .LBB6_107
.LBB6_104:                              ;   in Loop: Header=BB6_30 Depth=1
	s_branch .LBB6_107
.LBB6_105:                              ;   Parent Loop BB6_30 Depth=1
                                        ; =>  This Inner Loop Header: Depth=2
	v_mov_b32_e32 v2, 1
	s_and_saveexec_b64 s[22:23], s[4:5]
	s_cbranch_execz .LBB6_102
; %bb.106:                              ;   in Loop: Header=BB6_105 Depth=2
	global_load_dword v2, v[32:33], off offset:20 glc
	s_waitcnt vmcnt(0)
	buffer_wbinvl1_vol
	v_and_b32_e32 v2, 1, v2
	s_branch .LBB6_102
.LBB6_107:                              ;   in Loop: Header=BB6_30 Depth=1
	global_load_dwordx4 v[0:3], v[0:1], off
	s_and_saveexec_b64 s[22:23], s[4:5]
	s_cbranch_execz .LBB6_29
; %bb.108:                              ;   in Loop: Header=BB6_30 Depth=1
	global_load_dwordx2 v[2:3], v31, s[44:45] offset:40
	global_load_dwordx2 v[11:12], v31, s[44:45] offset:24 glc
	global_load_dwordx2 v[18:19], v31, s[44:45]
	v_mov_b32_e32 v16, s21
	s_waitcnt vmcnt(2)
	v_add_co_u32_e32 v17, vcc, 1, v2
	v_addc_co_u32_e32 v20, vcc, 0, v3, vcc
	v_add_co_u32_e32 v15, vcc, s20, v17
	v_addc_co_u32_e32 v16, vcc, v20, v16, vcc
	v_cmp_eq_u64_e32 vcc, 0, v[15:16]
	v_cndmask_b32_e32 v16, v16, v20, vcc
	v_cndmask_b32_e32 v15, v15, v17, vcc
	v_and_b32_e32 v3, v16, v3
	v_and_b32_e32 v2, v15, v2
	v_mul_lo_u32 v3, v3, 24
	v_mul_hi_u32 v20, v2, 24
	v_mul_lo_u32 v2, v2, 24
	s_waitcnt vmcnt(1)
	v_mov_b32_e32 v17, v11
	v_add_u32_e32 v3, v20, v3
	s_waitcnt vmcnt(0)
	v_add_co_u32_e32 v2, vcc, v18, v2
	v_addc_co_u32_e32 v3, vcc, v19, v3, vcc
	global_store_dwordx2 v[2:3], v[11:12], off
	v_mov_b32_e32 v18, v12
	s_waitcnt vmcnt(0)
	global_atomic_cmpswap_x2 v[17:18], v31, v[15:18], s[44:45] offset:24 glc
	s_waitcnt vmcnt(0)
	v_cmp_ne_u64_e32 vcc, v[17:18], v[11:12]
	s_and_b64 exec, exec, vcc
	s_cbranch_execz .LBB6_29
; %bb.109:                              ;   in Loop: Header=BB6_30 Depth=1
	s_mov_b64 s[4:5], 0
.LBB6_110:                              ;   Parent Loop BB6_30 Depth=1
                                        ; =>  This Inner Loop Header: Depth=2
	s_sleep 1
	global_store_dwordx2 v[2:3], v[17:18], off
	s_waitcnt vmcnt(0)
	global_atomic_cmpswap_x2 v[11:12], v31, v[15:18], s[44:45] offset:24 glc
	s_waitcnt vmcnt(0)
	v_cmp_eq_u64_e32 vcc, v[11:12], v[17:18]
	v_mov_b32_e32 v18, v12
	s_or_b64 s[4:5], vcc, s[4:5]
	v_mov_b32_e32 v17, v11
	s_andn2_b64 exec, exec, s[4:5]
	s_cbranch_execnz .LBB6_110
	s_branch .LBB6_29
.LBB6_111:
	s_branch .LBB6_139
.LBB6_112:
                                        ; implicit-def: $vgpr0_vgpr1
	s_cbranch_execz .LBB6_139
; %bb.113:
	v_readfirstlane_b32 s4, v51
	v_mov_b32_e32 v12, 0
	v_mov_b32_e32 v13, 0
	v_cmp_eq_u32_e64 s[4:5], s4, v51
	s_and_saveexec_b64 s[10:11], s[4:5]
	s_cbranch_execz .LBB6_119
; %bb.114:
	s_waitcnt vmcnt(0)
	v_mov_b32_e32 v0, 0
	global_load_dwordx2 v[14:15], v0, s[44:45] offset:24 glc
	s_waitcnt vmcnt(0)
	buffer_wbinvl1_vol
	global_load_dwordx2 v[1:2], v0, s[44:45] offset:40
	global_load_dwordx2 v[11:12], v0, s[44:45]
	s_waitcnt vmcnt(1)
	v_and_b32_e32 v1, v1, v14
	v_and_b32_e32 v2, v2, v15
	v_mul_lo_u32 v2, v2, 24
	v_mul_hi_u32 v3, v1, 24
	v_mul_lo_u32 v1, v1, 24
	v_add_u32_e32 v2, v3, v2
	s_waitcnt vmcnt(0)
	v_add_co_u32_e32 v1, vcc, v11, v1
	v_addc_co_u32_e32 v2, vcc, v12, v2, vcc
	global_load_dwordx2 v[12:13], v[1:2], off glc
	s_waitcnt vmcnt(0)
	global_atomic_cmpswap_x2 v[12:13], v0, v[12:15], s[44:45] offset:24 glc
	s_waitcnt vmcnt(0)
	buffer_wbinvl1_vol
	v_cmp_ne_u64_e32 vcc, v[12:13], v[14:15]
	s_and_saveexec_b64 s[16:17], vcc
	s_cbranch_execz .LBB6_118
; %bb.115:
	s_mov_b64 s[18:19], 0
.LBB6_116:                              ; =>This Inner Loop Header: Depth=1
	s_sleep 1
	global_load_dwordx2 v[1:2], v0, s[44:45] offset:40
	global_load_dwordx2 v[16:17], v0, s[44:45]
	v_mov_b32_e32 v15, v13
	v_mov_b32_e32 v14, v12
	s_waitcnt vmcnt(1)
	v_and_b32_e32 v1, v1, v14
	s_waitcnt vmcnt(0)
	v_mad_u64_u32 v[11:12], s[20:21], v1, 24, v[16:17]
	v_and_b32_e32 v2, v2, v15
	v_mov_b32_e32 v1, v12
	v_mad_u64_u32 v[1:2], s[20:21], v2, 24, v[1:2]
	v_mov_b32_e32 v12, v1
	global_load_dwordx2 v[12:13], v[11:12], off glc
	s_waitcnt vmcnt(0)
	global_atomic_cmpswap_x2 v[12:13], v0, v[12:15], s[44:45] offset:24 glc
	s_waitcnt vmcnt(0)
	buffer_wbinvl1_vol
	v_cmp_eq_u64_e32 vcc, v[12:13], v[14:15]
	s_or_b64 s[18:19], vcc, s[18:19]
	s_andn2_b64 exec, exec, s[18:19]
	s_cbranch_execnz .LBB6_116
; %bb.117:
	s_or_b64 exec, exec, s[18:19]
.LBB6_118:
	s_or_b64 exec, exec, s[16:17]
.LBB6_119:
	s_or_b64 exec, exec, s[10:11]
	v_mov_b32_e32 v11, 0
	global_load_dwordx2 v[14:15], v11, s[44:45] offset:40
	global_load_dwordx4 v[0:3], v11, s[44:45]
	v_readfirstlane_b32 s10, v12
	v_readfirstlane_b32 s11, v13
	s_mov_b64 s[16:17], exec
	s_waitcnt vmcnt(1)
	v_readfirstlane_b32 s18, v14
	v_readfirstlane_b32 s19, v15
	s_and_b64 s[18:19], s[10:11], s[18:19]
	s_mul_i32 s15, s19, 24
	s_mul_hi_u32 s20, s18, 24
	s_mul_i32 s21, s18, 24
	s_add_i32 s15, s20, s15
	v_mov_b32_e32 v12, s15
	s_waitcnt vmcnt(0)
	v_add_co_u32_e32 v13, vcc, s21, v0
	v_addc_co_u32_e32 v14, vcc, v1, v12, vcc
	s_and_saveexec_b64 s[20:21], s[4:5]
	s_cbranch_execz .LBB6_121
; %bb.120:
	v_mov_b32_e32 v15, s16
	v_mov_b32_e32 v16, s17
	;; [unrolled: 1-line block ×4, first 2 shown]
	global_store_dwordx4 v[13:14], v[15:18], off offset:8
.LBB6_121:
	s_or_b64 exec, exec, s[20:21]
	s_lshl_b64 s[16:17], s[18:19], 12
	v_mov_b32_e32 v12, s17
	v_add_co_u32_e32 v2, vcc, s16, v2
	v_addc_co_u32_e32 v3, vcc, v3, v12, vcc
	s_movk_i32 s15, 0xff1f
	v_and_or_b32 v9, v9, s15, 32
	s_mov_b32 s16, 0
	v_mov_b32_e32 v12, v11
	v_readfirstlane_b32 s20, v2
	v_readfirstlane_b32 s21, v3
	v_add_co_u32_e32 v15, vcc, v2, v50
	s_mov_b32 s17, s16
	s_mov_b32 s18, s16
	;; [unrolled: 1-line block ×3, first 2 shown]
	s_nop 0
	global_store_dwordx4 v50, v[9:12], s[20:21]
	v_addc_co_u32_e32 v16, vcc, 0, v3, vcc
	v_mov_b32_e32 v9, s16
	v_mov_b32_e32 v10, s17
	;; [unrolled: 1-line block ×4, first 2 shown]
	global_store_dwordx4 v50, v[9:12], s[20:21] offset:16
	global_store_dwordx4 v50, v[9:12], s[20:21] offset:32
	;; [unrolled: 1-line block ×3, first 2 shown]
	s_and_saveexec_b64 s[16:17], s[4:5]
	s_cbranch_execz .LBB6_129
; %bb.122:
	v_mov_b32_e32 v11, 0
	global_load_dwordx2 v[19:20], v11, s[44:45] offset:32 glc
	global_load_dwordx2 v[2:3], v11, s[44:45] offset:40
	v_mov_b32_e32 v17, s10
	v_mov_b32_e32 v18, s11
	s_waitcnt vmcnt(0)
	v_readfirstlane_b32 s18, v2
	v_readfirstlane_b32 s19, v3
	s_and_b64 s[18:19], s[18:19], s[10:11]
	s_mul_i32 s15, s19, 24
	s_mul_hi_u32 s19, s18, 24
	s_mul_i32 s18, s18, 24
	s_add_i32 s15, s19, s15
	v_mov_b32_e32 v2, s15
	v_add_co_u32_e32 v9, vcc, s18, v0
	v_addc_co_u32_e32 v10, vcc, v1, v2, vcc
	global_store_dwordx2 v[9:10], v[19:20], off
	s_waitcnt vmcnt(0)
	global_atomic_cmpswap_x2 v[2:3], v11, v[17:20], s[44:45] offset:32 glc
	s_waitcnt vmcnt(0)
	v_cmp_ne_u64_e32 vcc, v[2:3], v[19:20]
	s_and_saveexec_b64 s[18:19], vcc
	s_cbranch_execz .LBB6_125
; %bb.123:
	s_mov_b64 s[20:21], 0
.LBB6_124:                              ; =>This Inner Loop Header: Depth=1
	s_sleep 1
	global_store_dwordx2 v[9:10], v[2:3], off
	v_mov_b32_e32 v0, s10
	v_mov_b32_e32 v1, s11
	s_waitcnt vmcnt(0)
	global_atomic_cmpswap_x2 v[0:1], v11, v[0:3], s[44:45] offset:32 glc
	s_waitcnt vmcnt(0)
	v_cmp_eq_u64_e32 vcc, v[0:1], v[2:3]
	v_mov_b32_e32 v3, v1
	s_or_b64 s[20:21], vcc, s[20:21]
	v_mov_b32_e32 v2, v0
	s_andn2_b64 exec, exec, s[20:21]
	s_cbranch_execnz .LBB6_124
.LBB6_125:
	s_or_b64 exec, exec, s[18:19]
	v_mov_b32_e32 v3, 0
	global_load_dwordx2 v[0:1], v3, s[44:45] offset:16
	s_mov_b64 s[18:19], exec
	v_mbcnt_lo_u32_b32 v2, s18, 0
	v_mbcnt_hi_u32_b32 v2, s19, v2
	v_cmp_eq_u32_e32 vcc, 0, v2
	s_and_saveexec_b64 s[20:21], vcc
	s_cbranch_execz .LBB6_127
; %bb.126:
	s_bcnt1_i32_b64 s15, s[18:19]
	v_mov_b32_e32 v2, s15
	s_waitcnt vmcnt(0)
	global_atomic_add_x2 v[0:1], v[2:3], off offset:8
.LBB6_127:
	s_or_b64 exec, exec, s[20:21]
	s_waitcnt vmcnt(0)
	global_load_dwordx2 v[2:3], v[0:1], off offset:16
	s_waitcnt vmcnt(0)
	v_cmp_eq_u64_e32 vcc, 0, v[2:3]
	s_cbranch_vccnz .LBB6_129
; %bb.128:
	global_load_dword v0, v[0:1], off offset:24
	v_mov_b32_e32 v1, 0
	s_waitcnt vmcnt(0)
	global_store_dwordx2 v[2:3], v[0:1], off
	v_and_b32_e32 v0, 0xffffff, v0
	v_readfirstlane_b32 m0, v0
	s_sendmsg sendmsg(MSG_INTERRUPT)
.LBB6_129:
	s_or_b64 exec, exec, s[16:17]
	s_branch .LBB6_133
.LBB6_130:                              ;   in Loop: Header=BB6_133 Depth=1
	s_or_b64 exec, exec, s[16:17]
	v_readfirstlane_b32 s15, v0
	s_cmp_eq_u32 s15, 0
	s_cbranch_scc1 .LBB6_132
; %bb.131:                              ;   in Loop: Header=BB6_133 Depth=1
	s_sleep 1
	s_cbranch_execnz .LBB6_133
	s_branch .LBB6_135
.LBB6_132:
	s_branch .LBB6_135
.LBB6_133:                              ; =>This Inner Loop Header: Depth=1
	v_mov_b32_e32 v0, 1
	s_and_saveexec_b64 s[16:17], s[4:5]
	s_cbranch_execz .LBB6_130
; %bb.134:                              ;   in Loop: Header=BB6_133 Depth=1
	global_load_dword v0, v[13:14], off offset:20 glc
	s_waitcnt vmcnt(0)
	buffer_wbinvl1_vol
	v_and_b32_e32 v0, 1, v0
	s_branch .LBB6_130
.LBB6_135:
	global_load_dwordx2 v[0:1], v[15:16], off
	s_and_saveexec_b64 s[16:17], s[4:5]
	s_cbranch_execz .LBB6_138
; %bb.136:
	v_mov_b32_e32 v13, 0
	global_load_dwordx2 v[2:3], v13, s[44:45] offset:40
	global_load_dwordx2 v[14:15], v13, s[44:45] offset:24 glc
	global_load_dwordx2 v[16:17], v13, s[44:45]
	v_mov_b32_e32 v10, s11
	s_mov_b64 s[4:5], 0
	s_waitcnt vmcnt(2)
	v_add_co_u32_e32 v11, vcc, 1, v2
	v_addc_co_u32_e32 v12, vcc, 0, v3, vcc
	v_add_co_u32_e32 v9, vcc, s10, v11
	v_addc_co_u32_e32 v10, vcc, v12, v10, vcc
	v_cmp_eq_u64_e32 vcc, 0, v[9:10]
	v_cndmask_b32_e32 v10, v10, v12, vcc
	v_cndmask_b32_e32 v9, v9, v11, vcc
	v_and_b32_e32 v3, v10, v3
	v_and_b32_e32 v2, v9, v2
	v_mul_lo_u32 v3, v3, 24
	v_mul_hi_u32 v12, v2, 24
	v_mul_lo_u32 v2, v2, 24
	s_waitcnt vmcnt(1)
	v_mov_b32_e32 v11, v14
	v_add_u32_e32 v3, v12, v3
	s_waitcnt vmcnt(0)
	v_add_co_u32_e32 v2, vcc, v16, v2
	v_addc_co_u32_e32 v3, vcc, v17, v3, vcc
	global_store_dwordx2 v[2:3], v[14:15], off
	v_mov_b32_e32 v12, v15
	s_waitcnt vmcnt(0)
	global_atomic_cmpswap_x2 v[11:12], v13, v[9:12], s[44:45] offset:24 glc
	s_waitcnt vmcnt(0)
	v_cmp_ne_u64_e32 vcc, v[11:12], v[14:15]
	s_and_b64 exec, exec, vcc
	s_cbranch_execz .LBB6_138
.LBB6_137:                              ; =>This Inner Loop Header: Depth=1
	s_sleep 1
	global_store_dwordx2 v[2:3], v[11:12], off
	s_waitcnt vmcnt(0)
	global_atomic_cmpswap_x2 v[14:15], v13, v[9:12], s[44:45] offset:24 glc
	s_waitcnt vmcnt(0)
	v_cmp_eq_u64_e32 vcc, v[14:15], v[11:12]
	v_mov_b32_e32 v11, v14
	s_or_b64 s[4:5], vcc, s[4:5]
	v_mov_b32_e32 v12, v15
	s_andn2_b64 exec, exec, s[4:5]
	s_cbranch_execnz .LBB6_137
.LBB6_138:
	s_or_b64 exec, exec, s[16:17]
.LBB6_139:
	v_cmp_ne_u64_e32 vcc, 0, v[6:7]
	v_mov_b32_e32 v29, 0
	v_mov_b32_e32 v30, 0
	s_mov_b64 s[16:17], 0
	s_and_saveexec_b64 s[10:11], vcc
	s_cbranch_execnz .LBB6_142
; %bb.140:
	s_or_b64 exec, exec, s[10:11]
	s_and_saveexec_b64 s[4:5], vcc
	s_xor_b64 s[10:11], exec, s[4:5]
	s_cbranch_execnz .LBB6_145
.LBB6_141:
	s_andn2_saveexec_b64 s[10:11], s[10:11]
	s_cbranch_execnz .LBB6_230
	s_branch .LBB6_256
.LBB6_142:
	s_waitcnt vmcnt(0)
	v_add_co_u32_e64 v2, s[4:5], -1, v6
	v_addc_co_u32_e64 v3, s[4:5], -1, v7, s[4:5]
.LBB6_143:                              ; =>This Inner Loop Header: Depth=1
	flat_load_ubyte v11, v[2:3] offset:1
	v_add_co_u32_e64 v9, s[4:5], 1, v2
	v_addc_co_u32_e64 v10, s[4:5], 0, v3, s[4:5]
	v_mov_b32_e32 v2, v9
	v_mov_b32_e32 v3, v10
	s_waitcnt vmcnt(0) lgkmcnt(0)
	v_cmp_eq_u16_e64 s[4:5], 0, v11
	s_or_b64 s[16:17], s[4:5], s[16:17]
	s_andn2_b64 exec, exec, s[16:17]
	s_cbranch_execnz .LBB6_143
; %bb.144:
	s_or_b64 exec, exec, s[16:17]
	v_sub_co_u32_e64 v2, s[4:5], v9, v6
	v_subb_co_u32_e64 v3, s[4:5], v10, v7, s[4:5]
	v_add_co_u32_e64 v29, s[4:5], 1, v2
	v_addc_co_u32_e64 v30, s[4:5], 0, v3, s[4:5]
	s_or_b64 exec, exec, s[10:11]
	s_and_saveexec_b64 s[4:5], vcc
	s_xor_b64 s[10:11], exec, s[4:5]
	s_cbranch_execz .LBB6_141
.LBB6_145:
	s_waitcnt vmcnt(0)
	v_and_b32_e32 v0, -3, v0
	s_mov_b64 s[16:17], 0
	s_mov_b32 s15, 0
	v_mov_b32_e32 v32, 0
	s_movk_i32 s26, 0xff1f
	v_mov_b32_e32 v11, 2
	v_mov_b32_e32 v12, 1
	s_branch .LBB6_147
.LBB6_146:                              ;   in Loop: Header=BB6_147 Depth=1
	s_or_b64 exec, exec, s[20:21]
	v_sub_co_u32_e32 v29, vcc, v29, v33
	v_subb_co_u32_e32 v30, vcc, v30, v34, vcc
	v_cmp_eq_u64_e32 vcc, 0, v[29:30]
	s_or_b64 s[16:17], vcc, s[16:17]
	v_add_co_u32_e32 v6, vcc, v6, v33
	v_addc_co_u32_e32 v7, vcc, v7, v34, vcc
	s_andn2_b64 exec, exec, s[16:17]
	s_cbranch_execz .LBB6_229
.LBB6_147:                              ; =>This Loop Header: Depth=1
                                        ;     Child Loop BB6_150 Depth 2
                                        ;     Child Loop BB6_158 Depth 2
                                        ;     Child Loop BB6_166 Depth 2
                                        ;     Child Loop BB6_174 Depth 2
                                        ;     Child Loop BB6_182 Depth 2
                                        ;     Child Loop BB6_190 Depth 2
                                        ;     Child Loop BB6_198 Depth 2
                                        ;     Child Loop BB6_206 Depth 2
                                        ;     Child Loop BB6_214 Depth 2
                                        ;     Child Loop BB6_223 Depth 2
                                        ;     Child Loop BB6_228 Depth 2
	v_cmp_gt_u64_e32 vcc, 56, v[29:30]
	v_cmp_gt_u64_e64 s[4:5], 8, v[29:30]
	v_cndmask_b32_e32 v34, 0, v30, vcc
	v_cndmask_b32_e32 v33, 56, v29, vcc
                                        ; implicit-def: $sgpr18
	s_and_saveexec_b64 s[20:21], s[4:5]
	s_xor_b64 s[4:5], exec, s[20:21]
	s_cbranch_execz .LBB6_153
; %bb.148:                              ;   in Loop: Header=BB6_147 Depth=1
	v_cmp_ne_u64_e32 vcc, 0, v[29:30]
	s_waitcnt vmcnt(0)
	v_mov_b32_e32 v2, 0
	v_mov_b32_e32 v3, 0
	s_mov_b64 s[20:21], 0
	s_and_saveexec_b64 s[18:19], vcc
	s_cbranch_execz .LBB6_152
; %bb.149:                              ;   in Loop: Header=BB6_147 Depth=1
	v_lshlrev_b64 v[9:10], 3, v[33:34]
	v_mov_b32_e32 v2, 0
	v_mov_b32_e32 v14, v7
	;; [unrolled: 1-line block ×4, first 2 shown]
	s_mov_b64 s[22:23], 0
.LBB6_150:                              ;   Parent Loop BB6_147 Depth=1
                                        ; =>  This Inner Loop Header: Depth=2
	flat_load_ubyte v10, v[13:14]
	v_mov_b32_e32 v16, s15
	v_add_co_u32_e32 v13, vcc, 1, v13
	v_addc_co_u32_e32 v14, vcc, 0, v14, vcc
	s_waitcnt vmcnt(0) lgkmcnt(0)
	v_and_b32_e32 v15, 0xffff, v10
	v_lshlrev_b64 v[15:16], s22, v[15:16]
	s_add_u32 s22, s22, 8
	s_addc_u32 s23, s23, 0
	v_cmp_eq_u32_e32 vcc, s22, v9
	v_or_b32_e32 v3, v16, v3
	s_or_b64 s[20:21], vcc, s[20:21]
	v_or_b32_e32 v2, v15, v2
	s_andn2_b64 exec, exec, s[20:21]
	s_cbranch_execnz .LBB6_150
; %bb.151:                              ;   in Loop: Header=BB6_147 Depth=1
	s_or_b64 exec, exec, s[20:21]
.LBB6_152:                              ;   in Loop: Header=BB6_147 Depth=1
	s_or_b64 exec, exec, s[18:19]
	s_mov_b32 s18, 0
.LBB6_153:                              ;   in Loop: Header=BB6_147 Depth=1
	s_or_saveexec_b64 s[4:5], s[4:5]
	v_mov_b32_e32 v10, v7
	v_mov_b32_e32 v15, s18
	;; [unrolled: 1-line block ×3, first 2 shown]
	s_xor_b64 exec, exec, s[4:5]
	s_cbranch_execz .LBB6_155
; %bb.154:                              ;   in Loop: Header=BB6_147 Depth=1
	s_waitcnt vmcnt(0)
	flat_load_dwordx2 v[2:3], v[6:7]
	v_add_u32_e32 v15, -8, v33
	s_waitcnt vmcnt(0) lgkmcnt(0)
	v_and_b32_e32 v9, 0xff, v3
	v_and_b32_e32 v10, 0xff00, v3
	;; [unrolled: 1-line block ×4, first 2 shown]
	v_or_b32_e32 v9, v9, v10
	v_or3_b32 v3, v9, v13, v3
	v_add_co_u32_e32 v9, vcc, 8, v6
	v_or3_b32 v2, v2, 0, 0
	v_addc_co_u32_e32 v10, vcc, 0, v7, vcc
.LBB6_155:                              ;   in Loop: Header=BB6_147 Depth=1
	s_or_b64 exec, exec, s[4:5]
	v_cmp_gt_u32_e32 vcc, 8, v15
                                        ; implicit-def: $vgpr13_vgpr14
                                        ; implicit-def: $sgpr18
	s_and_saveexec_b64 s[4:5], vcc
	s_xor_b64 s[4:5], exec, s[4:5]
	s_cbranch_execz .LBB6_161
; %bb.156:                              ;   in Loop: Header=BB6_147 Depth=1
	v_mov_b32_e32 v13, 0
	v_mov_b32_e32 v14, 0
	v_cmp_ne_u32_e32 vcc, 0, v15
	s_and_saveexec_b64 s[18:19], vcc
	s_cbranch_execz .LBB6_160
; %bb.157:                              ;   in Loop: Header=BB6_147 Depth=1
	v_mov_b32_e32 v13, 0
	s_mov_b64 s[20:21], 0
	v_mov_b32_e32 v14, 0
	s_mov_b64 s[22:23], 0
	s_mov_b64 s[24:25], 0
.LBB6_158:                              ;   Parent Loop BB6_147 Depth=1
                                        ; =>  This Inner Loop Header: Depth=2
	v_mov_b32_e32 v17, s25
	v_add_co_u32_e32 v16, vcc, s24, v9
	v_addc_co_u32_e32 v17, vcc, v10, v17, vcc
	flat_load_ubyte v16, v[16:17]
	s_add_u32 s24, s24, 1
	v_mov_b32_e32 v17, s15
	s_addc_u32 s25, s25, 0
	v_cmp_eq_u32_e32 vcc, s24, v15
	s_waitcnt vmcnt(0) lgkmcnt(0)
	v_and_b32_e32 v16, 0xffff, v16
	v_lshlrev_b64 v[16:17], s22, v[16:17]
	s_add_u32 s22, s22, 8
	s_addc_u32 s23, s23, 0
	v_or_b32_e32 v14, v17, v14
	s_or_b64 s[20:21], vcc, s[20:21]
	v_or_b32_e32 v13, v16, v13
	s_andn2_b64 exec, exec, s[20:21]
	s_cbranch_execnz .LBB6_158
; %bb.159:                              ;   in Loop: Header=BB6_147 Depth=1
	s_or_b64 exec, exec, s[20:21]
.LBB6_160:                              ;   in Loop: Header=BB6_147 Depth=1
	s_or_b64 exec, exec, s[18:19]
	s_mov_b32 s18, 0
                                        ; implicit-def: $vgpr15
.LBB6_161:                              ;   in Loop: Header=BB6_147 Depth=1
	s_or_saveexec_b64 s[4:5], s[4:5]
	v_mov_b32_e32 v17, s18
	s_xor_b64 exec, exec, s[4:5]
	s_cbranch_execz .LBB6_163
; %bb.162:                              ;   in Loop: Header=BB6_147 Depth=1
	flat_load_dwordx2 v[13:14], v[9:10]
	v_add_u32_e32 v17, -8, v15
	v_add_co_u32_e32 v9, vcc, 8, v9
	v_addc_co_u32_e32 v10, vcc, 0, v10, vcc
	s_waitcnt vmcnt(0) lgkmcnt(0)
	v_and_b32_e32 v15, 0xff, v14
	v_and_b32_e32 v16, 0xff00, v14
	;; [unrolled: 1-line block ×4, first 2 shown]
	v_or_b32_e32 v15, v15, v16
	v_or3_b32 v13, v13, 0, 0
	v_or3_b32 v14, v15, v18, v14
.LBB6_163:                              ;   in Loop: Header=BB6_147 Depth=1
	s_or_b64 exec, exec, s[4:5]
	v_cmp_gt_u32_e32 vcc, 8, v17
                                        ; implicit-def: $sgpr18
	s_and_saveexec_b64 s[4:5], vcc
	s_xor_b64 s[4:5], exec, s[4:5]
	s_cbranch_execz .LBB6_169
; %bb.164:                              ;   in Loop: Header=BB6_147 Depth=1
	v_mov_b32_e32 v15, 0
	v_mov_b32_e32 v16, 0
	v_cmp_ne_u32_e32 vcc, 0, v17
	s_and_saveexec_b64 s[18:19], vcc
	s_cbranch_execz .LBB6_168
; %bb.165:                              ;   in Loop: Header=BB6_147 Depth=1
	v_mov_b32_e32 v15, 0
	s_mov_b64 s[20:21], 0
	v_mov_b32_e32 v16, 0
	s_mov_b64 s[22:23], 0
	s_mov_b64 s[24:25], 0
.LBB6_166:                              ;   Parent Loop BB6_147 Depth=1
                                        ; =>  This Inner Loop Header: Depth=2
	v_mov_b32_e32 v19, s25
	v_add_co_u32_e32 v18, vcc, s24, v9
	v_addc_co_u32_e32 v19, vcc, v10, v19, vcc
	flat_load_ubyte v18, v[18:19]
	s_add_u32 s24, s24, 1
	v_mov_b32_e32 v19, s15
	s_addc_u32 s25, s25, 0
	v_cmp_eq_u32_e32 vcc, s24, v17
	s_waitcnt vmcnt(0) lgkmcnt(0)
	v_and_b32_e32 v18, 0xffff, v18
	v_lshlrev_b64 v[18:19], s22, v[18:19]
	s_add_u32 s22, s22, 8
	s_addc_u32 s23, s23, 0
	v_or_b32_e32 v16, v19, v16
	s_or_b64 s[20:21], vcc, s[20:21]
	v_or_b32_e32 v15, v18, v15
	s_andn2_b64 exec, exec, s[20:21]
	s_cbranch_execnz .LBB6_166
; %bb.167:                              ;   in Loop: Header=BB6_147 Depth=1
	s_or_b64 exec, exec, s[20:21]
.LBB6_168:                              ;   in Loop: Header=BB6_147 Depth=1
	s_or_b64 exec, exec, s[18:19]
	s_mov_b32 s18, 0
                                        ; implicit-def: $vgpr17
.LBB6_169:                              ;   in Loop: Header=BB6_147 Depth=1
	s_or_saveexec_b64 s[4:5], s[4:5]
	v_mov_b32_e32 v19, s18
	s_xor_b64 exec, exec, s[4:5]
	s_cbranch_execz .LBB6_171
; %bb.170:                              ;   in Loop: Header=BB6_147 Depth=1
	flat_load_dwordx2 v[15:16], v[9:10]
	v_add_u32_e32 v19, -8, v17
	v_add_co_u32_e32 v9, vcc, 8, v9
	v_addc_co_u32_e32 v10, vcc, 0, v10, vcc
	s_waitcnt vmcnt(0) lgkmcnt(0)
	v_and_b32_e32 v17, 0xff, v16
	v_and_b32_e32 v18, 0xff00, v16
	;; [unrolled: 1-line block ×4, first 2 shown]
	v_or_b32_e32 v17, v17, v18
	v_or3_b32 v15, v15, 0, 0
	v_or3_b32 v16, v17, v20, v16
.LBB6_171:                              ;   in Loop: Header=BB6_147 Depth=1
	s_or_b64 exec, exec, s[4:5]
	v_cmp_gt_u32_e32 vcc, 8, v19
                                        ; implicit-def: $vgpr17_vgpr18
                                        ; implicit-def: $sgpr18
	s_and_saveexec_b64 s[4:5], vcc
	s_xor_b64 s[4:5], exec, s[4:5]
	s_cbranch_execz .LBB6_177
; %bb.172:                              ;   in Loop: Header=BB6_147 Depth=1
	v_mov_b32_e32 v17, 0
	v_mov_b32_e32 v18, 0
	v_cmp_ne_u32_e32 vcc, 0, v19
	s_and_saveexec_b64 s[18:19], vcc
	s_cbranch_execz .LBB6_176
; %bb.173:                              ;   in Loop: Header=BB6_147 Depth=1
	v_mov_b32_e32 v17, 0
	s_mov_b64 s[20:21], 0
	v_mov_b32_e32 v18, 0
	s_mov_b64 s[22:23], 0
	s_mov_b64 s[24:25], 0
.LBB6_174:                              ;   Parent Loop BB6_147 Depth=1
                                        ; =>  This Inner Loop Header: Depth=2
	v_mov_b32_e32 v21, s25
	v_add_co_u32_e32 v20, vcc, s24, v9
	v_addc_co_u32_e32 v21, vcc, v10, v21, vcc
	flat_load_ubyte v20, v[20:21]
	s_add_u32 s24, s24, 1
	v_mov_b32_e32 v21, s15
	s_addc_u32 s25, s25, 0
	v_cmp_eq_u32_e32 vcc, s24, v19
	s_waitcnt vmcnt(0) lgkmcnt(0)
	v_and_b32_e32 v20, 0xffff, v20
	v_lshlrev_b64 v[20:21], s22, v[20:21]
	s_add_u32 s22, s22, 8
	s_addc_u32 s23, s23, 0
	v_or_b32_e32 v18, v21, v18
	s_or_b64 s[20:21], vcc, s[20:21]
	v_or_b32_e32 v17, v20, v17
	s_andn2_b64 exec, exec, s[20:21]
	s_cbranch_execnz .LBB6_174
; %bb.175:                              ;   in Loop: Header=BB6_147 Depth=1
	s_or_b64 exec, exec, s[20:21]
.LBB6_176:                              ;   in Loop: Header=BB6_147 Depth=1
	s_or_b64 exec, exec, s[18:19]
	s_mov_b32 s18, 0
                                        ; implicit-def: $vgpr19
.LBB6_177:                              ;   in Loop: Header=BB6_147 Depth=1
	s_or_saveexec_b64 s[4:5], s[4:5]
	v_mov_b32_e32 v21, s18
	s_xor_b64 exec, exec, s[4:5]
	s_cbranch_execz .LBB6_179
; %bb.178:                              ;   in Loop: Header=BB6_147 Depth=1
	flat_load_dwordx2 v[17:18], v[9:10]
	v_add_u32_e32 v21, -8, v19
	v_add_co_u32_e32 v9, vcc, 8, v9
	v_addc_co_u32_e32 v10, vcc, 0, v10, vcc
	s_waitcnt vmcnt(0) lgkmcnt(0)
	v_and_b32_e32 v19, 0xff, v18
	v_and_b32_e32 v20, 0xff00, v18
	;; [unrolled: 1-line block ×4, first 2 shown]
	v_or_b32_e32 v19, v19, v20
	v_or3_b32 v17, v17, 0, 0
	v_or3_b32 v18, v19, v22, v18
.LBB6_179:                              ;   in Loop: Header=BB6_147 Depth=1
	s_or_b64 exec, exec, s[4:5]
	v_cmp_gt_u32_e32 vcc, 8, v21
                                        ; implicit-def: $sgpr18
	s_and_saveexec_b64 s[4:5], vcc
	s_xor_b64 s[4:5], exec, s[4:5]
	s_cbranch_execz .LBB6_185
; %bb.180:                              ;   in Loop: Header=BB6_147 Depth=1
	v_mov_b32_e32 v19, 0
	v_mov_b32_e32 v20, 0
	v_cmp_ne_u32_e32 vcc, 0, v21
	s_and_saveexec_b64 s[18:19], vcc
	s_cbranch_execz .LBB6_184
; %bb.181:                              ;   in Loop: Header=BB6_147 Depth=1
	v_mov_b32_e32 v19, 0
	s_mov_b64 s[20:21], 0
	v_mov_b32_e32 v20, 0
	s_mov_b64 s[22:23], 0
	s_mov_b64 s[24:25], 0
.LBB6_182:                              ;   Parent Loop BB6_147 Depth=1
                                        ; =>  This Inner Loop Header: Depth=2
	v_mov_b32_e32 v23, s25
	v_add_co_u32_e32 v22, vcc, s24, v9
	v_addc_co_u32_e32 v23, vcc, v10, v23, vcc
	flat_load_ubyte v22, v[22:23]
	s_add_u32 s24, s24, 1
	v_mov_b32_e32 v23, s15
	s_addc_u32 s25, s25, 0
	v_cmp_eq_u32_e32 vcc, s24, v21
	s_waitcnt vmcnt(0) lgkmcnt(0)
	v_and_b32_e32 v22, 0xffff, v22
	v_lshlrev_b64 v[22:23], s22, v[22:23]
	s_add_u32 s22, s22, 8
	s_addc_u32 s23, s23, 0
	v_or_b32_e32 v20, v23, v20
	s_or_b64 s[20:21], vcc, s[20:21]
	v_or_b32_e32 v19, v22, v19
	s_andn2_b64 exec, exec, s[20:21]
	s_cbranch_execnz .LBB6_182
; %bb.183:                              ;   in Loop: Header=BB6_147 Depth=1
	s_or_b64 exec, exec, s[20:21]
.LBB6_184:                              ;   in Loop: Header=BB6_147 Depth=1
	s_or_b64 exec, exec, s[18:19]
	s_mov_b32 s18, 0
                                        ; implicit-def: $vgpr21
.LBB6_185:                              ;   in Loop: Header=BB6_147 Depth=1
	s_or_saveexec_b64 s[4:5], s[4:5]
	v_mov_b32_e32 v23, s18
	s_xor_b64 exec, exec, s[4:5]
	s_cbranch_execz .LBB6_187
; %bb.186:                              ;   in Loop: Header=BB6_147 Depth=1
	flat_load_dwordx2 v[19:20], v[9:10]
	v_add_u32_e32 v23, -8, v21
	v_add_co_u32_e32 v9, vcc, 8, v9
	v_addc_co_u32_e32 v10, vcc, 0, v10, vcc
	s_waitcnt vmcnt(0) lgkmcnt(0)
	v_and_b32_e32 v21, 0xff, v20
	v_and_b32_e32 v22, 0xff00, v20
	;; [unrolled: 1-line block ×4, first 2 shown]
	v_or_b32_e32 v21, v21, v22
	v_or3_b32 v19, v19, 0, 0
	v_or3_b32 v20, v21, v24, v20
.LBB6_187:                              ;   in Loop: Header=BB6_147 Depth=1
	s_or_b64 exec, exec, s[4:5]
	v_cmp_gt_u32_e32 vcc, 8, v23
                                        ; implicit-def: $vgpr21_vgpr22
                                        ; implicit-def: $sgpr18
	s_and_saveexec_b64 s[4:5], vcc
	s_xor_b64 s[4:5], exec, s[4:5]
	s_cbranch_execz .LBB6_193
; %bb.188:                              ;   in Loop: Header=BB6_147 Depth=1
	v_mov_b32_e32 v21, 0
	v_mov_b32_e32 v22, 0
	v_cmp_ne_u32_e32 vcc, 0, v23
	s_and_saveexec_b64 s[18:19], vcc
	s_cbranch_execz .LBB6_192
; %bb.189:                              ;   in Loop: Header=BB6_147 Depth=1
	v_mov_b32_e32 v21, 0
	s_mov_b64 s[20:21], 0
	v_mov_b32_e32 v22, 0
	s_mov_b64 s[22:23], 0
	s_mov_b64 s[24:25], 0
.LBB6_190:                              ;   Parent Loop BB6_147 Depth=1
                                        ; =>  This Inner Loop Header: Depth=2
	v_mov_b32_e32 v25, s25
	v_add_co_u32_e32 v24, vcc, s24, v9
	v_addc_co_u32_e32 v25, vcc, v10, v25, vcc
	flat_load_ubyte v24, v[24:25]
	s_add_u32 s24, s24, 1
	v_mov_b32_e32 v25, s15
	s_addc_u32 s25, s25, 0
	v_cmp_eq_u32_e32 vcc, s24, v23
	s_waitcnt vmcnt(0) lgkmcnt(0)
	v_and_b32_e32 v24, 0xffff, v24
	v_lshlrev_b64 v[24:25], s22, v[24:25]
	s_add_u32 s22, s22, 8
	s_addc_u32 s23, s23, 0
	v_or_b32_e32 v22, v25, v22
	s_or_b64 s[20:21], vcc, s[20:21]
	v_or_b32_e32 v21, v24, v21
	s_andn2_b64 exec, exec, s[20:21]
	s_cbranch_execnz .LBB6_190
; %bb.191:                              ;   in Loop: Header=BB6_147 Depth=1
	s_or_b64 exec, exec, s[20:21]
.LBB6_192:                              ;   in Loop: Header=BB6_147 Depth=1
	s_or_b64 exec, exec, s[18:19]
	s_mov_b32 s18, 0
                                        ; implicit-def: $vgpr23
.LBB6_193:                              ;   in Loop: Header=BB6_147 Depth=1
	s_or_saveexec_b64 s[4:5], s[4:5]
	v_mov_b32_e32 v25, s18
	s_xor_b64 exec, exec, s[4:5]
	s_cbranch_execz .LBB6_195
; %bb.194:                              ;   in Loop: Header=BB6_147 Depth=1
	flat_load_dwordx2 v[21:22], v[9:10]
	v_add_u32_e32 v25, -8, v23
	v_add_co_u32_e32 v9, vcc, 8, v9
	v_addc_co_u32_e32 v10, vcc, 0, v10, vcc
	s_waitcnt vmcnt(0) lgkmcnt(0)
	v_and_b32_e32 v23, 0xff, v22
	v_and_b32_e32 v24, 0xff00, v22
	;; [unrolled: 1-line block ×4, first 2 shown]
	v_or_b32_e32 v23, v23, v24
	v_or3_b32 v21, v21, 0, 0
	v_or3_b32 v22, v23, v26, v22
.LBB6_195:                              ;   in Loop: Header=BB6_147 Depth=1
	s_or_b64 exec, exec, s[4:5]
	v_cmp_gt_u32_e32 vcc, 8, v25
	s_and_saveexec_b64 s[4:5], vcc
	s_xor_b64 s[4:5], exec, s[4:5]
	s_cbranch_execz .LBB6_201
; %bb.196:                              ;   in Loop: Header=BB6_147 Depth=1
	v_mov_b32_e32 v23, 0
	v_mov_b32_e32 v24, 0
	v_cmp_ne_u32_e32 vcc, 0, v25
	s_and_saveexec_b64 s[18:19], vcc
	s_cbranch_execz .LBB6_200
; %bb.197:                              ;   in Loop: Header=BB6_147 Depth=1
	v_mov_b32_e32 v23, 0
	s_mov_b64 s[20:21], 0
	v_mov_b32_e32 v24, 0
	s_mov_b64 s[22:23], 0
.LBB6_198:                              ;   Parent Loop BB6_147 Depth=1
                                        ; =>  This Inner Loop Header: Depth=2
	flat_load_ubyte v26, v[9:10]
	v_mov_b32_e32 v27, s15
	v_add_co_u32_e32 v9, vcc, 1, v9
	v_add_u32_e32 v25, -1, v25
	v_addc_co_u32_e32 v10, vcc, 0, v10, vcc
	v_cmp_eq_u32_e32 vcc, 0, v25
	s_waitcnt vmcnt(0) lgkmcnt(0)
	v_and_b32_e32 v26, 0xffff, v26
	v_lshlrev_b64 v[26:27], s22, v[26:27]
	s_add_u32 s22, s22, 8
	s_addc_u32 s23, s23, 0
	v_or_b32_e32 v24, v27, v24
	s_or_b64 s[20:21], vcc, s[20:21]
	v_or_b32_e32 v23, v26, v23
	s_andn2_b64 exec, exec, s[20:21]
	s_cbranch_execnz .LBB6_198
; %bb.199:                              ;   in Loop: Header=BB6_147 Depth=1
	s_or_b64 exec, exec, s[20:21]
.LBB6_200:                              ;   in Loop: Header=BB6_147 Depth=1
	s_or_b64 exec, exec, s[18:19]
                                        ; implicit-def: $vgpr9_vgpr10
.LBB6_201:                              ;   in Loop: Header=BB6_147 Depth=1
	s_andn2_saveexec_b64 s[4:5], s[4:5]
	s_cbranch_execz .LBB6_203
; %bb.202:                              ;   in Loop: Header=BB6_147 Depth=1
	flat_load_dwordx2 v[9:10], v[9:10]
	s_waitcnt vmcnt(0) lgkmcnt(0)
	v_and_b32_e32 v23, 0xff, v10
	v_and_b32_e32 v24, 0xff00, v10
	;; [unrolled: 1-line block ×4, first 2 shown]
	v_or_b32_e32 v23, v23, v24
	v_or3_b32 v24, v23, v25, v10
	v_or3_b32 v23, v9, 0, 0
.LBB6_203:                              ;   in Loop: Header=BB6_147 Depth=1
	s_or_b64 exec, exec, s[4:5]
	v_readfirstlane_b32 s4, v51
	v_mov_b32_e32 v9, 0
	v_mov_b32_e32 v10, 0
	v_cmp_eq_u32_e64 s[4:5], s4, v51
	s_and_saveexec_b64 s[18:19], s[4:5]
	s_cbranch_execz .LBB6_209
; %bb.204:                              ;   in Loop: Header=BB6_147 Depth=1
	global_load_dwordx2 v[27:28], v32, s[44:45] offset:24 glc
	s_waitcnt vmcnt(0)
	buffer_wbinvl1_vol
	global_load_dwordx2 v[9:10], v32, s[44:45] offset:40
	global_load_dwordx2 v[25:26], v32, s[44:45]
	s_waitcnt vmcnt(1)
	v_and_b32_e32 v9, v9, v27
	v_and_b32_e32 v10, v10, v28
	v_mul_lo_u32 v10, v10, 24
	v_mul_hi_u32 v31, v9, 24
	v_mul_lo_u32 v9, v9, 24
	v_add_u32_e32 v10, v31, v10
	s_waitcnt vmcnt(0)
	v_add_co_u32_e32 v9, vcc, v25, v9
	v_addc_co_u32_e32 v10, vcc, v26, v10, vcc
	global_load_dwordx2 v[25:26], v[9:10], off glc
	s_waitcnt vmcnt(0)
	global_atomic_cmpswap_x2 v[9:10], v32, v[25:28], s[44:45] offset:24 glc
	s_waitcnt vmcnt(0)
	buffer_wbinvl1_vol
	v_cmp_ne_u64_e32 vcc, v[9:10], v[27:28]
	s_and_saveexec_b64 s[20:21], vcc
	s_cbranch_execz .LBB6_208
; %bb.205:                              ;   in Loop: Header=BB6_147 Depth=1
	s_mov_b64 s[22:23], 0
.LBB6_206:                              ;   Parent Loop BB6_147 Depth=1
                                        ; =>  This Inner Loop Header: Depth=2
	s_sleep 1
	global_load_dwordx2 v[25:26], v32, s[44:45] offset:40
	global_load_dwordx2 v[38:39], v32, s[44:45]
	v_mov_b32_e32 v28, v10
	v_mov_b32_e32 v27, v9
	s_waitcnt vmcnt(1)
	v_and_b32_e32 v9, v25, v27
	s_waitcnt vmcnt(0)
	v_mad_u64_u32 v[9:10], s[24:25], v9, 24, v[38:39]
	v_and_b32_e32 v25, v26, v28
	v_mad_u64_u32 v[25:26], s[24:25], v25, 24, v[10:11]
	v_mov_b32_e32 v10, v25
	global_load_dwordx2 v[25:26], v[9:10], off glc
	s_waitcnt vmcnt(0)
	global_atomic_cmpswap_x2 v[9:10], v32, v[25:28], s[44:45] offset:24 glc
	s_waitcnt vmcnt(0)
	buffer_wbinvl1_vol
	v_cmp_eq_u64_e32 vcc, v[9:10], v[27:28]
	s_or_b64 s[22:23], vcc, s[22:23]
	s_andn2_b64 exec, exec, s[22:23]
	s_cbranch_execnz .LBB6_206
; %bb.207:                              ;   in Loop: Header=BB6_147 Depth=1
	s_or_b64 exec, exec, s[22:23]
.LBB6_208:                              ;   in Loop: Header=BB6_147 Depth=1
	s_or_b64 exec, exec, s[20:21]
.LBB6_209:                              ;   in Loop: Header=BB6_147 Depth=1
	s_or_b64 exec, exec, s[18:19]
	global_load_dwordx2 v[38:39], v32, s[44:45] offset:40
	global_load_dwordx4 v[25:28], v32, s[44:45]
	v_readfirstlane_b32 s18, v9
	v_readfirstlane_b32 s19, v10
	s_mov_b64 s[20:21], exec
	s_waitcnt vmcnt(1)
	v_readfirstlane_b32 s22, v38
	v_readfirstlane_b32 s23, v39
	s_and_b64 s[22:23], s[18:19], s[22:23]
	s_mul_i32 s24, s23, 24
	s_mul_hi_u32 s25, s22, 24
	s_mul_i32 s27, s22, 24
	s_add_i32 s24, s25, s24
	v_mov_b32_e32 v9, s24
	s_waitcnt vmcnt(0)
	v_add_co_u32_e32 v38, vcc, s27, v25
	v_addc_co_u32_e32 v39, vcc, v26, v9, vcc
	s_and_saveexec_b64 s[24:25], s[4:5]
	s_cbranch_execz .LBB6_211
; %bb.210:                              ;   in Loop: Header=BB6_147 Depth=1
	v_mov_b32_e32 v9, s20
	v_mov_b32_e32 v10, s21
	global_store_dwordx4 v[38:39], v[9:12], off offset:8
.LBB6_211:                              ;   in Loop: Header=BB6_147 Depth=1
	s_or_b64 exec, exec, s[24:25]
	s_lshl_b64 s[20:21], s[22:23], 12
	v_mov_b32_e32 v9, s21
	v_add_co_u32_e32 v27, vcc, s20, v27
	v_addc_co_u32_e32 v28, vcc, v28, v9, vcc
	v_cmp_lt_u64_e32 vcc, 56, v[29:30]
	v_or_b32_e32 v9, 2, v0
	v_cndmask_b32_e32 v0, v9, v0, vcc
	v_lshl_add_u32 v9, v33, 2, 28
	v_and_b32_e32 v9, 0x1e0, v9
	v_and_or_b32 v0, v0, s26, v9
	v_readfirstlane_b32 s20, v27
	v_readfirstlane_b32 s21, v28
	s_nop 4
	global_store_dwordx4 v50, v[0:3], s[20:21]
	global_store_dwordx4 v50, v[13:16], s[20:21] offset:16
	global_store_dwordx4 v50, v[17:20], s[20:21] offset:32
	;; [unrolled: 1-line block ×3, first 2 shown]
	s_and_saveexec_b64 s[20:21], s[4:5]
	s_cbranch_execz .LBB6_219
; %bb.212:                              ;   in Loop: Header=BB6_147 Depth=1
	global_load_dwordx2 v[15:16], v32, s[44:45] offset:32 glc
	global_load_dwordx2 v[0:1], v32, s[44:45] offset:40
	v_mov_b32_e32 v13, s18
	v_mov_b32_e32 v14, s19
	s_waitcnt vmcnt(0)
	v_readfirstlane_b32 s22, v0
	v_readfirstlane_b32 s23, v1
	s_and_b64 s[22:23], s[22:23], s[18:19]
	s_mul_i32 s23, s23, 24
	s_mul_hi_u32 s24, s22, 24
	s_mul_i32 s22, s22, 24
	s_add_i32 s23, s24, s23
	v_mov_b32_e32 v0, s23
	v_add_co_u32_e32 v9, vcc, s22, v25
	v_addc_co_u32_e32 v10, vcc, v26, v0, vcc
	global_store_dwordx2 v[9:10], v[15:16], off
	s_waitcnt vmcnt(0)
	global_atomic_cmpswap_x2 v[2:3], v32, v[13:16], s[44:45] offset:32 glc
	s_waitcnt vmcnt(0)
	v_cmp_ne_u64_e32 vcc, v[2:3], v[15:16]
	s_and_saveexec_b64 s[22:23], vcc
	s_cbranch_execz .LBB6_215
; %bb.213:                              ;   in Loop: Header=BB6_147 Depth=1
	s_mov_b64 s[24:25], 0
.LBB6_214:                              ;   Parent Loop BB6_147 Depth=1
                                        ; =>  This Inner Loop Header: Depth=2
	s_sleep 1
	global_store_dwordx2 v[9:10], v[2:3], off
	v_mov_b32_e32 v0, s18
	v_mov_b32_e32 v1, s19
	s_waitcnt vmcnt(0)
	global_atomic_cmpswap_x2 v[0:1], v32, v[0:3], s[44:45] offset:32 glc
	s_waitcnt vmcnt(0)
	v_cmp_eq_u64_e32 vcc, v[0:1], v[2:3]
	v_mov_b32_e32 v3, v1
	s_or_b64 s[24:25], vcc, s[24:25]
	v_mov_b32_e32 v2, v0
	s_andn2_b64 exec, exec, s[24:25]
	s_cbranch_execnz .LBB6_214
.LBB6_215:                              ;   in Loop: Header=BB6_147 Depth=1
	s_or_b64 exec, exec, s[22:23]
	global_load_dwordx2 v[0:1], v32, s[44:45] offset:16
	s_mov_b64 s[24:25], exec
	v_mbcnt_lo_u32_b32 v2, s24, 0
	v_mbcnt_hi_u32_b32 v2, s25, v2
	v_cmp_eq_u32_e32 vcc, 0, v2
	s_and_saveexec_b64 s[22:23], vcc
	s_cbranch_execz .LBB6_217
; %bb.216:                              ;   in Loop: Header=BB6_147 Depth=1
	s_bcnt1_i32_b64 s24, s[24:25]
	v_mov_b32_e32 v31, s24
	s_waitcnt vmcnt(0)
	global_atomic_add_x2 v[0:1], v[31:32], off offset:8
.LBB6_217:                              ;   in Loop: Header=BB6_147 Depth=1
	s_or_b64 exec, exec, s[22:23]
	s_waitcnt vmcnt(0)
	global_load_dwordx2 v[2:3], v[0:1], off offset:16
	s_waitcnt vmcnt(0)
	v_cmp_eq_u64_e32 vcc, 0, v[2:3]
	s_cbranch_vccnz .LBB6_219
; %bb.218:                              ;   in Loop: Header=BB6_147 Depth=1
	global_load_dword v31, v[0:1], off offset:24
	s_waitcnt vmcnt(0)
	v_and_b32_e32 v0, 0xffffff, v31
	v_readfirstlane_b32 m0, v0
	global_store_dwordx2 v[2:3], v[31:32], off
	s_sendmsg sendmsg(MSG_INTERRUPT)
.LBB6_219:                              ;   in Loop: Header=BB6_147 Depth=1
	s_or_b64 exec, exec, s[20:21]
	v_add_co_u32_e32 v0, vcc, v27, v50
	v_addc_co_u32_e32 v1, vcc, 0, v28, vcc
	s_branch .LBB6_223
.LBB6_220:                              ;   in Loop: Header=BB6_223 Depth=2
	s_or_b64 exec, exec, s[20:21]
	v_readfirstlane_b32 s20, v2
	s_cmp_eq_u32 s20, 0
	s_cbranch_scc1 .LBB6_222
; %bb.221:                              ;   in Loop: Header=BB6_223 Depth=2
	s_sleep 1
	s_cbranch_execnz .LBB6_223
	s_branch .LBB6_225
.LBB6_222:                              ;   in Loop: Header=BB6_147 Depth=1
	s_branch .LBB6_225
.LBB6_223:                              ;   Parent Loop BB6_147 Depth=1
                                        ; =>  This Inner Loop Header: Depth=2
	v_mov_b32_e32 v2, 1
	s_and_saveexec_b64 s[20:21], s[4:5]
	s_cbranch_execz .LBB6_220
; %bb.224:                              ;   in Loop: Header=BB6_223 Depth=2
	global_load_dword v2, v[38:39], off offset:20 glc
	s_waitcnt vmcnt(0)
	buffer_wbinvl1_vol
	v_and_b32_e32 v2, 1, v2
	s_branch .LBB6_220
.LBB6_225:                              ;   in Loop: Header=BB6_147 Depth=1
	global_load_dwordx4 v[0:3], v[0:1], off
	s_and_saveexec_b64 s[20:21], s[4:5]
	s_cbranch_execz .LBB6_146
; %bb.226:                              ;   in Loop: Header=BB6_147 Depth=1
	global_load_dwordx2 v[2:3], v32, s[44:45] offset:40
	global_load_dwordx2 v[9:10], v32, s[44:45] offset:24 glc
	global_load_dwordx2 v[16:17], v32, s[44:45]
	v_mov_b32_e32 v14, s19
	s_waitcnt vmcnt(2)
	v_add_co_u32_e32 v15, vcc, 1, v2
	v_addc_co_u32_e32 v18, vcc, 0, v3, vcc
	v_add_co_u32_e32 v13, vcc, s18, v15
	v_addc_co_u32_e32 v14, vcc, v18, v14, vcc
	v_cmp_eq_u64_e32 vcc, 0, v[13:14]
	v_cndmask_b32_e32 v14, v14, v18, vcc
	v_cndmask_b32_e32 v13, v13, v15, vcc
	v_and_b32_e32 v3, v14, v3
	v_and_b32_e32 v2, v13, v2
	v_mul_lo_u32 v3, v3, 24
	v_mul_hi_u32 v18, v2, 24
	v_mul_lo_u32 v2, v2, 24
	s_waitcnt vmcnt(1)
	v_mov_b32_e32 v15, v9
	v_add_u32_e32 v3, v18, v3
	s_waitcnt vmcnt(0)
	v_add_co_u32_e32 v2, vcc, v16, v2
	v_addc_co_u32_e32 v3, vcc, v17, v3, vcc
	global_store_dwordx2 v[2:3], v[9:10], off
	v_mov_b32_e32 v16, v10
	s_waitcnt vmcnt(0)
	global_atomic_cmpswap_x2 v[15:16], v32, v[13:16], s[44:45] offset:24 glc
	s_waitcnt vmcnt(0)
	v_cmp_ne_u64_e32 vcc, v[15:16], v[9:10]
	s_and_b64 exec, exec, vcc
	s_cbranch_execz .LBB6_146
; %bb.227:                              ;   in Loop: Header=BB6_147 Depth=1
	s_mov_b64 s[4:5], 0
.LBB6_228:                              ;   Parent Loop BB6_147 Depth=1
                                        ; =>  This Inner Loop Header: Depth=2
	s_sleep 1
	global_store_dwordx2 v[2:3], v[15:16], off
	s_waitcnt vmcnt(0)
	global_atomic_cmpswap_x2 v[9:10], v32, v[13:16], s[44:45] offset:24 glc
	s_waitcnt vmcnt(0)
	v_cmp_eq_u64_e32 vcc, v[9:10], v[15:16]
	v_mov_b32_e32 v16, v10
	s_or_b64 s[4:5], vcc, s[4:5]
	v_mov_b32_e32 v15, v9
	s_andn2_b64 exec, exec, s[4:5]
	s_cbranch_execnz .LBB6_228
	s_branch .LBB6_146
.LBB6_229:
	s_or_b64 exec, exec, s[16:17]
                                        ; implicit-def: $vgpr0_vgpr1
	s_andn2_saveexec_b64 s[10:11], s[10:11]
	s_cbranch_execz .LBB6_256
.LBB6_230:
	v_readfirstlane_b32 s4, v51
	v_mov_b32_e32 v6, 0
	v_mov_b32_e32 v7, 0
	v_cmp_eq_u32_e64 s[4:5], s4, v51
	s_and_saveexec_b64 s[16:17], s[4:5]
	s_cbranch_execz .LBB6_236
; %bb.231:
	s_waitcnt vmcnt(0)
	v_mov_b32_e32 v2, 0
	global_load_dwordx2 v[11:12], v2, s[44:45] offset:24 glc
	s_waitcnt vmcnt(0)
	buffer_wbinvl1_vol
	global_load_dwordx2 v[6:7], v2, s[44:45] offset:40
	global_load_dwordx2 v[9:10], v2, s[44:45]
	s_waitcnt vmcnt(1)
	v_and_b32_e32 v3, v6, v11
	v_and_b32_e32 v6, v7, v12
	v_mul_lo_u32 v6, v6, 24
	v_mul_hi_u32 v7, v3, 24
	v_mul_lo_u32 v3, v3, 24
	v_add_u32_e32 v7, v7, v6
	s_waitcnt vmcnt(0)
	v_add_co_u32_e32 v6, vcc, v9, v3
	v_addc_co_u32_e32 v7, vcc, v10, v7, vcc
	global_load_dwordx2 v[9:10], v[6:7], off glc
	s_waitcnt vmcnt(0)
	global_atomic_cmpswap_x2 v[6:7], v2, v[9:12], s[44:45] offset:24 glc
	s_waitcnt vmcnt(0)
	buffer_wbinvl1_vol
	v_cmp_ne_u64_e32 vcc, v[6:7], v[11:12]
	s_and_saveexec_b64 s[18:19], vcc
	s_cbranch_execz .LBB6_235
; %bb.232:
	s_mov_b64 s[20:21], 0
.LBB6_233:                              ; =>This Inner Loop Header: Depth=1
	s_sleep 1
	global_load_dwordx2 v[9:10], v2, s[44:45] offset:40
	global_load_dwordx2 v[13:14], v2, s[44:45]
	v_mov_b32_e32 v12, v7
	v_mov_b32_e32 v11, v6
	s_waitcnt vmcnt(1)
	v_and_b32_e32 v3, v9, v11
	s_waitcnt vmcnt(0)
	v_mad_u64_u32 v[6:7], s[22:23], v3, 24, v[13:14]
	v_and_b32_e32 v9, v10, v12
	v_mov_b32_e32 v3, v7
	v_mad_u64_u32 v[9:10], s[22:23], v9, 24, v[3:4]
	v_mov_b32_e32 v7, v9
	global_load_dwordx2 v[9:10], v[6:7], off glc
	s_waitcnt vmcnt(0)
	global_atomic_cmpswap_x2 v[6:7], v2, v[9:12], s[44:45] offset:24 glc
	s_waitcnt vmcnt(0)
	buffer_wbinvl1_vol
	v_cmp_eq_u64_e32 vcc, v[6:7], v[11:12]
	s_or_b64 s[20:21], vcc, s[20:21]
	s_andn2_b64 exec, exec, s[20:21]
	s_cbranch_execnz .LBB6_233
; %bb.234:
	s_or_b64 exec, exec, s[20:21]
.LBB6_235:
	s_or_b64 exec, exec, s[18:19]
.LBB6_236:
	s_or_b64 exec, exec, s[16:17]
	s_waitcnt vmcnt(0)
	v_mov_b32_e32 v2, 0
	global_load_dwordx2 v[13:14], v2, s[44:45] offset:40
	global_load_dwordx4 v[9:12], v2, s[44:45]
	v_readfirstlane_b32 s16, v6
	v_readfirstlane_b32 s17, v7
	s_mov_b64 s[18:19], exec
	s_waitcnt vmcnt(1)
	v_readfirstlane_b32 s20, v13
	v_readfirstlane_b32 s21, v14
	s_and_b64 s[20:21], s[16:17], s[20:21]
	s_mul_i32 s15, s21, 24
	s_mul_hi_u32 s22, s20, 24
	s_mul_i32 s23, s20, 24
	s_add_i32 s15, s22, s15
	v_mov_b32_e32 v3, s15
	s_waitcnt vmcnt(0)
	v_add_co_u32_e32 v6, vcc, s23, v9
	v_addc_co_u32_e32 v7, vcc, v10, v3, vcc
	s_and_saveexec_b64 s[22:23], s[4:5]
	s_cbranch_execz .LBB6_238
; %bb.237:
	v_mov_b32_e32 v13, s18
	v_mov_b32_e32 v14, s19
	;; [unrolled: 1-line block ×4, first 2 shown]
	global_store_dwordx4 v[6:7], v[13:16], off offset:8
.LBB6_238:
	s_or_b64 exec, exec, s[22:23]
	s_lshl_b64 s[18:19], s[20:21], 12
	v_mov_b32_e32 v3, s19
	v_add_co_u32_e32 v11, vcc, s18, v11
	v_addc_co_u32_e32 v12, vcc, v12, v3, vcc
	s_movk_i32 s15, 0xff1d
	v_and_or_b32 v0, v0, s15, 34
	s_mov_b32 s20, 0
	v_mov_b32_e32 v3, v2
	v_readfirstlane_b32 s18, v11
	v_readfirstlane_b32 s19, v12
	s_mov_b32 s21, s20
	s_mov_b32 s22, s20
	;; [unrolled: 1-line block ×3, first 2 shown]
	s_nop 1
	global_store_dwordx4 v50, v[0:3], s[18:19]
	s_nop 0
	v_mov_b32_e32 v0, s20
	v_mov_b32_e32 v1, s21
	v_mov_b32_e32 v2, s22
	v_mov_b32_e32 v3, s23
	global_store_dwordx4 v50, v[0:3], s[18:19] offset:16
	global_store_dwordx4 v50, v[0:3], s[18:19] offset:32
	global_store_dwordx4 v50, v[0:3], s[18:19] offset:48
	s_and_saveexec_b64 s[18:19], s[4:5]
	s_cbranch_execz .LBB6_246
; %bb.239:
	v_mov_b32_e32 v11, 0
	global_load_dwordx2 v[14:15], v11, s[44:45] offset:32 glc
	global_load_dwordx2 v[0:1], v11, s[44:45] offset:40
	v_mov_b32_e32 v12, s16
	v_mov_b32_e32 v13, s17
	s_waitcnt vmcnt(0)
	v_readfirstlane_b32 s20, v0
	v_readfirstlane_b32 s21, v1
	s_and_b64 s[20:21], s[20:21], s[16:17]
	s_mul_i32 s15, s21, 24
	s_mul_hi_u32 s21, s20, 24
	s_mul_i32 s20, s20, 24
	s_add_i32 s15, s21, s15
	v_mov_b32_e32 v0, s15
	v_add_co_u32_e32 v9, vcc, s20, v9
	v_addc_co_u32_e32 v10, vcc, v10, v0, vcc
	global_store_dwordx2 v[9:10], v[14:15], off
	s_waitcnt vmcnt(0)
	global_atomic_cmpswap_x2 v[2:3], v11, v[12:15], s[44:45] offset:32 glc
	s_waitcnt vmcnt(0)
	v_cmp_ne_u64_e32 vcc, v[2:3], v[14:15]
	s_and_saveexec_b64 s[20:21], vcc
	s_cbranch_execz .LBB6_242
; %bb.240:
	s_mov_b64 s[22:23], 0
.LBB6_241:                              ; =>This Inner Loop Header: Depth=1
	s_sleep 1
	global_store_dwordx2 v[9:10], v[2:3], off
	v_mov_b32_e32 v0, s16
	v_mov_b32_e32 v1, s17
	s_waitcnt vmcnt(0)
	global_atomic_cmpswap_x2 v[0:1], v11, v[0:3], s[44:45] offset:32 glc
	s_waitcnt vmcnt(0)
	v_cmp_eq_u64_e32 vcc, v[0:1], v[2:3]
	v_mov_b32_e32 v3, v1
	s_or_b64 s[22:23], vcc, s[22:23]
	v_mov_b32_e32 v2, v0
	s_andn2_b64 exec, exec, s[22:23]
	s_cbranch_execnz .LBB6_241
.LBB6_242:
	s_or_b64 exec, exec, s[20:21]
	v_mov_b32_e32 v3, 0
	global_load_dwordx2 v[0:1], v3, s[44:45] offset:16
	s_mov_b64 s[20:21], exec
	v_mbcnt_lo_u32_b32 v2, s20, 0
	v_mbcnt_hi_u32_b32 v2, s21, v2
	v_cmp_eq_u32_e32 vcc, 0, v2
	s_and_saveexec_b64 s[22:23], vcc
	s_cbranch_execz .LBB6_244
; %bb.243:
	s_bcnt1_i32_b64 s15, s[20:21]
	v_mov_b32_e32 v2, s15
	s_waitcnt vmcnt(0)
	global_atomic_add_x2 v[0:1], v[2:3], off offset:8
.LBB6_244:
	s_or_b64 exec, exec, s[22:23]
	s_waitcnt vmcnt(0)
	global_load_dwordx2 v[2:3], v[0:1], off offset:16
	s_waitcnt vmcnt(0)
	v_cmp_eq_u64_e32 vcc, 0, v[2:3]
	s_cbranch_vccnz .LBB6_246
; %bb.245:
	global_load_dword v0, v[0:1], off offset:24
	v_mov_b32_e32 v1, 0
	s_waitcnt vmcnt(0)
	global_store_dwordx2 v[2:3], v[0:1], off
	v_and_b32_e32 v0, 0xffffff, v0
	v_readfirstlane_b32 m0, v0
	s_sendmsg sendmsg(MSG_INTERRUPT)
.LBB6_246:
	s_or_b64 exec, exec, s[18:19]
	s_branch .LBB6_250
.LBB6_247:                              ;   in Loop: Header=BB6_250 Depth=1
	s_or_b64 exec, exec, s[18:19]
	v_readfirstlane_b32 s15, v0
	s_cmp_eq_u32 s15, 0
	s_cbranch_scc1 .LBB6_249
; %bb.248:                              ;   in Loop: Header=BB6_250 Depth=1
	s_sleep 1
	s_cbranch_execnz .LBB6_250
	s_branch .LBB6_252
.LBB6_249:
	s_branch .LBB6_252
.LBB6_250:                              ; =>This Inner Loop Header: Depth=1
	v_mov_b32_e32 v0, 1
	s_and_saveexec_b64 s[18:19], s[4:5]
	s_cbranch_execz .LBB6_247
; %bb.251:                              ;   in Loop: Header=BB6_250 Depth=1
	global_load_dword v0, v[6:7], off offset:20 glc
	s_waitcnt vmcnt(0)
	buffer_wbinvl1_vol
	v_and_b32_e32 v0, 1, v0
	s_branch .LBB6_247
.LBB6_252:
	s_and_saveexec_b64 s[18:19], s[4:5]
	s_cbranch_execz .LBB6_255
; %bb.253:
	v_mov_b32_e32 v9, 0
	global_load_dwordx2 v[2:3], v9, s[44:45] offset:40
	global_load_dwordx2 v[10:11], v9, s[44:45] offset:24 glc
	global_load_dwordx2 v[6:7], v9, s[44:45]
	v_mov_b32_e32 v1, s17
	s_mov_b64 s[4:5], 0
	s_waitcnt vmcnt(2)
	v_add_co_u32_e32 v12, vcc, 1, v2
	v_addc_co_u32_e32 v13, vcc, 0, v3, vcc
	v_add_co_u32_e32 v0, vcc, s16, v12
	v_addc_co_u32_e32 v1, vcc, v13, v1, vcc
	v_cmp_eq_u64_e32 vcc, 0, v[0:1]
	v_cndmask_b32_e32 v1, v1, v13, vcc
	v_cndmask_b32_e32 v0, v0, v12, vcc
	v_and_b32_e32 v3, v1, v3
	v_and_b32_e32 v2, v0, v2
	v_mul_lo_u32 v3, v3, 24
	v_mul_hi_u32 v12, v2, 24
	v_mul_lo_u32 v13, v2, 24
	s_waitcnt vmcnt(1)
	v_mov_b32_e32 v2, v10
	v_add_u32_e32 v3, v12, v3
	s_waitcnt vmcnt(0)
	v_add_co_u32_e32 v6, vcc, v6, v13
	v_addc_co_u32_e32 v7, vcc, v7, v3, vcc
	global_store_dwordx2 v[6:7], v[10:11], off
	v_mov_b32_e32 v3, v11
	s_waitcnt vmcnt(0)
	global_atomic_cmpswap_x2 v[2:3], v9, v[0:3], s[44:45] offset:24 glc
	s_waitcnt vmcnt(0)
	v_cmp_ne_u64_e32 vcc, v[2:3], v[10:11]
	s_and_b64 exec, exec, vcc
	s_cbranch_execz .LBB6_255
.LBB6_254:                              ; =>This Inner Loop Header: Depth=1
	s_sleep 1
	global_store_dwordx2 v[6:7], v[2:3], off
	s_waitcnt vmcnt(0)
	global_atomic_cmpswap_x2 v[10:11], v9, v[0:3], s[44:45] offset:24 glc
	s_waitcnt vmcnt(0)
	v_cmp_eq_u64_e32 vcc, v[10:11], v[2:3]
	v_mov_b32_e32 v2, v10
	s_or_b64 s[4:5], vcc, s[4:5]
	v_mov_b32_e32 v3, v11
	s_andn2_b64 exec, exec, s[4:5]
	s_cbranch_execnz .LBB6_254
.LBB6_255:
	s_or_b64 exec, exec, s[18:19]
.LBB6_256:
	s_or_b64 exec, exec, s[10:11]
	v_readfirstlane_b32 s4, v51
	v_mov_b32_e32 v6, 0
	v_mov_b32_e32 v7, 0
	v_cmp_eq_u32_e64 s[4:5], s4, v51
	s_and_saveexec_b64 s[10:11], s[4:5]
	s_cbranch_execz .LBB6_262
; %bb.257:
	s_waitcnt vmcnt(0)
	v_mov_b32_e32 v0, 0
	global_load_dwordx2 v[11:12], v0, s[44:45] offset:24 glc
	s_waitcnt vmcnt(0)
	buffer_wbinvl1_vol
	global_load_dwordx2 v[1:2], v0, s[44:45] offset:40
	global_load_dwordx2 v[6:7], v0, s[44:45]
	s_waitcnt vmcnt(1)
	v_and_b32_e32 v1, v1, v11
	v_and_b32_e32 v2, v2, v12
	v_mul_lo_u32 v2, v2, 24
	v_mul_hi_u32 v3, v1, 24
	v_mul_lo_u32 v1, v1, 24
	v_add_u32_e32 v2, v3, v2
	s_waitcnt vmcnt(0)
	v_add_co_u32_e32 v1, vcc, v6, v1
	v_addc_co_u32_e32 v2, vcc, v7, v2, vcc
	global_load_dwordx2 v[9:10], v[1:2], off glc
	s_waitcnt vmcnt(0)
	global_atomic_cmpswap_x2 v[6:7], v0, v[9:12], s[44:45] offset:24 glc
	s_waitcnt vmcnt(0)
	buffer_wbinvl1_vol
	v_cmp_ne_u64_e32 vcc, v[6:7], v[11:12]
	s_and_saveexec_b64 s[16:17], vcc
	s_cbranch_execz .LBB6_261
; %bb.258:
	s_mov_b64 s[18:19], 0
.LBB6_259:                              ; =>This Inner Loop Header: Depth=1
	s_sleep 1
	global_load_dwordx2 v[1:2], v0, s[44:45] offset:40
	global_load_dwordx2 v[9:10], v0, s[44:45]
	v_mov_b32_e32 v12, v7
	v_mov_b32_e32 v11, v6
	s_waitcnt vmcnt(1)
	v_and_b32_e32 v1, v1, v11
	s_waitcnt vmcnt(0)
	v_mad_u64_u32 v[6:7], s[20:21], v1, 24, v[9:10]
	v_and_b32_e32 v2, v2, v12
	v_mov_b32_e32 v1, v7
	v_mad_u64_u32 v[1:2], s[20:21], v2, 24, v[1:2]
	v_mov_b32_e32 v7, v1
	global_load_dwordx2 v[9:10], v[6:7], off glc
	s_waitcnt vmcnt(0)
	global_atomic_cmpswap_x2 v[6:7], v0, v[9:12], s[44:45] offset:24 glc
	s_waitcnt vmcnt(0)
	buffer_wbinvl1_vol
	v_cmp_eq_u64_e32 vcc, v[6:7], v[11:12]
	s_or_b64 s[18:19], vcc, s[18:19]
	s_andn2_b64 exec, exec, s[18:19]
	s_cbranch_execnz .LBB6_259
; %bb.260:
	s_or_b64 exec, exec, s[18:19]
.LBB6_261:
	s_or_b64 exec, exec, s[16:17]
.LBB6_262:
	s_or_b64 exec, exec, s[10:11]
	s_waitcnt vmcnt(0)
	v_mov_b32_e32 v10, 0
	global_load_dwordx2 v[11:12], v10, s[44:45] offset:40
	global_load_dwordx4 v[0:3], v10, s[44:45]
	v_readfirstlane_b32 s10, v6
	v_readfirstlane_b32 s11, v7
	s_mov_b64 s[16:17], exec
	s_waitcnt vmcnt(1)
	v_readfirstlane_b32 s18, v11
	v_readfirstlane_b32 s19, v12
	s_and_b64 s[18:19], s[10:11], s[18:19]
	s_mul_i32 s15, s19, 24
	s_mul_hi_u32 s20, s18, 24
	s_mul_i32 s21, s18, 24
	s_add_i32 s15, s20, s15
	v_mov_b32_e32 v7, s15
	s_waitcnt vmcnt(0)
	v_add_co_u32_e32 v6, vcc, s21, v0
	v_addc_co_u32_e32 v7, vcc, v1, v7, vcc
	s_and_saveexec_b64 s[20:21], s[4:5]
	s_cbranch_execz .LBB6_264
; %bb.263:
	v_mov_b32_e32 v11, s16
	v_mov_b32_e32 v12, s17
	;; [unrolled: 1-line block ×4, first 2 shown]
	global_store_dwordx4 v[6:7], v[11:14], off offset:8
.LBB6_264:
	s_or_b64 exec, exec, s[20:21]
	s_lshl_b64 s[16:17], s[18:19], 12
	v_mov_b32_e32 v9, s17
	v_add_co_u32_e32 v2, vcc, s16, v2
	v_addc_co_u32_e32 v3, vcc, v3, v9, vcc
	s_mov_b32 s16, 0
	v_mov_b32_e32 v9, 33
	v_mov_b32_e32 v11, v10
	;; [unrolled: 1-line block ×3, first 2 shown]
	v_readfirstlane_b32 s20, v2
	v_readfirstlane_b32 s21, v3
	v_add_co_u32_e32 v13, vcc, v2, v50
	s_mov_b32 s17, s16
	s_mov_b32 s18, s16
	;; [unrolled: 1-line block ×3, first 2 shown]
	s_nop 0
	global_store_dwordx4 v50, v[9:12], s[20:21]
	v_addc_co_u32_e32 v14, vcc, 0, v3, vcc
	v_mov_b32_e32 v9, s16
	v_mov_b32_e32 v10, s17
	;; [unrolled: 1-line block ×4, first 2 shown]
	global_store_dwordx4 v50, v[9:12], s[20:21] offset:16
	global_store_dwordx4 v50, v[9:12], s[20:21] offset:32
	;; [unrolled: 1-line block ×3, first 2 shown]
	s_and_saveexec_b64 s[16:17], s[4:5]
	s_cbranch_execz .LBB6_272
; %bb.265:
	v_mov_b32_e32 v11, 0
	global_load_dwordx2 v[17:18], v11, s[44:45] offset:32 glc
	global_load_dwordx2 v[2:3], v11, s[44:45] offset:40
	v_mov_b32_e32 v15, s10
	v_mov_b32_e32 v16, s11
	s_waitcnt vmcnt(0)
	v_readfirstlane_b32 s18, v2
	v_readfirstlane_b32 s19, v3
	s_and_b64 s[18:19], s[18:19], s[10:11]
	s_mul_i32 s15, s19, 24
	s_mul_hi_u32 s19, s18, 24
	s_mul_i32 s18, s18, 24
	s_add_i32 s15, s19, s15
	v_mov_b32_e32 v2, s15
	v_add_co_u32_e32 v9, vcc, s18, v0
	v_addc_co_u32_e32 v10, vcc, v1, v2, vcc
	global_store_dwordx2 v[9:10], v[17:18], off
	s_waitcnt vmcnt(0)
	global_atomic_cmpswap_x2 v[2:3], v11, v[15:18], s[44:45] offset:32 glc
	s_waitcnt vmcnt(0)
	v_cmp_ne_u64_e32 vcc, v[2:3], v[17:18]
	s_and_saveexec_b64 s[18:19], vcc
	s_cbranch_execz .LBB6_268
; %bb.266:
	s_mov_b64 s[20:21], 0
.LBB6_267:                              ; =>This Inner Loop Header: Depth=1
	s_sleep 1
	global_store_dwordx2 v[9:10], v[2:3], off
	v_mov_b32_e32 v0, s10
	v_mov_b32_e32 v1, s11
	s_waitcnt vmcnt(0)
	global_atomic_cmpswap_x2 v[0:1], v11, v[0:3], s[44:45] offset:32 glc
	s_waitcnt vmcnt(0)
	v_cmp_eq_u64_e32 vcc, v[0:1], v[2:3]
	v_mov_b32_e32 v3, v1
	s_or_b64 s[20:21], vcc, s[20:21]
	v_mov_b32_e32 v2, v0
	s_andn2_b64 exec, exec, s[20:21]
	s_cbranch_execnz .LBB6_267
.LBB6_268:
	s_or_b64 exec, exec, s[18:19]
	v_mov_b32_e32 v3, 0
	global_load_dwordx2 v[0:1], v3, s[44:45] offset:16
	s_mov_b64 s[18:19], exec
	v_mbcnt_lo_u32_b32 v2, s18, 0
	v_mbcnt_hi_u32_b32 v2, s19, v2
	v_cmp_eq_u32_e32 vcc, 0, v2
	s_and_saveexec_b64 s[20:21], vcc
	s_cbranch_execz .LBB6_270
; %bb.269:
	s_bcnt1_i32_b64 s15, s[18:19]
	v_mov_b32_e32 v2, s15
	s_waitcnt vmcnt(0)
	global_atomic_add_x2 v[0:1], v[2:3], off offset:8
.LBB6_270:
	s_or_b64 exec, exec, s[20:21]
	s_waitcnt vmcnt(0)
	global_load_dwordx2 v[2:3], v[0:1], off offset:16
	s_waitcnt vmcnt(0)
	v_cmp_eq_u64_e32 vcc, 0, v[2:3]
	s_cbranch_vccnz .LBB6_272
; %bb.271:
	global_load_dword v0, v[0:1], off offset:24
	v_mov_b32_e32 v1, 0
	s_waitcnt vmcnt(0)
	global_store_dwordx2 v[2:3], v[0:1], off
	v_and_b32_e32 v0, 0xffffff, v0
	v_readfirstlane_b32 m0, v0
	s_sendmsg sendmsg(MSG_INTERRUPT)
.LBB6_272:
	s_or_b64 exec, exec, s[16:17]
	s_branch .LBB6_276
.LBB6_273:                              ;   in Loop: Header=BB6_276 Depth=1
	s_or_b64 exec, exec, s[16:17]
	v_readfirstlane_b32 s15, v0
	s_cmp_eq_u32 s15, 0
	s_cbranch_scc1 .LBB6_275
; %bb.274:                              ;   in Loop: Header=BB6_276 Depth=1
	s_sleep 1
	s_cbranch_execnz .LBB6_276
	s_branch .LBB6_278
.LBB6_275:
	s_branch .LBB6_278
.LBB6_276:                              ; =>This Inner Loop Header: Depth=1
	v_mov_b32_e32 v0, 1
	s_and_saveexec_b64 s[16:17], s[4:5]
	s_cbranch_execz .LBB6_273
; %bb.277:                              ;   in Loop: Header=BB6_276 Depth=1
	global_load_dword v0, v[6:7], off offset:20 glc
	s_waitcnt vmcnt(0)
	buffer_wbinvl1_vol
	v_and_b32_e32 v0, 1, v0
	s_branch .LBB6_273
.LBB6_278:
	global_load_dwordx2 v[0:1], v[13:14], off
	s_and_saveexec_b64 s[16:17], s[4:5]
	s_cbranch_execz .LBB6_281
; %bb.279:
	v_mov_b32_e32 v6, 0
	global_load_dwordx2 v[2:3], v6, s[44:45] offset:40
	global_load_dwordx2 v[13:14], v6, s[44:45] offset:24 glc
	global_load_dwordx2 v[15:16], v6, s[44:45]
	v_mov_b32_e32 v7, s11
	s_mov_b64 s[4:5], 0
	s_waitcnt vmcnt(2)
	v_add_co_u32_e32 v11, vcc, 1, v2
	v_addc_co_u32_e32 v12, vcc, 0, v3, vcc
	v_add_co_u32_e32 v9, vcc, s10, v11
	v_addc_co_u32_e32 v10, vcc, v12, v7, vcc
	v_cmp_eq_u64_e32 vcc, 0, v[9:10]
	v_cndmask_b32_e32 v10, v10, v12, vcc
	v_cndmask_b32_e32 v9, v9, v11, vcc
	v_and_b32_e32 v3, v10, v3
	v_and_b32_e32 v2, v9, v2
	v_mul_lo_u32 v3, v3, 24
	v_mul_hi_u32 v7, v2, 24
	v_mul_lo_u32 v2, v2, 24
	s_waitcnt vmcnt(1)
	v_mov_b32_e32 v11, v13
	v_mov_b32_e32 v12, v14
	v_add_u32_e32 v3, v7, v3
	s_waitcnt vmcnt(0)
	v_add_co_u32_e32 v2, vcc, v15, v2
	v_addc_co_u32_e32 v3, vcc, v16, v3, vcc
	global_store_dwordx2 v[2:3], v[13:14], off
	s_waitcnt vmcnt(0)
	global_atomic_cmpswap_x2 v[11:12], v6, v[9:12], s[44:45] offset:24 glc
	s_waitcnt vmcnt(0)
	v_cmp_ne_u64_e32 vcc, v[11:12], v[13:14]
	s_and_b64 exec, exec, vcc
	s_cbranch_execz .LBB6_281
.LBB6_280:                              ; =>This Inner Loop Header: Depth=1
	s_sleep 1
	global_store_dwordx2 v[2:3], v[11:12], off
	s_waitcnt vmcnt(0)
	global_atomic_cmpswap_x2 v[13:14], v6, v[9:12], s[44:45] offset:24 glc
	s_waitcnt vmcnt(0)
	v_cmp_eq_u64_e32 vcc, v[13:14], v[11:12]
	v_mov_b32_e32 v11, v13
	s_or_b64 s[4:5], vcc, s[4:5]
	v_mov_b32_e32 v12, v14
	s_andn2_b64 exec, exec, s[4:5]
	s_cbranch_execnz .LBB6_280
.LBB6_281:
	s_or_b64 exec, exec, s[16:17]
	s_getpc_b64 s[10:11]
	s_add_u32 s10, s10, .str.8@rel32@lo+4
	s_addc_u32 s11, s11, .str.8@rel32@hi+12
	s_cmp_lg_u64 s[10:11], 0
	s_cselect_b64 s[46:47], -1, 0
	s_and_b64 vcc, exec, s[46:47]
	s_cbranch_vccz .LBB6_366
; %bb.282:
	s_waitcnt vmcnt(0)
	v_and_b32_e32 v35, 2, v0
	v_mov_b32_e32 v3, 0
	v_and_b32_e32 v9, -3, v0
	v_mov_b32_e32 v10, v1
	s_mov_b64 s[16:17], 3
	v_mov_b32_e32 v13, 2
	v_mov_b32_e32 v14, 1
	s_branch .LBB6_284
.LBB6_283:                              ;   in Loop: Header=BB6_284 Depth=1
	s_or_b64 exec, exec, s[22:23]
	s_sub_u32 s16, s16, s18
	s_subb_u32 s17, s17, s19
	s_add_u32 s10, s10, s18
	s_addc_u32 s11, s11, s19
	s_cmp_lg_u64 s[16:17], 0
	s_cbranch_scc0 .LBB6_365
.LBB6_284:                              ; =>This Loop Header: Depth=1
                                        ;     Child Loop BB6_287 Depth 2
                                        ;     Child Loop BB6_294 Depth 2
	;; [unrolled: 1-line block ×11, first 2 shown]
	v_cmp_lt_u64_e64 s[4:5], s[16:17], 56
	v_cmp_gt_u64_e64 s[20:21], s[16:17], 7
	s_and_b64 s[4:5], s[4:5], exec
	s_cselect_b32 s19, s17, 0
	s_cselect_b32 s18, s16, 56
	s_and_b64 vcc, exec, s[20:21]
	s_cbranch_vccnz .LBB6_289
; %bb.285:                              ;   in Loop: Header=BB6_284 Depth=1
	v_mov_b32_e32 v17, 0
	s_cmp_eq_u64 s[16:17], 0
	v_mov_b32_e32 v18, 0
	s_mov_b64 s[4:5], 0
	s_cbranch_scc1 .LBB6_288
; %bb.286:                              ;   in Loop: Header=BB6_284 Depth=1
	v_mov_b32_e32 v17, 0
	s_lshl_b64 s[20:21], s[18:19], 3
	s_mov_b64 s[22:23], 0
	v_mov_b32_e32 v18, 0
	s_mov_b64 s[24:25], s[10:11]
.LBB6_287:                              ;   Parent Loop BB6_284 Depth=1
                                        ; =>  This Inner Loop Header: Depth=2
	global_load_ubyte v2, v3, s[24:25]
	s_waitcnt vmcnt(0)
	v_and_b32_e32 v2, 0xffff, v2
	v_lshlrev_b64 v[6:7], s22, v[2:3]
	s_add_u32 s22, s22, 8
	s_addc_u32 s23, s23, 0
	s_add_u32 s24, s24, 1
	s_addc_u32 s25, s25, 0
	v_or_b32_e32 v17, v6, v17
	s_cmp_lg_u32 s20, s22
	v_or_b32_e32 v18, v7, v18
	s_cbranch_scc1 .LBB6_287
.LBB6_288:                              ;   in Loop: Header=BB6_284 Depth=1
	s_mov_b32 s15, 0
	s_andn2_b64 vcc, exec, s[4:5]
	s_mov_b64 s[4:5], s[10:11]
	s_cbranch_vccz .LBB6_290
	s_branch .LBB6_291
.LBB6_289:                              ;   in Loop: Header=BB6_284 Depth=1
                                        ; implicit-def: $vgpr17_vgpr18
                                        ; implicit-def: $sgpr15
	s_mov_b64 s[4:5], s[10:11]
.LBB6_290:                              ;   in Loop: Header=BB6_284 Depth=1
	global_load_dwordx2 v[17:18], v3, s[10:11]
	s_add_i32 s15, s18, -8
	s_add_u32 s4, s10, 8
	s_addc_u32 s5, s11, 0
.LBB6_291:                              ;   in Loop: Header=BB6_284 Depth=1
	s_cmp_gt_u32 s15, 7
	s_cbranch_scc1 .LBB6_295
; %bb.292:                              ;   in Loop: Header=BB6_284 Depth=1
	s_cmp_eq_u32 s15, 0
	s_cbranch_scc1 .LBB6_296
; %bb.293:                              ;   in Loop: Header=BB6_284 Depth=1
	v_mov_b32_e32 v19, 0
	s_mov_b64 s[20:21], 0
	v_mov_b32_e32 v20, 0
	s_mov_b64 s[22:23], 0
.LBB6_294:                              ;   Parent Loop BB6_284 Depth=1
                                        ; =>  This Inner Loop Header: Depth=2
	s_add_u32 s24, s4, s22
	s_addc_u32 s25, s5, s23
	global_load_ubyte v2, v3, s[24:25]
	s_add_u32 s22, s22, 1
	s_addc_u32 s23, s23, 0
	s_waitcnt vmcnt(0)
	v_and_b32_e32 v2, 0xffff, v2
	v_lshlrev_b64 v[6:7], s20, v[2:3]
	s_add_u32 s20, s20, 8
	s_addc_u32 s21, s21, 0
	v_or_b32_e32 v19, v6, v19
	s_cmp_lg_u32 s15, s22
	v_or_b32_e32 v20, v7, v20
	s_cbranch_scc1 .LBB6_294
	s_branch .LBB6_297
.LBB6_295:                              ;   in Loop: Header=BB6_284 Depth=1
                                        ; implicit-def: $vgpr19_vgpr20
                                        ; implicit-def: $sgpr24
	s_branch .LBB6_298
.LBB6_296:                              ;   in Loop: Header=BB6_284 Depth=1
	v_mov_b32_e32 v19, 0
	v_mov_b32_e32 v20, 0
.LBB6_297:                              ;   in Loop: Header=BB6_284 Depth=1
	s_mov_b32 s24, 0
	s_cbranch_execnz .LBB6_299
.LBB6_298:                              ;   in Loop: Header=BB6_284 Depth=1
	global_load_dwordx2 v[19:20], v3, s[4:5]
	s_add_i32 s24, s15, -8
	s_add_u32 s4, s4, 8
	s_addc_u32 s5, s5, 0
.LBB6_299:                              ;   in Loop: Header=BB6_284 Depth=1
	s_cmp_gt_u32 s24, 7
	s_cbranch_scc1 .LBB6_303
; %bb.300:                              ;   in Loop: Header=BB6_284 Depth=1
	s_cmp_eq_u32 s24, 0
	s_cbranch_scc1 .LBB6_304
; %bb.301:                              ;   in Loop: Header=BB6_284 Depth=1
	v_mov_b32_e32 v21, 0
	s_mov_b64 s[20:21], 0
	v_mov_b32_e32 v22, 0
	s_mov_b64 s[22:23], 0
.LBB6_302:                              ;   Parent Loop BB6_284 Depth=1
                                        ; =>  This Inner Loop Header: Depth=2
	s_add_u32 s26, s4, s22
	s_addc_u32 s27, s5, s23
	global_load_ubyte v2, v3, s[26:27]
	s_add_u32 s22, s22, 1
	s_addc_u32 s23, s23, 0
	s_waitcnt vmcnt(0)
	v_and_b32_e32 v2, 0xffff, v2
	v_lshlrev_b64 v[6:7], s20, v[2:3]
	s_add_u32 s20, s20, 8
	s_addc_u32 s21, s21, 0
	v_or_b32_e32 v21, v6, v21
	s_cmp_lg_u32 s24, s22
	v_or_b32_e32 v22, v7, v22
	s_cbranch_scc1 .LBB6_302
	s_branch .LBB6_305
.LBB6_303:                              ;   in Loop: Header=BB6_284 Depth=1
                                        ; implicit-def: $sgpr15
	s_branch .LBB6_306
.LBB6_304:                              ;   in Loop: Header=BB6_284 Depth=1
	v_mov_b32_e32 v21, 0
	v_mov_b32_e32 v22, 0
.LBB6_305:                              ;   in Loop: Header=BB6_284 Depth=1
	s_mov_b32 s15, 0
	s_cbranch_execnz .LBB6_307
.LBB6_306:                              ;   in Loop: Header=BB6_284 Depth=1
	global_load_dwordx2 v[21:22], v3, s[4:5]
	s_add_i32 s15, s24, -8
	s_add_u32 s4, s4, 8
	s_addc_u32 s5, s5, 0
.LBB6_307:                              ;   in Loop: Header=BB6_284 Depth=1
	s_cmp_gt_u32 s15, 7
	s_cbranch_scc1 .LBB6_311
; %bb.308:                              ;   in Loop: Header=BB6_284 Depth=1
	s_cmp_eq_u32 s15, 0
	s_cbranch_scc1 .LBB6_312
; %bb.309:                              ;   in Loop: Header=BB6_284 Depth=1
	v_mov_b32_e32 v23, 0
	s_mov_b64 s[20:21], 0
	v_mov_b32_e32 v24, 0
	s_mov_b64 s[22:23], 0
.LBB6_310:                              ;   Parent Loop BB6_284 Depth=1
                                        ; =>  This Inner Loop Header: Depth=2
	s_add_u32 s24, s4, s22
	s_addc_u32 s25, s5, s23
	global_load_ubyte v2, v3, s[24:25]
	s_add_u32 s22, s22, 1
	s_addc_u32 s23, s23, 0
	s_waitcnt vmcnt(0)
	v_and_b32_e32 v2, 0xffff, v2
	v_lshlrev_b64 v[6:7], s20, v[2:3]
	s_add_u32 s20, s20, 8
	s_addc_u32 s21, s21, 0
	v_or_b32_e32 v23, v6, v23
	s_cmp_lg_u32 s15, s22
	v_or_b32_e32 v24, v7, v24
	s_cbranch_scc1 .LBB6_310
	s_branch .LBB6_313
.LBB6_311:                              ;   in Loop: Header=BB6_284 Depth=1
                                        ; implicit-def: $vgpr23_vgpr24
                                        ; implicit-def: $sgpr24
	s_branch .LBB6_314
.LBB6_312:                              ;   in Loop: Header=BB6_284 Depth=1
	v_mov_b32_e32 v23, 0
	v_mov_b32_e32 v24, 0
.LBB6_313:                              ;   in Loop: Header=BB6_284 Depth=1
	s_mov_b32 s24, 0
	s_cbranch_execnz .LBB6_315
.LBB6_314:                              ;   in Loop: Header=BB6_284 Depth=1
	global_load_dwordx2 v[23:24], v3, s[4:5]
	s_add_i32 s24, s15, -8
	s_add_u32 s4, s4, 8
	s_addc_u32 s5, s5, 0
.LBB6_315:                              ;   in Loop: Header=BB6_284 Depth=1
	s_cmp_gt_u32 s24, 7
	s_cbranch_scc1 .LBB6_319
; %bb.316:                              ;   in Loop: Header=BB6_284 Depth=1
	s_cmp_eq_u32 s24, 0
	s_cbranch_scc1 .LBB6_320
; %bb.317:                              ;   in Loop: Header=BB6_284 Depth=1
	v_mov_b32_e32 v25, 0
	s_mov_b64 s[20:21], 0
	v_mov_b32_e32 v26, 0
	s_mov_b64 s[22:23], 0
.LBB6_318:                              ;   Parent Loop BB6_284 Depth=1
                                        ; =>  This Inner Loop Header: Depth=2
	s_add_u32 s26, s4, s22
	s_addc_u32 s27, s5, s23
	global_load_ubyte v2, v3, s[26:27]
	s_add_u32 s22, s22, 1
	s_addc_u32 s23, s23, 0
	s_waitcnt vmcnt(0)
	v_and_b32_e32 v2, 0xffff, v2
	v_lshlrev_b64 v[6:7], s20, v[2:3]
	s_add_u32 s20, s20, 8
	s_addc_u32 s21, s21, 0
	v_or_b32_e32 v25, v6, v25
	s_cmp_lg_u32 s24, s22
	v_or_b32_e32 v26, v7, v26
	s_cbranch_scc1 .LBB6_318
	s_branch .LBB6_321
.LBB6_319:                              ;   in Loop: Header=BB6_284 Depth=1
                                        ; implicit-def: $sgpr15
	s_branch .LBB6_322
.LBB6_320:                              ;   in Loop: Header=BB6_284 Depth=1
	v_mov_b32_e32 v25, 0
	v_mov_b32_e32 v26, 0
.LBB6_321:                              ;   in Loop: Header=BB6_284 Depth=1
	s_mov_b32 s15, 0
	s_cbranch_execnz .LBB6_323
.LBB6_322:                              ;   in Loop: Header=BB6_284 Depth=1
	global_load_dwordx2 v[25:26], v3, s[4:5]
	s_add_i32 s15, s24, -8
	s_add_u32 s4, s4, 8
	s_addc_u32 s5, s5, 0
.LBB6_323:                              ;   in Loop: Header=BB6_284 Depth=1
	s_cmp_gt_u32 s15, 7
	s_cbranch_scc1 .LBB6_327
; %bb.324:                              ;   in Loop: Header=BB6_284 Depth=1
	s_cmp_eq_u32 s15, 0
	s_cbranch_scc1 .LBB6_328
; %bb.325:                              ;   in Loop: Header=BB6_284 Depth=1
	v_mov_b32_e32 v27, 0
	s_mov_b64 s[20:21], 0
	v_mov_b32_e32 v28, 0
	s_mov_b64 s[22:23], 0
.LBB6_326:                              ;   Parent Loop BB6_284 Depth=1
                                        ; =>  This Inner Loop Header: Depth=2
	s_add_u32 s24, s4, s22
	s_addc_u32 s25, s5, s23
	global_load_ubyte v2, v3, s[24:25]
	s_add_u32 s22, s22, 1
	s_addc_u32 s23, s23, 0
	s_waitcnt vmcnt(0)
	v_and_b32_e32 v2, 0xffff, v2
	v_lshlrev_b64 v[6:7], s20, v[2:3]
	s_add_u32 s20, s20, 8
	s_addc_u32 s21, s21, 0
	v_or_b32_e32 v27, v6, v27
	s_cmp_lg_u32 s15, s22
	v_or_b32_e32 v28, v7, v28
	s_cbranch_scc1 .LBB6_326
	s_branch .LBB6_329
.LBB6_327:                              ;   in Loop: Header=BB6_284 Depth=1
                                        ; implicit-def: $vgpr27_vgpr28
                                        ; implicit-def: $sgpr24
	s_branch .LBB6_330
.LBB6_328:                              ;   in Loop: Header=BB6_284 Depth=1
	v_mov_b32_e32 v27, 0
	v_mov_b32_e32 v28, 0
.LBB6_329:                              ;   in Loop: Header=BB6_284 Depth=1
	s_mov_b32 s24, 0
	s_cbranch_execnz .LBB6_331
.LBB6_330:                              ;   in Loop: Header=BB6_284 Depth=1
	global_load_dwordx2 v[27:28], v3, s[4:5]
	s_add_i32 s24, s15, -8
	s_add_u32 s4, s4, 8
	s_addc_u32 s5, s5, 0
.LBB6_331:                              ;   in Loop: Header=BB6_284 Depth=1
	s_cmp_gt_u32 s24, 7
	s_cbranch_scc1 .LBB6_335
; %bb.332:                              ;   in Loop: Header=BB6_284 Depth=1
	s_cmp_eq_u32 s24, 0
	s_cbranch_scc1 .LBB6_336
; %bb.333:                              ;   in Loop: Header=BB6_284 Depth=1
	v_mov_b32_e32 v29, 0
	s_mov_b64 s[20:21], 0
	v_mov_b32_e32 v30, 0
	s_mov_b64 s[22:23], s[4:5]
.LBB6_334:                              ;   Parent Loop BB6_284 Depth=1
                                        ; =>  This Inner Loop Header: Depth=2
	global_load_ubyte v2, v3, s[22:23]
	s_add_i32 s24, s24, -1
	s_waitcnt vmcnt(0)
	v_and_b32_e32 v2, 0xffff, v2
	v_lshlrev_b64 v[6:7], s20, v[2:3]
	s_add_u32 s20, s20, 8
	s_addc_u32 s21, s21, 0
	s_add_u32 s22, s22, 1
	s_addc_u32 s23, s23, 0
	v_or_b32_e32 v29, v6, v29
	s_cmp_lg_u32 s24, 0
	v_or_b32_e32 v30, v7, v30
	s_cbranch_scc1 .LBB6_334
	s_branch .LBB6_337
.LBB6_335:                              ;   in Loop: Header=BB6_284 Depth=1
	s_branch .LBB6_338
.LBB6_336:                              ;   in Loop: Header=BB6_284 Depth=1
	v_mov_b32_e32 v29, 0
	v_mov_b32_e32 v30, 0
.LBB6_337:                              ;   in Loop: Header=BB6_284 Depth=1
	s_cbranch_execnz .LBB6_339
.LBB6_338:                              ;   in Loop: Header=BB6_284 Depth=1
	global_load_dwordx2 v[29:30], v3, s[4:5]
.LBB6_339:                              ;   in Loop: Header=BB6_284 Depth=1
	v_readfirstlane_b32 s4, v51
	v_mov_b32_e32 v6, 0
	v_mov_b32_e32 v7, 0
	v_cmp_eq_u32_e64 s[4:5], s4, v51
	s_and_saveexec_b64 s[20:21], s[4:5]
	s_cbranch_execz .LBB6_345
; %bb.340:                              ;   in Loop: Header=BB6_284 Depth=1
	global_load_dwordx2 v[33:34], v3, s[44:45] offset:24 glc
	s_waitcnt vmcnt(0)
	buffer_wbinvl1_vol
	global_load_dwordx2 v[6:7], v3, s[44:45] offset:40
	global_load_dwordx2 v[11:12], v3, s[44:45]
	s_waitcnt vmcnt(1)
	v_and_b32_e32 v2, v6, v33
	v_and_b32_e32 v6, v7, v34
	v_mul_lo_u32 v6, v6, 24
	v_mul_hi_u32 v7, v2, 24
	v_mul_lo_u32 v2, v2, 24
	v_add_u32_e32 v7, v7, v6
	s_waitcnt vmcnt(0)
	v_add_co_u32_e32 v6, vcc, v11, v2
	v_addc_co_u32_e32 v7, vcc, v12, v7, vcc
	global_load_dwordx2 v[31:32], v[6:7], off glc
	s_waitcnt vmcnt(0)
	global_atomic_cmpswap_x2 v[6:7], v3, v[31:34], s[44:45] offset:24 glc
	s_waitcnt vmcnt(0)
	buffer_wbinvl1_vol
	v_cmp_ne_u64_e32 vcc, v[6:7], v[33:34]
	s_and_saveexec_b64 s[22:23], vcc
	s_cbranch_execz .LBB6_344
; %bb.341:                              ;   in Loop: Header=BB6_284 Depth=1
	s_mov_b64 s[24:25], 0
.LBB6_342:                              ;   Parent Loop BB6_284 Depth=1
                                        ; =>  This Inner Loop Header: Depth=2
	s_sleep 1
	global_load_dwordx2 v[11:12], v3, s[44:45] offset:40
	global_load_dwordx2 v[15:16], v3, s[44:45]
	v_mov_b32_e32 v34, v7
	v_mov_b32_e32 v33, v6
	s_waitcnt vmcnt(1)
	v_and_b32_e32 v2, v11, v33
	s_waitcnt vmcnt(0)
	v_mad_u64_u32 v[6:7], s[26:27], v2, 24, v[15:16]
	v_and_b32_e32 v11, v12, v34
	v_mov_b32_e32 v2, v7
	v_mad_u64_u32 v[11:12], s[26:27], v11, 24, v[2:3]
	v_mov_b32_e32 v7, v11
	global_load_dwordx2 v[31:32], v[6:7], off glc
	s_waitcnt vmcnt(0)
	global_atomic_cmpswap_x2 v[6:7], v3, v[31:34], s[44:45] offset:24 glc
	s_waitcnt vmcnt(0)
	buffer_wbinvl1_vol
	v_cmp_eq_u64_e32 vcc, v[6:7], v[33:34]
	s_or_b64 s[24:25], vcc, s[24:25]
	s_andn2_b64 exec, exec, s[24:25]
	s_cbranch_execnz .LBB6_342
; %bb.343:                              ;   in Loop: Header=BB6_284 Depth=1
	s_or_b64 exec, exec, s[24:25]
.LBB6_344:                              ;   in Loop: Header=BB6_284 Depth=1
	s_or_b64 exec, exec, s[22:23]
.LBB6_345:                              ;   in Loop: Header=BB6_284 Depth=1
	s_or_b64 exec, exec, s[20:21]
	global_load_dwordx2 v[11:12], v3, s[44:45] offset:40
	global_load_dwordx4 v[31:34], v3, s[44:45]
	v_readfirstlane_b32 s20, v6
	v_readfirstlane_b32 s21, v7
	s_mov_b64 s[22:23], exec
	s_waitcnt vmcnt(1)
	v_readfirstlane_b32 s24, v11
	v_readfirstlane_b32 s25, v12
	s_and_b64 s[24:25], s[20:21], s[24:25]
	s_mul_i32 s15, s25, 24
	s_mul_hi_u32 s26, s24, 24
	s_mul_i32 s27, s24, 24
	s_add_i32 s15, s26, s15
	v_mov_b32_e32 v2, s15
	s_waitcnt vmcnt(0)
	v_add_co_u32_e32 v6, vcc, s27, v31
	v_addc_co_u32_e32 v7, vcc, v32, v2, vcc
	s_and_saveexec_b64 s[26:27], s[4:5]
	s_cbranch_execz .LBB6_347
; %bb.346:                              ;   in Loop: Header=BB6_284 Depth=1
	v_mov_b32_e32 v11, s22
	v_mov_b32_e32 v12, s23
	global_store_dwordx4 v[6:7], v[11:14], off offset:8
.LBB6_347:                              ;   in Loop: Header=BB6_284 Depth=1
	s_or_b64 exec, exec, s[26:27]
	s_lshl_b64 s[22:23], s[24:25], 12
	v_mov_b32_e32 v2, s23
	v_add_co_u32_e32 v33, vcc, s22, v33
	v_addc_co_u32_e32 v34, vcc, v34, v2, vcc
	v_cmp_gt_u64_e64 vcc, s[16:17], 56
	v_or_b32_e32 v2, 0, v10
	v_or_b32_e32 v11, v9, v35
	s_lshl_b32 s15, s18, 2
	v_cndmask_b32_e32 v16, v2, v10, vcc
	v_cndmask_b32_e32 v2, v11, v9, vcc
	s_add_i32 s15, s15, 28
	s_and_b32 s15, s15, 0x1e0
	v_and_b32_e32 v2, 0xffffff1f, v2
	v_or_b32_e32 v15, s15, v2
	v_readfirstlane_b32 s22, v33
	v_readfirstlane_b32 s23, v34
	s_nop 4
	global_store_dwordx4 v50, v[15:18], s[22:23]
	global_store_dwordx4 v50, v[19:22], s[22:23] offset:16
	global_store_dwordx4 v50, v[23:26], s[22:23] offset:32
	;; [unrolled: 1-line block ×3, first 2 shown]
	s_and_saveexec_b64 s[22:23], s[4:5]
	s_cbranch_execz .LBB6_355
; %bb.348:                              ;   in Loop: Header=BB6_284 Depth=1
	global_load_dwordx2 v[19:20], v3, s[44:45] offset:32 glc
	global_load_dwordx2 v[9:10], v3, s[44:45] offset:40
	v_mov_b32_e32 v17, s20
	v_mov_b32_e32 v18, s21
	s_waitcnt vmcnt(0)
	v_readfirstlane_b32 s24, v9
	v_readfirstlane_b32 s25, v10
	s_and_b64 s[24:25], s[24:25], s[20:21]
	s_mul_i32 s15, s25, 24
	s_mul_hi_u32 s25, s24, 24
	s_mul_i32 s24, s24, 24
	s_add_i32 s15, s25, s15
	v_mov_b32_e32 v2, s15
	v_add_co_u32_e32 v15, vcc, s24, v31
	v_addc_co_u32_e32 v16, vcc, v32, v2, vcc
	global_store_dwordx2 v[15:16], v[19:20], off
	s_waitcnt vmcnt(0)
	global_atomic_cmpswap_x2 v[11:12], v3, v[17:20], s[44:45] offset:32 glc
	s_waitcnt vmcnt(0)
	v_cmp_ne_u64_e32 vcc, v[11:12], v[19:20]
	s_and_saveexec_b64 s[24:25], vcc
	s_cbranch_execz .LBB6_351
; %bb.349:                              ;   in Loop: Header=BB6_284 Depth=1
	s_mov_b64 s[26:27], 0
.LBB6_350:                              ;   Parent Loop BB6_284 Depth=1
                                        ; =>  This Inner Loop Header: Depth=2
	s_sleep 1
	global_store_dwordx2 v[15:16], v[11:12], off
	v_mov_b32_e32 v9, s20
	v_mov_b32_e32 v10, s21
	s_waitcnt vmcnt(0)
	global_atomic_cmpswap_x2 v[9:10], v3, v[9:12], s[44:45] offset:32 glc
	s_waitcnt vmcnt(0)
	v_cmp_eq_u64_e32 vcc, v[9:10], v[11:12]
	v_mov_b32_e32 v12, v10
	s_or_b64 s[26:27], vcc, s[26:27]
	v_mov_b32_e32 v11, v9
	s_andn2_b64 exec, exec, s[26:27]
	s_cbranch_execnz .LBB6_350
.LBB6_351:                              ;   in Loop: Header=BB6_284 Depth=1
	s_or_b64 exec, exec, s[24:25]
	global_load_dwordx2 v[9:10], v3, s[44:45] offset:16
	s_mov_b64 s[26:27], exec
	v_mbcnt_lo_u32_b32 v2, s26, 0
	v_mbcnt_hi_u32_b32 v2, s27, v2
	v_cmp_eq_u32_e32 vcc, 0, v2
	s_and_saveexec_b64 s[24:25], vcc
	s_cbranch_execz .LBB6_353
; %bb.352:                              ;   in Loop: Header=BB6_284 Depth=1
	s_bcnt1_i32_b64 s15, s[26:27]
	v_mov_b32_e32 v2, s15
	s_waitcnt vmcnt(0)
	global_atomic_add_x2 v[9:10], v[2:3], off offset:8
.LBB6_353:                              ;   in Loop: Header=BB6_284 Depth=1
	s_or_b64 exec, exec, s[24:25]
	s_waitcnt vmcnt(0)
	global_load_dwordx2 v[11:12], v[9:10], off offset:16
	s_waitcnt vmcnt(0)
	v_cmp_eq_u64_e32 vcc, 0, v[11:12]
	s_cbranch_vccnz .LBB6_355
; %bb.354:                              ;   in Loop: Header=BB6_284 Depth=1
	global_load_dword v2, v[9:10], off offset:24
	s_waitcnt vmcnt(0)
	global_store_dwordx2 v[11:12], v[2:3], off
	v_and_b32_e32 v2, 0xffffff, v2
	v_readfirstlane_b32 m0, v2
	s_sendmsg sendmsg(MSG_INTERRUPT)
.LBB6_355:                              ;   in Loop: Header=BB6_284 Depth=1
	s_or_b64 exec, exec, s[22:23]
	v_add_co_u32_e32 v9, vcc, v33, v50
	v_addc_co_u32_e32 v10, vcc, 0, v34, vcc
	s_branch .LBB6_359
.LBB6_356:                              ;   in Loop: Header=BB6_359 Depth=2
	s_or_b64 exec, exec, s[22:23]
	v_readfirstlane_b32 s15, v2
	s_cmp_eq_u32 s15, 0
	s_cbranch_scc1 .LBB6_358
; %bb.357:                              ;   in Loop: Header=BB6_359 Depth=2
	s_sleep 1
	s_cbranch_execnz .LBB6_359
	s_branch .LBB6_361
.LBB6_358:                              ;   in Loop: Header=BB6_284 Depth=1
	s_branch .LBB6_361
.LBB6_359:                              ;   Parent Loop BB6_284 Depth=1
                                        ; =>  This Inner Loop Header: Depth=2
	v_mov_b32_e32 v2, 1
	s_and_saveexec_b64 s[22:23], s[4:5]
	s_cbranch_execz .LBB6_356
; %bb.360:                              ;   in Loop: Header=BB6_359 Depth=2
	global_load_dword v2, v[6:7], off offset:20 glc
	s_waitcnt vmcnt(0)
	buffer_wbinvl1_vol
	v_and_b32_e32 v2, 1, v2
	s_branch .LBB6_356
.LBB6_361:                              ;   in Loop: Header=BB6_284 Depth=1
	global_load_dwordx4 v[9:12], v[9:10], off
	s_and_saveexec_b64 s[22:23], s[4:5]
	s_cbranch_execz .LBB6_283
; %bb.362:                              ;   in Loop: Header=BB6_284 Depth=1
	global_load_dwordx2 v[6:7], v3, s[44:45] offset:40
	global_load_dwordx2 v[11:12], v3, s[44:45] offset:24 glc
	global_load_dwordx2 v[18:19], v3, s[44:45]
	v_mov_b32_e32 v2, s21
	s_waitcnt vmcnt(2)
	v_add_co_u32_e32 v17, vcc, 1, v6
	v_addc_co_u32_e32 v20, vcc, 0, v7, vcc
	v_add_co_u32_e32 v15, vcc, s20, v17
	v_addc_co_u32_e32 v16, vcc, v20, v2, vcc
	v_cmp_eq_u64_e32 vcc, 0, v[15:16]
	v_cndmask_b32_e32 v16, v16, v20, vcc
	v_cndmask_b32_e32 v15, v15, v17, vcc
	v_and_b32_e32 v2, v16, v7
	v_and_b32_e32 v6, v15, v6
	v_mul_lo_u32 v2, v2, 24
	v_mul_hi_u32 v7, v6, 24
	v_mul_lo_u32 v6, v6, 24
	s_waitcnt vmcnt(1)
	v_mov_b32_e32 v17, v11
	v_add_u32_e32 v2, v7, v2
	s_waitcnt vmcnt(0)
	v_add_co_u32_e32 v6, vcc, v18, v6
	v_addc_co_u32_e32 v7, vcc, v19, v2, vcc
	global_store_dwordx2 v[6:7], v[11:12], off
	v_mov_b32_e32 v18, v12
	s_waitcnt vmcnt(0)
	global_atomic_cmpswap_x2 v[17:18], v3, v[15:18], s[44:45] offset:24 glc
	s_waitcnt vmcnt(0)
	v_cmp_ne_u64_e32 vcc, v[17:18], v[11:12]
	s_and_b64 exec, exec, vcc
	s_cbranch_execz .LBB6_283
; %bb.363:                              ;   in Loop: Header=BB6_284 Depth=1
	s_mov_b64 s[4:5], 0
.LBB6_364:                              ;   Parent Loop BB6_284 Depth=1
                                        ; =>  This Inner Loop Header: Depth=2
	s_sleep 1
	global_store_dwordx2 v[6:7], v[17:18], off
	s_waitcnt vmcnt(0)
	global_atomic_cmpswap_x2 v[11:12], v3, v[15:18], s[44:45] offset:24 glc
	s_waitcnt vmcnt(0)
	v_cmp_eq_u64_e32 vcc, v[11:12], v[17:18]
	v_mov_b32_e32 v18, v12
	s_or_b64 s[4:5], vcc, s[4:5]
	v_mov_b32_e32 v17, v11
	s_andn2_b64 exec, exec, s[4:5]
	s_cbranch_execnz .LBB6_364
	s_branch .LBB6_283
.LBB6_365:
	s_branch .LBB6_393
.LBB6_366:
                                        ; implicit-def: $vgpr9_vgpr10
	s_cbranch_execz .LBB6_393
; %bb.367:
	v_readfirstlane_b32 s4, v51
	v_mov_b32_e32 v6, 0
	v_mov_b32_e32 v7, 0
	v_cmp_eq_u32_e64 s[4:5], s4, v51
	s_and_saveexec_b64 s[10:11], s[4:5]
	s_cbranch_execz .LBB6_373
; %bb.368:
	v_mov_b32_e32 v2, 0
	global_load_dwordx2 v[11:12], v2, s[44:45] offset:24 glc
	s_waitcnt vmcnt(0)
	buffer_wbinvl1_vol
	global_load_dwordx2 v[6:7], v2, s[44:45] offset:40
	global_load_dwordx2 v[9:10], v2, s[44:45]
	s_waitcnt vmcnt(1)
	v_and_b32_e32 v3, v6, v11
	v_and_b32_e32 v6, v7, v12
	v_mul_lo_u32 v6, v6, 24
	v_mul_hi_u32 v7, v3, 24
	v_mul_lo_u32 v3, v3, 24
	v_add_u32_e32 v7, v7, v6
	s_waitcnt vmcnt(0)
	v_add_co_u32_e32 v6, vcc, v9, v3
	v_addc_co_u32_e32 v7, vcc, v10, v7, vcc
	global_load_dwordx2 v[9:10], v[6:7], off glc
	s_waitcnt vmcnt(0)
	global_atomic_cmpswap_x2 v[6:7], v2, v[9:12], s[44:45] offset:24 glc
	s_waitcnt vmcnt(0)
	buffer_wbinvl1_vol
	v_cmp_ne_u64_e32 vcc, v[6:7], v[11:12]
	s_and_saveexec_b64 s[16:17], vcc
	s_cbranch_execz .LBB6_372
; %bb.369:
	s_mov_b64 s[18:19], 0
.LBB6_370:                              ; =>This Inner Loop Header: Depth=1
	s_sleep 1
	global_load_dwordx2 v[9:10], v2, s[44:45] offset:40
	global_load_dwordx2 v[13:14], v2, s[44:45]
	v_mov_b32_e32 v12, v7
	v_mov_b32_e32 v11, v6
	s_waitcnt vmcnt(1)
	v_and_b32_e32 v3, v9, v11
	s_waitcnt vmcnt(0)
	v_mad_u64_u32 v[6:7], s[20:21], v3, 24, v[13:14]
	v_and_b32_e32 v9, v10, v12
	v_mov_b32_e32 v3, v7
	v_mad_u64_u32 v[9:10], s[20:21], v9, 24, v[3:4]
	v_mov_b32_e32 v7, v9
	global_load_dwordx2 v[9:10], v[6:7], off glc
	s_waitcnt vmcnt(0)
	global_atomic_cmpswap_x2 v[6:7], v2, v[9:12], s[44:45] offset:24 glc
	s_waitcnt vmcnt(0)
	buffer_wbinvl1_vol
	v_cmp_eq_u64_e32 vcc, v[6:7], v[11:12]
	s_or_b64 s[18:19], vcc, s[18:19]
	s_andn2_b64 exec, exec, s[18:19]
	s_cbranch_execnz .LBB6_370
; %bb.371:
	s_or_b64 exec, exec, s[18:19]
.LBB6_372:
	s_or_b64 exec, exec, s[16:17]
.LBB6_373:
	s_or_b64 exec, exec, s[10:11]
	v_mov_b32_e32 v2, 0
	global_load_dwordx2 v[13:14], v2, s[44:45] offset:40
	global_load_dwordx4 v[9:12], v2, s[44:45]
	v_readfirstlane_b32 s10, v6
	v_readfirstlane_b32 s11, v7
	s_mov_b64 s[16:17], exec
	s_waitcnt vmcnt(1)
	v_readfirstlane_b32 s18, v13
	v_readfirstlane_b32 s19, v14
	s_and_b64 s[18:19], s[10:11], s[18:19]
	s_mul_i32 s15, s19, 24
	s_mul_hi_u32 s20, s18, 24
	s_mul_i32 s21, s18, 24
	s_add_i32 s15, s20, s15
	v_mov_b32_e32 v3, s15
	s_waitcnt vmcnt(0)
	v_add_co_u32_e32 v6, vcc, s21, v9
	v_addc_co_u32_e32 v7, vcc, v10, v3, vcc
	s_and_saveexec_b64 s[20:21], s[4:5]
	s_cbranch_execz .LBB6_375
; %bb.374:
	v_mov_b32_e32 v13, s16
	v_mov_b32_e32 v14, s17
	;; [unrolled: 1-line block ×4, first 2 shown]
	global_store_dwordx4 v[6:7], v[13:16], off offset:8
.LBB6_375:
	s_or_b64 exec, exec, s[20:21]
	s_lshl_b64 s[16:17], s[18:19], 12
	v_mov_b32_e32 v3, s17
	v_add_co_u32_e32 v13, vcc, s16, v11
	v_addc_co_u32_e32 v14, vcc, v12, v3, vcc
	s_movk_i32 s15, 0xff1f
	v_and_or_b32 v0, v0, s15, 32
	s_mov_b32 s16, 0
	v_mov_b32_e32 v3, v2
	v_readfirstlane_b32 s20, v13
	v_readfirstlane_b32 s21, v14
	v_add_co_u32_e32 v11, vcc, v13, v50
	s_mov_b32 s17, s16
	s_mov_b32 s18, s16
	;; [unrolled: 1-line block ×3, first 2 shown]
	s_nop 0
	global_store_dwordx4 v50, v[0:3], s[20:21]
	v_addc_co_u32_e32 v12, vcc, 0, v14, vcc
	v_mov_b32_e32 v0, s16
	v_mov_b32_e32 v1, s17
	;; [unrolled: 1-line block ×4, first 2 shown]
	global_store_dwordx4 v50, v[0:3], s[20:21] offset:16
	global_store_dwordx4 v50, v[0:3], s[20:21] offset:32
	;; [unrolled: 1-line block ×3, first 2 shown]
	s_and_saveexec_b64 s[16:17], s[4:5]
	s_cbranch_execz .LBB6_383
; %bb.376:
	v_mov_b32_e32 v13, 0
	global_load_dwordx2 v[16:17], v13, s[44:45] offset:32 glc
	global_load_dwordx2 v[0:1], v13, s[44:45] offset:40
	v_mov_b32_e32 v14, s10
	v_mov_b32_e32 v15, s11
	s_waitcnt vmcnt(0)
	v_readfirstlane_b32 s18, v0
	v_readfirstlane_b32 s19, v1
	s_and_b64 s[18:19], s[18:19], s[10:11]
	s_mul_i32 s15, s19, 24
	s_mul_hi_u32 s19, s18, 24
	s_mul_i32 s18, s18, 24
	s_add_i32 s15, s19, s15
	v_mov_b32_e32 v0, s15
	v_add_co_u32_e32 v9, vcc, s18, v9
	v_addc_co_u32_e32 v10, vcc, v10, v0, vcc
	global_store_dwordx2 v[9:10], v[16:17], off
	s_waitcnt vmcnt(0)
	global_atomic_cmpswap_x2 v[2:3], v13, v[14:17], s[44:45] offset:32 glc
	s_waitcnt vmcnt(0)
	v_cmp_ne_u64_e32 vcc, v[2:3], v[16:17]
	s_and_saveexec_b64 s[18:19], vcc
	s_cbranch_execz .LBB6_379
; %bb.377:
	s_mov_b64 s[20:21], 0
.LBB6_378:                              ; =>This Inner Loop Header: Depth=1
	s_sleep 1
	global_store_dwordx2 v[9:10], v[2:3], off
	v_mov_b32_e32 v0, s10
	v_mov_b32_e32 v1, s11
	s_waitcnt vmcnt(0)
	global_atomic_cmpswap_x2 v[0:1], v13, v[0:3], s[44:45] offset:32 glc
	s_waitcnt vmcnt(0)
	v_cmp_eq_u64_e32 vcc, v[0:1], v[2:3]
	v_mov_b32_e32 v3, v1
	s_or_b64 s[20:21], vcc, s[20:21]
	v_mov_b32_e32 v2, v0
	s_andn2_b64 exec, exec, s[20:21]
	s_cbranch_execnz .LBB6_378
.LBB6_379:
	s_or_b64 exec, exec, s[18:19]
	v_mov_b32_e32 v3, 0
	global_load_dwordx2 v[0:1], v3, s[44:45] offset:16
	s_mov_b64 s[18:19], exec
	v_mbcnt_lo_u32_b32 v2, s18, 0
	v_mbcnt_hi_u32_b32 v2, s19, v2
	v_cmp_eq_u32_e32 vcc, 0, v2
	s_and_saveexec_b64 s[20:21], vcc
	s_cbranch_execz .LBB6_381
; %bb.380:
	s_bcnt1_i32_b64 s15, s[18:19]
	v_mov_b32_e32 v2, s15
	s_waitcnt vmcnt(0)
	global_atomic_add_x2 v[0:1], v[2:3], off offset:8
.LBB6_381:
	s_or_b64 exec, exec, s[20:21]
	s_waitcnt vmcnt(0)
	global_load_dwordx2 v[2:3], v[0:1], off offset:16
	s_waitcnt vmcnt(0)
	v_cmp_eq_u64_e32 vcc, 0, v[2:3]
	s_cbranch_vccnz .LBB6_383
; %bb.382:
	global_load_dword v0, v[0:1], off offset:24
	v_mov_b32_e32 v1, 0
	s_waitcnt vmcnt(0)
	global_store_dwordx2 v[2:3], v[0:1], off
	v_and_b32_e32 v0, 0xffffff, v0
	v_readfirstlane_b32 m0, v0
	s_sendmsg sendmsg(MSG_INTERRUPT)
.LBB6_383:
	s_or_b64 exec, exec, s[16:17]
	s_branch .LBB6_387
.LBB6_384:                              ;   in Loop: Header=BB6_387 Depth=1
	s_or_b64 exec, exec, s[16:17]
	v_readfirstlane_b32 s15, v0
	s_cmp_eq_u32 s15, 0
	s_cbranch_scc1 .LBB6_386
; %bb.385:                              ;   in Loop: Header=BB6_387 Depth=1
	s_sleep 1
	s_cbranch_execnz .LBB6_387
	s_branch .LBB6_389
.LBB6_386:
	s_branch .LBB6_389
.LBB6_387:                              ; =>This Inner Loop Header: Depth=1
	v_mov_b32_e32 v0, 1
	s_and_saveexec_b64 s[16:17], s[4:5]
	s_cbranch_execz .LBB6_384
; %bb.388:                              ;   in Loop: Header=BB6_387 Depth=1
	global_load_dword v0, v[6:7], off offset:20 glc
	s_waitcnt vmcnt(0)
	buffer_wbinvl1_vol
	v_and_b32_e32 v0, 1, v0
	s_branch .LBB6_384
.LBB6_389:
	global_load_dwordx2 v[9:10], v[11:12], off
	s_and_saveexec_b64 s[16:17], s[4:5]
	s_cbranch_execz .LBB6_392
; %bb.390:
	v_mov_b32_e32 v11, 0
	global_load_dwordx2 v[2:3], v11, s[44:45] offset:40
	global_load_dwordx2 v[12:13], v11, s[44:45] offset:24 glc
	global_load_dwordx2 v[6:7], v11, s[44:45]
	v_mov_b32_e32 v1, s11
	s_mov_b64 s[4:5], 0
	s_waitcnt vmcnt(2)
	v_add_co_u32_e32 v14, vcc, 1, v2
	v_addc_co_u32_e32 v15, vcc, 0, v3, vcc
	v_add_co_u32_e32 v0, vcc, s10, v14
	v_addc_co_u32_e32 v1, vcc, v15, v1, vcc
	v_cmp_eq_u64_e32 vcc, 0, v[0:1]
	v_cndmask_b32_e32 v1, v1, v15, vcc
	v_cndmask_b32_e32 v0, v0, v14, vcc
	v_and_b32_e32 v3, v1, v3
	v_and_b32_e32 v2, v0, v2
	v_mul_lo_u32 v3, v3, 24
	v_mul_hi_u32 v14, v2, 24
	v_mul_lo_u32 v15, v2, 24
	s_waitcnt vmcnt(1)
	v_mov_b32_e32 v2, v12
	v_add_u32_e32 v3, v14, v3
	s_waitcnt vmcnt(0)
	v_add_co_u32_e32 v6, vcc, v6, v15
	v_addc_co_u32_e32 v7, vcc, v7, v3, vcc
	global_store_dwordx2 v[6:7], v[12:13], off
	v_mov_b32_e32 v3, v13
	s_waitcnt vmcnt(0)
	global_atomic_cmpswap_x2 v[2:3], v11, v[0:3], s[44:45] offset:24 glc
	s_waitcnt vmcnt(0)
	v_cmp_ne_u64_e32 vcc, v[2:3], v[12:13]
	s_and_b64 exec, exec, vcc
	s_cbranch_execz .LBB6_392
.LBB6_391:                              ; =>This Inner Loop Header: Depth=1
	s_sleep 1
	global_store_dwordx2 v[6:7], v[2:3], off
	s_waitcnt vmcnt(0)
	global_atomic_cmpswap_x2 v[12:13], v11, v[0:3], s[44:45] offset:24 glc
	s_waitcnt vmcnt(0)
	v_cmp_eq_u64_e32 vcc, v[12:13], v[2:3]
	v_mov_b32_e32 v2, v12
	s_or_b64 s[4:5], vcc, s[4:5]
	v_mov_b32_e32 v3, v13
	s_andn2_b64 exec, exec, s[4:5]
	s_cbranch_execnz .LBB6_391
.LBB6_392:
	s_or_b64 exec, exec, s[16:17]
.LBB6_393:
	v_readfirstlane_b32 s4, v51
	v_mov_b32_e32 v6, 0
	v_mov_b32_e32 v7, 0
	v_cmp_eq_u32_e64 s[4:5], s4, v51
	s_and_saveexec_b64 s[10:11], s[4:5]
	s_cbranch_execz .LBB6_399
; %bb.394:
	s_waitcnt vmcnt(0)
	v_mov_b32_e32 v0, 0
	global_load_dwordx2 v[13:14], v0, s[44:45] offset:24 glc
	s_waitcnt vmcnt(0)
	buffer_wbinvl1_vol
	global_load_dwordx2 v[1:2], v0, s[44:45] offset:40
	global_load_dwordx2 v[6:7], v0, s[44:45]
	s_waitcnt vmcnt(1)
	v_and_b32_e32 v1, v1, v13
	v_and_b32_e32 v2, v2, v14
	v_mul_lo_u32 v2, v2, 24
	v_mul_hi_u32 v3, v1, 24
	v_mul_lo_u32 v1, v1, 24
	v_add_u32_e32 v2, v3, v2
	s_waitcnt vmcnt(0)
	v_add_co_u32_e32 v1, vcc, v6, v1
	v_addc_co_u32_e32 v2, vcc, v7, v2, vcc
	global_load_dwordx2 v[11:12], v[1:2], off glc
	s_waitcnt vmcnt(0)
	global_atomic_cmpswap_x2 v[6:7], v0, v[11:14], s[44:45] offset:24 glc
	s_waitcnt vmcnt(0)
	buffer_wbinvl1_vol
	v_cmp_ne_u64_e32 vcc, v[6:7], v[13:14]
	s_and_saveexec_b64 s[16:17], vcc
	s_cbranch_execz .LBB6_398
; %bb.395:
	s_mov_b64 s[18:19], 0
.LBB6_396:                              ; =>This Inner Loop Header: Depth=1
	s_sleep 1
	global_load_dwordx2 v[1:2], v0, s[44:45] offset:40
	global_load_dwordx2 v[11:12], v0, s[44:45]
	v_mov_b32_e32 v14, v7
	v_mov_b32_e32 v13, v6
	s_waitcnt vmcnt(1)
	v_and_b32_e32 v1, v1, v13
	s_waitcnt vmcnt(0)
	v_mad_u64_u32 v[6:7], s[20:21], v1, 24, v[11:12]
	v_and_b32_e32 v2, v2, v14
	v_mov_b32_e32 v1, v7
	v_mad_u64_u32 v[1:2], s[20:21], v2, 24, v[1:2]
	v_mov_b32_e32 v7, v1
	global_load_dwordx2 v[11:12], v[6:7], off glc
	s_waitcnt vmcnt(0)
	global_atomic_cmpswap_x2 v[6:7], v0, v[11:14], s[44:45] offset:24 glc
	s_waitcnt vmcnt(0)
	buffer_wbinvl1_vol
	v_cmp_eq_u64_e32 vcc, v[6:7], v[13:14]
	s_or_b64 s[18:19], vcc, s[18:19]
	s_andn2_b64 exec, exec, s[18:19]
	s_cbranch_execnz .LBB6_396
; %bb.397:
	s_or_b64 exec, exec, s[18:19]
.LBB6_398:
	s_or_b64 exec, exec, s[16:17]
.LBB6_399:
	s_or_b64 exec, exec, s[10:11]
	s_waitcnt vmcnt(0)
	v_mov_b32_e32 v12, 0
	global_load_dwordx2 v[13:14], v12, s[44:45] offset:40
	global_load_dwordx4 v[0:3], v12, s[44:45]
	v_readfirstlane_b32 s10, v6
	v_readfirstlane_b32 s11, v7
	s_mov_b64 s[16:17], exec
	s_waitcnt vmcnt(1)
	v_readfirstlane_b32 s18, v13
	v_readfirstlane_b32 s19, v14
	s_and_b64 s[18:19], s[10:11], s[18:19]
	s_mul_i32 s15, s19, 24
	s_mul_hi_u32 s20, s18, 24
	s_mul_i32 s21, s18, 24
	s_add_i32 s15, s20, s15
	v_mov_b32_e32 v7, s15
	s_waitcnt vmcnt(0)
	v_add_co_u32_e32 v6, vcc, s21, v0
	v_addc_co_u32_e32 v7, vcc, v1, v7, vcc
	s_and_saveexec_b64 s[20:21], s[4:5]
	s_cbranch_execz .LBB6_401
; %bb.400:
	v_mov_b32_e32 v13, s16
	v_mov_b32_e32 v14, s17
	;; [unrolled: 1-line block ×4, first 2 shown]
	global_store_dwordx4 v[6:7], v[13:16], off offset:8
.LBB6_401:
	s_or_b64 exec, exec, s[20:21]
	s_lshl_b64 s[16:17], s[18:19], 12
	v_mov_b32_e32 v11, s17
	v_add_co_u32_e32 v2, vcc, s16, v2
	v_addc_co_u32_e32 v3, vcc, v3, v11, vcc
	s_movk_i32 s15, 0xff1d
	v_and_or_b32 v9, v9, s15, 34
	s_mov_b32 s16, 0
	v_mov_b32_e32 v11, 10
	v_readfirstlane_b32 s20, v2
	v_readfirstlane_b32 s21, v3
	s_mov_b32 s17, s16
	s_mov_b32 s18, s16
	;; [unrolled: 1-line block ×3, first 2 shown]
	s_nop 1
	global_store_dwordx4 v50, v[9:12], s[20:21]
	s_nop 0
	v_mov_b32_e32 v9, s16
	v_mov_b32_e32 v10, s17
	;; [unrolled: 1-line block ×4, first 2 shown]
	global_store_dwordx4 v50, v[9:12], s[20:21] offset:16
	global_store_dwordx4 v50, v[9:12], s[20:21] offset:32
	;; [unrolled: 1-line block ×3, first 2 shown]
	s_and_saveexec_b64 s[16:17], s[4:5]
	s_cbranch_execz .LBB6_409
; %bb.402:
	v_mov_b32_e32 v11, 0
	global_load_dwordx2 v[14:15], v11, s[44:45] offset:32 glc
	global_load_dwordx2 v[2:3], v11, s[44:45] offset:40
	v_mov_b32_e32 v12, s10
	v_mov_b32_e32 v13, s11
	s_waitcnt vmcnt(0)
	v_readfirstlane_b32 s18, v2
	v_readfirstlane_b32 s19, v3
	s_and_b64 s[18:19], s[18:19], s[10:11]
	s_mul_i32 s15, s19, 24
	s_mul_hi_u32 s19, s18, 24
	s_mul_i32 s18, s18, 24
	s_add_i32 s15, s19, s15
	v_mov_b32_e32 v2, s15
	v_add_co_u32_e32 v9, vcc, s18, v0
	v_addc_co_u32_e32 v10, vcc, v1, v2, vcc
	global_store_dwordx2 v[9:10], v[14:15], off
	s_waitcnt vmcnt(0)
	global_atomic_cmpswap_x2 v[2:3], v11, v[12:15], s[44:45] offset:32 glc
	s_waitcnt vmcnt(0)
	v_cmp_ne_u64_e32 vcc, v[2:3], v[14:15]
	s_and_saveexec_b64 s[18:19], vcc
	s_cbranch_execz .LBB6_405
; %bb.403:
	s_mov_b64 s[20:21], 0
.LBB6_404:                              ; =>This Inner Loop Header: Depth=1
	s_sleep 1
	global_store_dwordx2 v[9:10], v[2:3], off
	v_mov_b32_e32 v0, s10
	v_mov_b32_e32 v1, s11
	s_waitcnt vmcnt(0)
	global_atomic_cmpswap_x2 v[0:1], v11, v[0:3], s[44:45] offset:32 glc
	s_waitcnt vmcnt(0)
	v_cmp_eq_u64_e32 vcc, v[0:1], v[2:3]
	v_mov_b32_e32 v3, v1
	s_or_b64 s[20:21], vcc, s[20:21]
	v_mov_b32_e32 v2, v0
	s_andn2_b64 exec, exec, s[20:21]
	s_cbranch_execnz .LBB6_404
.LBB6_405:
	s_or_b64 exec, exec, s[18:19]
	v_mov_b32_e32 v3, 0
	global_load_dwordx2 v[0:1], v3, s[44:45] offset:16
	s_mov_b64 s[18:19], exec
	v_mbcnt_lo_u32_b32 v2, s18, 0
	v_mbcnt_hi_u32_b32 v2, s19, v2
	v_cmp_eq_u32_e32 vcc, 0, v2
	s_and_saveexec_b64 s[20:21], vcc
	s_cbranch_execz .LBB6_407
; %bb.406:
	s_bcnt1_i32_b64 s15, s[18:19]
	v_mov_b32_e32 v2, s15
	s_waitcnt vmcnt(0)
	global_atomic_add_x2 v[0:1], v[2:3], off offset:8
.LBB6_407:
	s_or_b64 exec, exec, s[20:21]
	s_waitcnt vmcnt(0)
	global_load_dwordx2 v[2:3], v[0:1], off offset:16
	s_waitcnt vmcnt(0)
	v_cmp_eq_u64_e32 vcc, 0, v[2:3]
	s_cbranch_vccnz .LBB6_409
; %bb.408:
	global_load_dword v0, v[0:1], off offset:24
	v_mov_b32_e32 v1, 0
	s_waitcnt vmcnt(0)
	global_store_dwordx2 v[2:3], v[0:1], off
	v_and_b32_e32 v0, 0xffffff, v0
	v_readfirstlane_b32 m0, v0
	s_sendmsg sendmsg(MSG_INTERRUPT)
.LBB6_409:
	s_or_b64 exec, exec, s[16:17]
	s_branch .LBB6_413
.LBB6_410:                              ;   in Loop: Header=BB6_413 Depth=1
	s_or_b64 exec, exec, s[16:17]
	v_readfirstlane_b32 s15, v0
	s_cmp_eq_u32 s15, 0
	s_cbranch_scc1 .LBB6_412
; %bb.411:                              ;   in Loop: Header=BB6_413 Depth=1
	s_sleep 1
	s_cbranch_execnz .LBB6_413
	s_branch .LBB6_415
.LBB6_412:
	s_branch .LBB6_415
.LBB6_413:                              ; =>This Inner Loop Header: Depth=1
	v_mov_b32_e32 v0, 1
	s_and_saveexec_b64 s[16:17], s[4:5]
	s_cbranch_execz .LBB6_410
; %bb.414:                              ;   in Loop: Header=BB6_413 Depth=1
	global_load_dword v0, v[6:7], off offset:20 glc
	s_waitcnt vmcnt(0)
	buffer_wbinvl1_vol
	v_and_b32_e32 v0, 1, v0
	s_branch .LBB6_410
.LBB6_415:
	s_and_saveexec_b64 s[16:17], s[4:5]
	s_cbranch_execz .LBB6_418
; %bb.416:
	v_mov_b32_e32 v9, 0
	global_load_dwordx2 v[2:3], v9, s[44:45] offset:40
	global_load_dwordx2 v[10:11], v9, s[44:45] offset:24 glc
	global_load_dwordx2 v[6:7], v9, s[44:45]
	v_mov_b32_e32 v1, s11
	s_mov_b64 s[4:5], 0
	s_waitcnt vmcnt(2)
	v_add_co_u32_e32 v12, vcc, 1, v2
	v_addc_co_u32_e32 v13, vcc, 0, v3, vcc
	v_add_co_u32_e32 v0, vcc, s10, v12
	v_addc_co_u32_e32 v1, vcc, v13, v1, vcc
	v_cmp_eq_u64_e32 vcc, 0, v[0:1]
	v_cndmask_b32_e32 v1, v1, v13, vcc
	v_cndmask_b32_e32 v0, v0, v12, vcc
	v_and_b32_e32 v3, v1, v3
	v_and_b32_e32 v2, v0, v2
	v_mul_lo_u32 v3, v3, 24
	v_mul_hi_u32 v12, v2, 24
	v_mul_lo_u32 v13, v2, 24
	s_waitcnt vmcnt(1)
	v_mov_b32_e32 v2, v10
	v_add_u32_e32 v3, v12, v3
	s_waitcnt vmcnt(0)
	v_add_co_u32_e32 v6, vcc, v6, v13
	v_addc_co_u32_e32 v7, vcc, v7, v3, vcc
	global_store_dwordx2 v[6:7], v[10:11], off
	v_mov_b32_e32 v3, v11
	s_waitcnt vmcnt(0)
	global_atomic_cmpswap_x2 v[2:3], v9, v[0:3], s[44:45] offset:24 glc
	s_waitcnt vmcnt(0)
	v_cmp_ne_u64_e32 vcc, v[2:3], v[10:11]
	s_and_b64 exec, exec, vcc
	s_cbranch_execz .LBB6_418
.LBB6_417:                              ; =>This Inner Loop Header: Depth=1
	s_sleep 1
	global_store_dwordx2 v[6:7], v[2:3], off
	s_waitcnt vmcnt(0)
	global_atomic_cmpswap_x2 v[10:11], v9, v[0:3], s[44:45] offset:24 glc
	s_waitcnt vmcnt(0)
	v_cmp_eq_u64_e32 vcc, v[10:11], v[2:3]
	v_mov_b32_e32 v2, v10
	s_or_b64 s[4:5], vcc, s[4:5]
	v_mov_b32_e32 v3, v11
	s_andn2_b64 exec, exec, s[4:5]
	s_cbranch_execnz .LBB6_417
.LBB6_418:
	s_or_b64 exec, exec, s[16:17]
	v_readfirstlane_b32 s4, v51
	v_mov_b32_e32 v6, 0
	v_mov_b32_e32 v7, 0
	v_cmp_eq_u32_e64 s[4:5], s4, v51
	s_and_saveexec_b64 s[10:11], s[4:5]
	s_cbranch_execz .LBB6_424
; %bb.419:
	v_mov_b32_e32 v0, 0
	global_load_dwordx2 v[11:12], v0, s[44:45] offset:24 glc
	s_waitcnt vmcnt(0)
	buffer_wbinvl1_vol
	global_load_dwordx2 v[1:2], v0, s[44:45] offset:40
	global_load_dwordx2 v[6:7], v0, s[44:45]
	s_waitcnt vmcnt(1)
	v_and_b32_e32 v1, v1, v11
	v_and_b32_e32 v2, v2, v12
	v_mul_lo_u32 v2, v2, 24
	v_mul_hi_u32 v3, v1, 24
	v_mul_lo_u32 v1, v1, 24
	v_add_u32_e32 v2, v3, v2
	s_waitcnt vmcnt(0)
	v_add_co_u32_e32 v1, vcc, v6, v1
	v_addc_co_u32_e32 v2, vcc, v7, v2, vcc
	global_load_dwordx2 v[9:10], v[1:2], off glc
	s_waitcnt vmcnt(0)
	global_atomic_cmpswap_x2 v[6:7], v0, v[9:12], s[44:45] offset:24 glc
	s_waitcnt vmcnt(0)
	buffer_wbinvl1_vol
	v_cmp_ne_u64_e32 vcc, v[6:7], v[11:12]
	s_and_saveexec_b64 s[16:17], vcc
	s_cbranch_execz .LBB6_423
; %bb.420:
	s_mov_b64 s[18:19], 0
.LBB6_421:                              ; =>This Inner Loop Header: Depth=1
	s_sleep 1
	global_load_dwordx2 v[1:2], v0, s[44:45] offset:40
	global_load_dwordx2 v[9:10], v0, s[44:45]
	v_mov_b32_e32 v12, v7
	v_mov_b32_e32 v11, v6
	s_waitcnt vmcnt(1)
	v_and_b32_e32 v1, v1, v11
	s_waitcnt vmcnt(0)
	v_mad_u64_u32 v[6:7], s[20:21], v1, 24, v[9:10]
	v_and_b32_e32 v2, v2, v12
	v_mov_b32_e32 v1, v7
	v_mad_u64_u32 v[1:2], s[20:21], v2, 24, v[1:2]
	v_mov_b32_e32 v7, v1
	global_load_dwordx2 v[9:10], v[6:7], off glc
	s_waitcnt vmcnt(0)
	global_atomic_cmpswap_x2 v[6:7], v0, v[9:12], s[44:45] offset:24 glc
	s_waitcnt vmcnt(0)
	buffer_wbinvl1_vol
	v_cmp_eq_u64_e32 vcc, v[6:7], v[11:12]
	s_or_b64 s[18:19], vcc, s[18:19]
	s_andn2_b64 exec, exec, s[18:19]
	s_cbranch_execnz .LBB6_421
; %bb.422:
	s_or_b64 exec, exec, s[18:19]
.LBB6_423:
	s_or_b64 exec, exec, s[16:17]
.LBB6_424:
	s_or_b64 exec, exec, s[10:11]
	v_mov_b32_e32 v10, 0
	global_load_dwordx2 v[11:12], v10, s[44:45] offset:40
	global_load_dwordx4 v[0:3], v10, s[44:45]
	v_readfirstlane_b32 s10, v6
	v_readfirstlane_b32 s11, v7
	s_mov_b64 s[16:17], exec
	s_waitcnt vmcnt(1)
	v_readfirstlane_b32 s18, v11
	v_readfirstlane_b32 s19, v12
	s_and_b64 s[18:19], s[10:11], s[18:19]
	s_mul_i32 s15, s19, 24
	s_mul_hi_u32 s20, s18, 24
	s_mul_i32 s21, s18, 24
	s_add_i32 s15, s20, s15
	v_mov_b32_e32 v7, s15
	s_waitcnt vmcnt(0)
	v_add_co_u32_e32 v6, vcc, s21, v0
	v_addc_co_u32_e32 v7, vcc, v1, v7, vcc
	s_and_saveexec_b64 s[20:21], s[4:5]
	s_cbranch_execz .LBB6_426
; %bb.425:
	v_mov_b32_e32 v11, s16
	v_mov_b32_e32 v12, s17
	;; [unrolled: 1-line block ×4, first 2 shown]
	global_store_dwordx4 v[6:7], v[11:14], off offset:8
.LBB6_426:
	s_or_b64 exec, exec, s[20:21]
	s_lshl_b64 s[16:17], s[18:19], 12
	v_mov_b32_e32 v9, s17
	v_add_co_u32_e32 v2, vcc, s16, v2
	v_addc_co_u32_e32 v3, vcc, v3, v9, vcc
	s_mov_b32 s16, 0
	v_mov_b32_e32 v9, 33
	v_mov_b32_e32 v11, v10
	;; [unrolled: 1-line block ×3, first 2 shown]
	v_readfirstlane_b32 s20, v2
	v_readfirstlane_b32 s21, v3
	v_add_co_u32_e32 v13, vcc, v2, v50
	s_mov_b32 s17, s16
	s_mov_b32 s18, s16
	;; [unrolled: 1-line block ×3, first 2 shown]
	s_nop 0
	global_store_dwordx4 v50, v[9:12], s[20:21]
	v_addc_co_u32_e32 v14, vcc, 0, v3, vcc
	v_mov_b32_e32 v9, s16
	v_mov_b32_e32 v10, s17
	;; [unrolled: 1-line block ×4, first 2 shown]
	global_store_dwordx4 v50, v[9:12], s[20:21] offset:16
	global_store_dwordx4 v50, v[9:12], s[20:21] offset:32
	;; [unrolled: 1-line block ×3, first 2 shown]
	s_and_saveexec_b64 s[16:17], s[4:5]
	s_cbranch_execz .LBB6_434
; %bb.427:
	v_mov_b32_e32 v11, 0
	global_load_dwordx2 v[17:18], v11, s[44:45] offset:32 glc
	global_load_dwordx2 v[2:3], v11, s[44:45] offset:40
	v_mov_b32_e32 v15, s10
	v_mov_b32_e32 v16, s11
	s_waitcnt vmcnt(0)
	v_readfirstlane_b32 s18, v2
	v_readfirstlane_b32 s19, v3
	s_and_b64 s[18:19], s[18:19], s[10:11]
	s_mul_i32 s15, s19, 24
	s_mul_hi_u32 s19, s18, 24
	s_mul_i32 s18, s18, 24
	s_add_i32 s15, s19, s15
	v_mov_b32_e32 v2, s15
	v_add_co_u32_e32 v9, vcc, s18, v0
	v_addc_co_u32_e32 v10, vcc, v1, v2, vcc
	global_store_dwordx2 v[9:10], v[17:18], off
	s_waitcnt vmcnt(0)
	global_atomic_cmpswap_x2 v[2:3], v11, v[15:18], s[44:45] offset:32 glc
	s_waitcnt vmcnt(0)
	v_cmp_ne_u64_e32 vcc, v[2:3], v[17:18]
	s_and_saveexec_b64 s[18:19], vcc
	s_cbranch_execz .LBB6_430
; %bb.428:
	s_mov_b64 s[20:21], 0
.LBB6_429:                              ; =>This Inner Loop Header: Depth=1
	s_sleep 1
	global_store_dwordx2 v[9:10], v[2:3], off
	v_mov_b32_e32 v0, s10
	v_mov_b32_e32 v1, s11
	s_waitcnt vmcnt(0)
	global_atomic_cmpswap_x2 v[0:1], v11, v[0:3], s[44:45] offset:32 glc
	s_waitcnt vmcnt(0)
	v_cmp_eq_u64_e32 vcc, v[0:1], v[2:3]
	v_mov_b32_e32 v3, v1
	s_or_b64 s[20:21], vcc, s[20:21]
	v_mov_b32_e32 v2, v0
	s_andn2_b64 exec, exec, s[20:21]
	s_cbranch_execnz .LBB6_429
.LBB6_430:
	s_or_b64 exec, exec, s[18:19]
	v_mov_b32_e32 v3, 0
	global_load_dwordx2 v[0:1], v3, s[44:45] offset:16
	s_mov_b64 s[18:19], exec
	v_mbcnt_lo_u32_b32 v2, s18, 0
	v_mbcnt_hi_u32_b32 v2, s19, v2
	v_cmp_eq_u32_e32 vcc, 0, v2
	s_and_saveexec_b64 s[20:21], vcc
	s_cbranch_execz .LBB6_432
; %bb.431:
	s_bcnt1_i32_b64 s15, s[18:19]
	v_mov_b32_e32 v2, s15
	s_waitcnt vmcnt(0)
	global_atomic_add_x2 v[0:1], v[2:3], off offset:8
.LBB6_432:
	s_or_b64 exec, exec, s[20:21]
	s_waitcnt vmcnt(0)
	global_load_dwordx2 v[2:3], v[0:1], off offset:16
	s_waitcnt vmcnt(0)
	v_cmp_eq_u64_e32 vcc, 0, v[2:3]
	s_cbranch_vccnz .LBB6_434
; %bb.433:
	global_load_dword v0, v[0:1], off offset:24
	v_mov_b32_e32 v1, 0
	s_waitcnt vmcnt(0)
	global_store_dwordx2 v[2:3], v[0:1], off
	v_and_b32_e32 v0, 0xffffff, v0
	v_readfirstlane_b32 m0, v0
	s_sendmsg sendmsg(MSG_INTERRUPT)
.LBB6_434:
	s_or_b64 exec, exec, s[16:17]
	s_branch .LBB6_438
.LBB6_435:                              ;   in Loop: Header=BB6_438 Depth=1
	s_or_b64 exec, exec, s[16:17]
	v_readfirstlane_b32 s15, v0
	s_cmp_eq_u32 s15, 0
	s_cbranch_scc1 .LBB6_437
; %bb.436:                              ;   in Loop: Header=BB6_438 Depth=1
	s_sleep 1
	s_cbranch_execnz .LBB6_438
	s_branch .LBB6_440
.LBB6_437:
	s_branch .LBB6_440
.LBB6_438:                              ; =>This Inner Loop Header: Depth=1
	v_mov_b32_e32 v0, 1
	s_and_saveexec_b64 s[16:17], s[4:5]
	s_cbranch_execz .LBB6_435
; %bb.439:                              ;   in Loop: Header=BB6_438 Depth=1
	global_load_dword v0, v[6:7], off offset:20 glc
	s_waitcnt vmcnt(0)
	buffer_wbinvl1_vol
	v_and_b32_e32 v0, 1, v0
	s_branch .LBB6_435
.LBB6_440:
	global_load_dwordx2 v[9:10], v[13:14], off
	s_and_saveexec_b64 s[16:17], s[4:5]
	s_cbranch_execz .LBB6_443
; %bb.441:
	v_mov_b32_e32 v11, 0
	global_load_dwordx2 v[2:3], v11, s[44:45] offset:40
	global_load_dwordx2 v[12:13], v11, s[44:45] offset:24 glc
	global_load_dwordx2 v[6:7], v11, s[44:45]
	v_mov_b32_e32 v1, s11
	s_mov_b64 s[4:5], 0
	s_waitcnt vmcnt(2)
	v_add_co_u32_e32 v14, vcc, 1, v2
	v_addc_co_u32_e32 v15, vcc, 0, v3, vcc
	v_add_co_u32_e32 v0, vcc, s10, v14
	v_addc_co_u32_e32 v1, vcc, v15, v1, vcc
	v_cmp_eq_u64_e32 vcc, 0, v[0:1]
	v_cndmask_b32_e32 v1, v1, v15, vcc
	v_cndmask_b32_e32 v0, v0, v14, vcc
	v_and_b32_e32 v3, v1, v3
	v_and_b32_e32 v2, v0, v2
	v_mul_lo_u32 v3, v3, 24
	v_mul_hi_u32 v14, v2, 24
	v_mul_lo_u32 v15, v2, 24
	s_waitcnt vmcnt(1)
	v_mov_b32_e32 v2, v12
	v_add_u32_e32 v3, v14, v3
	s_waitcnt vmcnt(0)
	v_add_co_u32_e32 v6, vcc, v6, v15
	v_addc_co_u32_e32 v7, vcc, v7, v3, vcc
	global_store_dwordx2 v[6:7], v[12:13], off
	v_mov_b32_e32 v3, v13
	s_waitcnt vmcnt(0)
	global_atomic_cmpswap_x2 v[2:3], v11, v[0:3], s[44:45] offset:24 glc
	s_waitcnt vmcnt(0)
	v_cmp_ne_u64_e32 vcc, v[2:3], v[12:13]
	s_and_b64 exec, exec, vcc
	s_cbranch_execz .LBB6_443
.LBB6_442:                              ; =>This Inner Loop Header: Depth=1
	s_sleep 1
	global_store_dwordx2 v[6:7], v[2:3], off
	s_waitcnt vmcnt(0)
	global_atomic_cmpswap_x2 v[12:13], v11, v[0:3], s[44:45] offset:24 glc
	s_waitcnt vmcnt(0)
	v_cmp_eq_u64_e32 vcc, v[12:13], v[2:3]
	v_mov_b32_e32 v2, v12
	s_or_b64 s[4:5], vcc, s[4:5]
	v_mov_b32_e32 v3, v13
	s_andn2_b64 exec, exec, s[4:5]
	s_cbranch_execnz .LBB6_442
.LBB6_443:
	s_or_b64 exec, exec, s[16:17]
	s_and_b64 vcc, exec, s[6:7]
	s_cbranch_vccz .LBB6_528
; %bb.444:
	s_waitcnt vmcnt(0)
	v_and_b32_e32 v33, 2, v9
	v_mov_b32_e32 v7, 0
	v_and_b32_e32 v0, -3, v9
	v_mov_b32_e32 v1, v10
	s_mov_b64 s[16:17], 3
	v_mov_b32_e32 v13, 2
	v_mov_b32_e32 v14, 1
	s_getpc_b64 s[10:11]
	s_add_u32 s10, s10, .str.7@rel32@lo+4
	s_addc_u32 s11, s11, .str.7@rel32@hi+12
	s_branch .LBB6_446
.LBB6_445:                              ;   in Loop: Header=BB6_446 Depth=1
	s_or_b64 exec, exec, s[22:23]
	s_sub_u32 s16, s16, s18
	s_subb_u32 s17, s17, s19
	s_add_u32 s10, s10, s18
	s_addc_u32 s11, s11, s19
	s_cmp_lg_u64 s[16:17], 0
	s_cbranch_scc0 .LBB6_527
.LBB6_446:                              ; =>This Loop Header: Depth=1
                                        ;     Child Loop BB6_449 Depth 2
                                        ;     Child Loop BB6_456 Depth 2
	;; [unrolled: 1-line block ×11, first 2 shown]
	v_cmp_lt_u64_e64 s[4:5], s[16:17], 56
	v_cmp_gt_u64_e64 s[20:21], s[16:17], 7
	s_and_b64 s[4:5], s[4:5], exec
	s_cselect_b32 s19, s17, 0
	s_cselect_b32 s18, s16, 56
	s_and_b64 vcc, exec, s[20:21]
	s_cbranch_vccnz .LBB6_451
; %bb.447:                              ;   in Loop: Header=BB6_446 Depth=1
	s_waitcnt vmcnt(0)
	v_mov_b32_e32 v2, 0
	s_cmp_eq_u64 s[16:17], 0
	v_mov_b32_e32 v3, 0
	s_mov_b64 s[4:5], 0
	s_cbranch_scc1 .LBB6_450
; %bb.448:                              ;   in Loop: Header=BB6_446 Depth=1
	v_mov_b32_e32 v2, 0
	s_lshl_b64 s[20:21], s[18:19], 3
	s_mov_b64 s[22:23], 0
	v_mov_b32_e32 v3, 0
	s_mov_b64 s[24:25], s[10:11]
.LBB6_449:                              ;   Parent Loop BB6_446 Depth=1
                                        ; =>  This Inner Loop Header: Depth=2
	global_load_ubyte v6, v7, s[24:25]
	s_waitcnt vmcnt(0)
	v_and_b32_e32 v6, 0xffff, v6
	v_lshlrev_b64 v[11:12], s22, v[6:7]
	s_add_u32 s22, s22, 8
	s_addc_u32 s23, s23, 0
	s_add_u32 s24, s24, 1
	s_addc_u32 s25, s25, 0
	v_or_b32_e32 v2, v11, v2
	s_cmp_lg_u32 s20, s22
	v_or_b32_e32 v3, v12, v3
	s_cbranch_scc1 .LBB6_449
.LBB6_450:                              ;   in Loop: Header=BB6_446 Depth=1
	s_mov_b32 s15, 0
	s_andn2_b64 vcc, exec, s[4:5]
	s_mov_b64 s[4:5], s[10:11]
	s_cbranch_vccz .LBB6_452
	s_branch .LBB6_453
.LBB6_451:                              ;   in Loop: Header=BB6_446 Depth=1
                                        ; implicit-def: $vgpr2_vgpr3
                                        ; implicit-def: $sgpr15
	s_mov_b64 s[4:5], s[10:11]
.LBB6_452:                              ;   in Loop: Header=BB6_446 Depth=1
	global_load_dwordx2 v[2:3], v7, s[10:11]
	s_add_i32 s15, s18, -8
	s_add_u32 s4, s10, 8
	s_addc_u32 s5, s11, 0
.LBB6_453:                              ;   in Loop: Header=BB6_446 Depth=1
	s_cmp_gt_u32 s15, 7
	s_cbranch_scc1 .LBB6_457
; %bb.454:                              ;   in Loop: Header=BB6_446 Depth=1
	s_cmp_eq_u32 s15, 0
	s_cbranch_scc1 .LBB6_458
; %bb.455:                              ;   in Loop: Header=BB6_446 Depth=1
	v_mov_b32_e32 v15, 0
	s_mov_b64 s[20:21], 0
	v_mov_b32_e32 v16, 0
	s_mov_b64 s[22:23], 0
.LBB6_456:                              ;   Parent Loop BB6_446 Depth=1
                                        ; =>  This Inner Loop Header: Depth=2
	s_add_u32 s24, s4, s22
	s_addc_u32 s25, s5, s23
	global_load_ubyte v6, v7, s[24:25]
	s_add_u32 s22, s22, 1
	s_addc_u32 s23, s23, 0
	s_waitcnt vmcnt(0)
	v_and_b32_e32 v6, 0xffff, v6
	v_lshlrev_b64 v[11:12], s20, v[6:7]
	s_add_u32 s20, s20, 8
	s_addc_u32 s21, s21, 0
	v_or_b32_e32 v15, v11, v15
	s_cmp_lg_u32 s15, s22
	v_or_b32_e32 v16, v12, v16
	s_cbranch_scc1 .LBB6_456
	s_branch .LBB6_459
.LBB6_457:                              ;   in Loop: Header=BB6_446 Depth=1
                                        ; implicit-def: $vgpr15_vgpr16
                                        ; implicit-def: $sgpr24
	s_branch .LBB6_460
.LBB6_458:                              ;   in Loop: Header=BB6_446 Depth=1
	v_mov_b32_e32 v15, 0
	v_mov_b32_e32 v16, 0
.LBB6_459:                              ;   in Loop: Header=BB6_446 Depth=1
	s_mov_b32 s24, 0
	s_cbranch_execnz .LBB6_461
.LBB6_460:                              ;   in Loop: Header=BB6_446 Depth=1
	global_load_dwordx2 v[15:16], v7, s[4:5]
	s_add_i32 s24, s15, -8
	s_add_u32 s4, s4, 8
	s_addc_u32 s5, s5, 0
.LBB6_461:                              ;   in Loop: Header=BB6_446 Depth=1
	s_cmp_gt_u32 s24, 7
	s_cbranch_scc1 .LBB6_465
; %bb.462:                              ;   in Loop: Header=BB6_446 Depth=1
	s_cmp_eq_u32 s24, 0
	s_cbranch_scc1 .LBB6_466
; %bb.463:                              ;   in Loop: Header=BB6_446 Depth=1
	v_mov_b32_e32 v17, 0
	s_mov_b64 s[20:21], 0
	v_mov_b32_e32 v18, 0
	s_mov_b64 s[22:23], 0
.LBB6_464:                              ;   Parent Loop BB6_446 Depth=1
                                        ; =>  This Inner Loop Header: Depth=2
	s_add_u32 s26, s4, s22
	s_addc_u32 s27, s5, s23
	global_load_ubyte v6, v7, s[26:27]
	s_add_u32 s22, s22, 1
	s_addc_u32 s23, s23, 0
	s_waitcnt vmcnt(0)
	v_and_b32_e32 v6, 0xffff, v6
	v_lshlrev_b64 v[11:12], s20, v[6:7]
	s_add_u32 s20, s20, 8
	s_addc_u32 s21, s21, 0
	v_or_b32_e32 v17, v11, v17
	s_cmp_lg_u32 s24, s22
	v_or_b32_e32 v18, v12, v18
	s_cbranch_scc1 .LBB6_464
	s_branch .LBB6_467
.LBB6_465:                              ;   in Loop: Header=BB6_446 Depth=1
                                        ; implicit-def: $sgpr15
	s_branch .LBB6_468
.LBB6_466:                              ;   in Loop: Header=BB6_446 Depth=1
	v_mov_b32_e32 v17, 0
	v_mov_b32_e32 v18, 0
.LBB6_467:                              ;   in Loop: Header=BB6_446 Depth=1
	s_mov_b32 s15, 0
	s_cbranch_execnz .LBB6_469
.LBB6_468:                              ;   in Loop: Header=BB6_446 Depth=1
	global_load_dwordx2 v[17:18], v7, s[4:5]
	s_add_i32 s15, s24, -8
	s_add_u32 s4, s4, 8
	s_addc_u32 s5, s5, 0
.LBB6_469:                              ;   in Loop: Header=BB6_446 Depth=1
	s_cmp_gt_u32 s15, 7
	s_cbranch_scc1 .LBB6_473
; %bb.470:                              ;   in Loop: Header=BB6_446 Depth=1
	s_cmp_eq_u32 s15, 0
	s_cbranch_scc1 .LBB6_474
; %bb.471:                              ;   in Loop: Header=BB6_446 Depth=1
	v_mov_b32_e32 v19, 0
	s_mov_b64 s[20:21], 0
	v_mov_b32_e32 v20, 0
	s_mov_b64 s[22:23], 0
.LBB6_472:                              ;   Parent Loop BB6_446 Depth=1
                                        ; =>  This Inner Loop Header: Depth=2
	s_add_u32 s24, s4, s22
	s_addc_u32 s25, s5, s23
	global_load_ubyte v6, v7, s[24:25]
	s_add_u32 s22, s22, 1
	s_addc_u32 s23, s23, 0
	s_waitcnt vmcnt(0)
	v_and_b32_e32 v6, 0xffff, v6
	v_lshlrev_b64 v[11:12], s20, v[6:7]
	s_add_u32 s20, s20, 8
	s_addc_u32 s21, s21, 0
	v_or_b32_e32 v19, v11, v19
	s_cmp_lg_u32 s15, s22
	v_or_b32_e32 v20, v12, v20
	s_cbranch_scc1 .LBB6_472
	s_branch .LBB6_475
.LBB6_473:                              ;   in Loop: Header=BB6_446 Depth=1
                                        ; implicit-def: $vgpr19_vgpr20
                                        ; implicit-def: $sgpr24
	s_branch .LBB6_476
.LBB6_474:                              ;   in Loop: Header=BB6_446 Depth=1
	v_mov_b32_e32 v19, 0
	v_mov_b32_e32 v20, 0
.LBB6_475:                              ;   in Loop: Header=BB6_446 Depth=1
	s_mov_b32 s24, 0
	s_cbranch_execnz .LBB6_477
.LBB6_476:                              ;   in Loop: Header=BB6_446 Depth=1
	global_load_dwordx2 v[19:20], v7, s[4:5]
	s_add_i32 s24, s15, -8
	s_add_u32 s4, s4, 8
	s_addc_u32 s5, s5, 0
.LBB6_477:                              ;   in Loop: Header=BB6_446 Depth=1
	s_cmp_gt_u32 s24, 7
	s_cbranch_scc1 .LBB6_481
; %bb.478:                              ;   in Loop: Header=BB6_446 Depth=1
	s_cmp_eq_u32 s24, 0
	s_cbranch_scc1 .LBB6_482
; %bb.479:                              ;   in Loop: Header=BB6_446 Depth=1
	v_mov_b32_e32 v21, 0
	s_mov_b64 s[20:21], 0
	v_mov_b32_e32 v22, 0
	s_mov_b64 s[22:23], 0
.LBB6_480:                              ;   Parent Loop BB6_446 Depth=1
                                        ; =>  This Inner Loop Header: Depth=2
	s_add_u32 s26, s4, s22
	s_addc_u32 s27, s5, s23
	global_load_ubyte v6, v7, s[26:27]
	s_add_u32 s22, s22, 1
	s_addc_u32 s23, s23, 0
	s_waitcnt vmcnt(0)
	v_and_b32_e32 v6, 0xffff, v6
	v_lshlrev_b64 v[11:12], s20, v[6:7]
	s_add_u32 s20, s20, 8
	s_addc_u32 s21, s21, 0
	v_or_b32_e32 v21, v11, v21
	s_cmp_lg_u32 s24, s22
	v_or_b32_e32 v22, v12, v22
	s_cbranch_scc1 .LBB6_480
	s_branch .LBB6_483
.LBB6_481:                              ;   in Loop: Header=BB6_446 Depth=1
                                        ; implicit-def: $sgpr15
	s_branch .LBB6_484
.LBB6_482:                              ;   in Loop: Header=BB6_446 Depth=1
	v_mov_b32_e32 v21, 0
	v_mov_b32_e32 v22, 0
.LBB6_483:                              ;   in Loop: Header=BB6_446 Depth=1
	s_mov_b32 s15, 0
	s_cbranch_execnz .LBB6_485
.LBB6_484:                              ;   in Loop: Header=BB6_446 Depth=1
	global_load_dwordx2 v[21:22], v7, s[4:5]
	s_add_i32 s15, s24, -8
	s_add_u32 s4, s4, 8
	s_addc_u32 s5, s5, 0
.LBB6_485:                              ;   in Loop: Header=BB6_446 Depth=1
	s_cmp_gt_u32 s15, 7
	s_cbranch_scc1 .LBB6_489
; %bb.486:                              ;   in Loop: Header=BB6_446 Depth=1
	s_cmp_eq_u32 s15, 0
	s_cbranch_scc1 .LBB6_490
; %bb.487:                              ;   in Loop: Header=BB6_446 Depth=1
	v_mov_b32_e32 v23, 0
	s_mov_b64 s[20:21], 0
	v_mov_b32_e32 v24, 0
	s_mov_b64 s[22:23], 0
.LBB6_488:                              ;   Parent Loop BB6_446 Depth=1
                                        ; =>  This Inner Loop Header: Depth=2
	s_add_u32 s24, s4, s22
	s_addc_u32 s25, s5, s23
	global_load_ubyte v6, v7, s[24:25]
	s_add_u32 s22, s22, 1
	s_addc_u32 s23, s23, 0
	s_waitcnt vmcnt(0)
	v_and_b32_e32 v6, 0xffff, v6
	v_lshlrev_b64 v[11:12], s20, v[6:7]
	s_add_u32 s20, s20, 8
	s_addc_u32 s21, s21, 0
	v_or_b32_e32 v23, v11, v23
	s_cmp_lg_u32 s15, s22
	v_or_b32_e32 v24, v12, v24
	s_cbranch_scc1 .LBB6_488
	s_branch .LBB6_491
.LBB6_489:                              ;   in Loop: Header=BB6_446 Depth=1
                                        ; implicit-def: $vgpr23_vgpr24
                                        ; implicit-def: $sgpr24
	s_branch .LBB6_492
.LBB6_490:                              ;   in Loop: Header=BB6_446 Depth=1
	v_mov_b32_e32 v23, 0
	v_mov_b32_e32 v24, 0
.LBB6_491:                              ;   in Loop: Header=BB6_446 Depth=1
	s_mov_b32 s24, 0
	s_cbranch_execnz .LBB6_493
.LBB6_492:                              ;   in Loop: Header=BB6_446 Depth=1
	global_load_dwordx2 v[23:24], v7, s[4:5]
	s_add_i32 s24, s15, -8
	s_add_u32 s4, s4, 8
	s_addc_u32 s5, s5, 0
.LBB6_493:                              ;   in Loop: Header=BB6_446 Depth=1
	s_cmp_gt_u32 s24, 7
	s_cbranch_scc1 .LBB6_497
; %bb.494:                              ;   in Loop: Header=BB6_446 Depth=1
	s_cmp_eq_u32 s24, 0
	s_cbranch_scc1 .LBB6_498
; %bb.495:                              ;   in Loop: Header=BB6_446 Depth=1
	v_mov_b32_e32 v25, 0
	s_mov_b64 s[20:21], 0
	v_mov_b32_e32 v26, 0
	s_mov_b64 s[22:23], s[4:5]
.LBB6_496:                              ;   Parent Loop BB6_446 Depth=1
                                        ; =>  This Inner Loop Header: Depth=2
	global_load_ubyte v6, v7, s[22:23]
	s_add_i32 s24, s24, -1
	s_waitcnt vmcnt(0)
	v_and_b32_e32 v6, 0xffff, v6
	v_lshlrev_b64 v[11:12], s20, v[6:7]
	s_add_u32 s20, s20, 8
	s_addc_u32 s21, s21, 0
	s_add_u32 s22, s22, 1
	s_addc_u32 s23, s23, 0
	v_or_b32_e32 v25, v11, v25
	s_cmp_lg_u32 s24, 0
	v_or_b32_e32 v26, v12, v26
	s_cbranch_scc1 .LBB6_496
	s_branch .LBB6_499
.LBB6_497:                              ;   in Loop: Header=BB6_446 Depth=1
	s_branch .LBB6_500
.LBB6_498:                              ;   in Loop: Header=BB6_446 Depth=1
	v_mov_b32_e32 v25, 0
	v_mov_b32_e32 v26, 0
.LBB6_499:                              ;   in Loop: Header=BB6_446 Depth=1
	s_cbranch_execnz .LBB6_501
.LBB6_500:                              ;   in Loop: Header=BB6_446 Depth=1
	global_load_dwordx2 v[25:26], v7, s[4:5]
.LBB6_501:                              ;   in Loop: Header=BB6_446 Depth=1
	v_readfirstlane_b32 s4, v51
	v_mov_b32_e32 v11, 0
	v_mov_b32_e32 v12, 0
	v_cmp_eq_u32_e64 s[4:5], s4, v51
	s_and_saveexec_b64 s[20:21], s[4:5]
	s_cbranch_execz .LBB6_507
; %bb.502:                              ;   in Loop: Header=BB6_446 Depth=1
	global_load_dwordx2 v[29:30], v7, s[44:45] offset:24 glc
	s_waitcnt vmcnt(0)
	buffer_wbinvl1_vol
	global_load_dwordx2 v[11:12], v7, s[44:45] offset:40
	global_load_dwordx2 v[27:28], v7, s[44:45]
	s_waitcnt vmcnt(1)
	v_and_b32_e32 v6, v11, v29
	v_and_b32_e32 v11, v12, v30
	v_mul_lo_u32 v11, v11, 24
	v_mul_hi_u32 v12, v6, 24
	v_mul_lo_u32 v6, v6, 24
	v_add_u32_e32 v12, v12, v11
	s_waitcnt vmcnt(0)
	v_add_co_u32_e32 v11, vcc, v27, v6
	v_addc_co_u32_e32 v12, vcc, v28, v12, vcc
	global_load_dwordx2 v[27:28], v[11:12], off glc
	s_waitcnt vmcnt(0)
	global_atomic_cmpswap_x2 v[11:12], v7, v[27:30], s[44:45] offset:24 glc
	s_waitcnt vmcnt(0)
	buffer_wbinvl1_vol
	v_cmp_ne_u64_e32 vcc, v[11:12], v[29:30]
	s_and_saveexec_b64 s[22:23], vcc
	s_cbranch_execz .LBB6_506
; %bb.503:                              ;   in Loop: Header=BB6_446 Depth=1
	s_mov_b64 s[24:25], 0
.LBB6_504:                              ;   Parent Loop BB6_446 Depth=1
                                        ; =>  This Inner Loop Header: Depth=2
	s_sleep 1
	global_load_dwordx2 v[27:28], v7, s[44:45] offset:40
	global_load_dwordx2 v[31:32], v7, s[44:45]
	v_mov_b32_e32 v30, v12
	v_mov_b32_e32 v29, v11
	s_waitcnt vmcnt(1)
	v_and_b32_e32 v6, v27, v29
	s_waitcnt vmcnt(0)
	v_mad_u64_u32 v[11:12], s[26:27], v6, 24, v[31:32]
	v_and_b32_e32 v27, v28, v30
	v_mov_b32_e32 v6, v12
	v_mad_u64_u32 v[27:28], s[26:27], v27, 24, v[6:7]
	v_mov_b32_e32 v12, v27
	global_load_dwordx2 v[27:28], v[11:12], off glc
	s_waitcnt vmcnt(0)
	global_atomic_cmpswap_x2 v[11:12], v7, v[27:30], s[44:45] offset:24 glc
	s_waitcnt vmcnt(0)
	buffer_wbinvl1_vol
	v_cmp_eq_u64_e32 vcc, v[11:12], v[29:30]
	s_or_b64 s[24:25], vcc, s[24:25]
	s_andn2_b64 exec, exec, s[24:25]
	s_cbranch_execnz .LBB6_504
; %bb.505:                              ;   in Loop: Header=BB6_446 Depth=1
	s_or_b64 exec, exec, s[24:25]
.LBB6_506:                              ;   in Loop: Header=BB6_446 Depth=1
	s_or_b64 exec, exec, s[22:23]
.LBB6_507:                              ;   in Loop: Header=BB6_446 Depth=1
	s_or_b64 exec, exec, s[20:21]
	global_load_dwordx2 v[31:32], v7, s[44:45] offset:40
	global_load_dwordx4 v[27:30], v7, s[44:45]
	v_readfirstlane_b32 s20, v11
	v_readfirstlane_b32 s21, v12
	s_mov_b64 s[22:23], exec
	s_waitcnt vmcnt(1)
	v_readfirstlane_b32 s24, v31
	v_readfirstlane_b32 s25, v32
	s_and_b64 s[24:25], s[20:21], s[24:25]
	s_mul_i32 s15, s25, 24
	s_mul_hi_u32 s26, s24, 24
	s_mul_i32 s27, s24, 24
	s_add_i32 s15, s26, s15
	v_mov_b32_e32 v6, s15
	s_waitcnt vmcnt(0)
	v_add_co_u32_e32 v31, vcc, s27, v27
	v_addc_co_u32_e32 v32, vcc, v28, v6, vcc
	s_and_saveexec_b64 s[26:27], s[4:5]
	s_cbranch_execz .LBB6_509
; %bb.508:                              ;   in Loop: Header=BB6_446 Depth=1
	v_mov_b32_e32 v11, s22
	v_mov_b32_e32 v12, s23
	global_store_dwordx4 v[31:32], v[11:14], off offset:8
.LBB6_509:                              ;   in Loop: Header=BB6_446 Depth=1
	s_or_b64 exec, exec, s[26:27]
	s_lshl_b64 s[22:23], s[24:25], 12
	v_mov_b32_e32 v6, s23
	v_add_co_u32_e32 v29, vcc, s22, v29
	v_addc_co_u32_e32 v30, vcc, v30, v6, vcc
	v_cmp_gt_u64_e64 vcc, s[16:17], 56
	v_or_b32_e32 v11, v0, v33
	s_lshl_b32 s15, s18, 2
	v_cndmask_b32_e32 v0, v11, v0, vcc
	s_add_i32 s15, s15, 28
	v_or_b32_e32 v6, 0, v1
	s_and_b32 s15, s15, 0x1e0
	v_and_b32_e32 v0, 0xffffff1f, v0
	v_cndmask_b32_e32 v1, v6, v1, vcc
	v_or_b32_e32 v0, s15, v0
	v_readfirstlane_b32 s22, v29
	v_readfirstlane_b32 s23, v30
	s_nop 4
	global_store_dwordx4 v50, v[0:3], s[22:23]
	global_store_dwordx4 v50, v[15:18], s[22:23] offset:16
	global_store_dwordx4 v50, v[19:22], s[22:23] offset:32
	;; [unrolled: 1-line block ×3, first 2 shown]
	s_and_saveexec_b64 s[22:23], s[4:5]
	s_cbranch_execz .LBB6_517
; %bb.510:                              ;   in Loop: Header=BB6_446 Depth=1
	global_load_dwordx2 v[17:18], v7, s[44:45] offset:32 glc
	global_load_dwordx2 v[0:1], v7, s[44:45] offset:40
	v_mov_b32_e32 v15, s20
	v_mov_b32_e32 v16, s21
	s_waitcnt vmcnt(0)
	v_readfirstlane_b32 s24, v0
	v_readfirstlane_b32 s25, v1
	s_and_b64 s[24:25], s[24:25], s[20:21]
	s_mul_i32 s15, s25, 24
	s_mul_hi_u32 s25, s24, 24
	s_mul_i32 s24, s24, 24
	s_add_i32 s15, s25, s15
	v_mov_b32_e32 v0, s15
	v_add_co_u32_e32 v11, vcc, s24, v27
	v_addc_co_u32_e32 v12, vcc, v28, v0, vcc
	global_store_dwordx2 v[11:12], v[17:18], off
	s_waitcnt vmcnt(0)
	global_atomic_cmpswap_x2 v[2:3], v7, v[15:18], s[44:45] offset:32 glc
	s_waitcnt vmcnt(0)
	v_cmp_ne_u64_e32 vcc, v[2:3], v[17:18]
	s_and_saveexec_b64 s[24:25], vcc
	s_cbranch_execz .LBB6_513
; %bb.511:                              ;   in Loop: Header=BB6_446 Depth=1
	s_mov_b64 s[26:27], 0
.LBB6_512:                              ;   Parent Loop BB6_446 Depth=1
                                        ; =>  This Inner Loop Header: Depth=2
	s_sleep 1
	global_store_dwordx2 v[11:12], v[2:3], off
	v_mov_b32_e32 v0, s20
	v_mov_b32_e32 v1, s21
	s_waitcnt vmcnt(0)
	global_atomic_cmpswap_x2 v[0:1], v7, v[0:3], s[44:45] offset:32 glc
	s_waitcnt vmcnt(0)
	v_cmp_eq_u64_e32 vcc, v[0:1], v[2:3]
	v_mov_b32_e32 v3, v1
	s_or_b64 s[26:27], vcc, s[26:27]
	v_mov_b32_e32 v2, v0
	s_andn2_b64 exec, exec, s[26:27]
	s_cbranch_execnz .LBB6_512
.LBB6_513:                              ;   in Loop: Header=BB6_446 Depth=1
	s_or_b64 exec, exec, s[24:25]
	global_load_dwordx2 v[0:1], v7, s[44:45] offset:16
	s_mov_b64 s[26:27], exec
	v_mbcnt_lo_u32_b32 v2, s26, 0
	v_mbcnt_hi_u32_b32 v2, s27, v2
	v_cmp_eq_u32_e32 vcc, 0, v2
	s_and_saveexec_b64 s[24:25], vcc
	s_cbranch_execz .LBB6_515
; %bb.514:                              ;   in Loop: Header=BB6_446 Depth=1
	s_bcnt1_i32_b64 s15, s[26:27]
	v_mov_b32_e32 v6, s15
	s_waitcnt vmcnt(0)
	global_atomic_add_x2 v[0:1], v[6:7], off offset:8
.LBB6_515:                              ;   in Loop: Header=BB6_446 Depth=1
	s_or_b64 exec, exec, s[24:25]
	s_waitcnt vmcnt(0)
	global_load_dwordx2 v[2:3], v[0:1], off offset:16
	s_waitcnt vmcnt(0)
	v_cmp_eq_u64_e32 vcc, 0, v[2:3]
	s_cbranch_vccnz .LBB6_517
; %bb.516:                              ;   in Loop: Header=BB6_446 Depth=1
	global_load_dword v6, v[0:1], off offset:24
	s_waitcnt vmcnt(0)
	v_and_b32_e32 v0, 0xffffff, v6
	v_readfirstlane_b32 m0, v0
	global_store_dwordx2 v[2:3], v[6:7], off
	s_sendmsg sendmsg(MSG_INTERRUPT)
.LBB6_517:                              ;   in Loop: Header=BB6_446 Depth=1
	s_or_b64 exec, exec, s[22:23]
	v_add_co_u32_e32 v0, vcc, v29, v50
	v_addc_co_u32_e32 v1, vcc, 0, v30, vcc
	s_branch .LBB6_521
.LBB6_518:                              ;   in Loop: Header=BB6_521 Depth=2
	s_or_b64 exec, exec, s[22:23]
	v_readfirstlane_b32 s15, v2
	s_cmp_eq_u32 s15, 0
	s_cbranch_scc1 .LBB6_520
; %bb.519:                              ;   in Loop: Header=BB6_521 Depth=2
	s_sleep 1
	s_cbranch_execnz .LBB6_521
	s_branch .LBB6_523
.LBB6_520:                              ;   in Loop: Header=BB6_446 Depth=1
	s_branch .LBB6_523
.LBB6_521:                              ;   Parent Loop BB6_446 Depth=1
                                        ; =>  This Inner Loop Header: Depth=2
	v_mov_b32_e32 v2, 1
	s_and_saveexec_b64 s[22:23], s[4:5]
	s_cbranch_execz .LBB6_518
; %bb.522:                              ;   in Loop: Header=BB6_521 Depth=2
	global_load_dword v2, v[31:32], off offset:20 glc
	s_waitcnt vmcnt(0)
	buffer_wbinvl1_vol
	v_and_b32_e32 v2, 1, v2
	s_branch .LBB6_518
.LBB6_523:                              ;   in Loop: Header=BB6_446 Depth=1
	global_load_dwordx4 v[0:3], v[0:1], off
	s_and_saveexec_b64 s[22:23], s[4:5]
	s_cbranch_execz .LBB6_445
; %bb.524:                              ;   in Loop: Header=BB6_446 Depth=1
	global_load_dwordx2 v[2:3], v7, s[44:45] offset:40
	global_load_dwordx2 v[11:12], v7, s[44:45] offset:24 glc
	global_load_dwordx2 v[18:19], v7, s[44:45]
	v_mov_b32_e32 v6, s21
	s_waitcnt vmcnt(2)
	v_add_co_u32_e32 v17, vcc, 1, v2
	v_addc_co_u32_e32 v20, vcc, 0, v3, vcc
	v_add_co_u32_e32 v15, vcc, s20, v17
	v_addc_co_u32_e32 v16, vcc, v20, v6, vcc
	v_cmp_eq_u64_e32 vcc, 0, v[15:16]
	v_cndmask_b32_e32 v16, v16, v20, vcc
	v_cndmask_b32_e32 v15, v15, v17, vcc
	v_and_b32_e32 v3, v16, v3
	v_and_b32_e32 v2, v15, v2
	v_mul_lo_u32 v3, v3, 24
	v_mul_hi_u32 v6, v2, 24
	v_mul_lo_u32 v2, v2, 24
	s_waitcnt vmcnt(1)
	v_mov_b32_e32 v17, v11
	v_add_u32_e32 v3, v6, v3
	s_waitcnt vmcnt(0)
	v_add_co_u32_e32 v2, vcc, v18, v2
	v_addc_co_u32_e32 v3, vcc, v19, v3, vcc
	global_store_dwordx2 v[2:3], v[11:12], off
	v_mov_b32_e32 v18, v12
	s_waitcnt vmcnt(0)
	global_atomic_cmpswap_x2 v[17:18], v7, v[15:18], s[44:45] offset:24 glc
	s_waitcnt vmcnt(0)
	v_cmp_ne_u64_e32 vcc, v[17:18], v[11:12]
	s_and_b64 exec, exec, vcc
	s_cbranch_execz .LBB6_445
; %bb.525:                              ;   in Loop: Header=BB6_446 Depth=1
	s_mov_b64 s[4:5], 0
.LBB6_526:                              ;   Parent Loop BB6_446 Depth=1
                                        ; =>  This Inner Loop Header: Depth=2
	s_sleep 1
	global_store_dwordx2 v[2:3], v[17:18], off
	s_waitcnt vmcnt(0)
	global_atomic_cmpswap_x2 v[11:12], v7, v[15:18], s[44:45] offset:24 glc
	s_waitcnt vmcnt(0)
	v_cmp_eq_u64_e32 vcc, v[11:12], v[17:18]
	v_mov_b32_e32 v18, v12
	s_or_b64 s[4:5], vcc, s[4:5]
	v_mov_b32_e32 v17, v11
	s_andn2_b64 exec, exec, s[4:5]
	s_cbranch_execnz .LBB6_526
	s_branch .LBB6_445
.LBB6_527:
	s_branch .LBB6_555
.LBB6_528:
                                        ; implicit-def: $vgpr0_vgpr1
	s_cbranch_execz .LBB6_555
; %bb.529:
	v_readfirstlane_b32 s4, v51
	v_mov_b32_e32 v6, 0
	v_mov_b32_e32 v7, 0
	v_cmp_eq_u32_e64 s[4:5], s4, v51
	s_and_saveexec_b64 s[10:11], s[4:5]
	s_cbranch_execz .LBB6_535
; %bb.530:
	s_waitcnt vmcnt(0)
	v_mov_b32_e32 v0, 0
	global_load_dwordx2 v[13:14], v0, s[44:45] offset:24 glc
	s_waitcnt vmcnt(0)
	buffer_wbinvl1_vol
	global_load_dwordx2 v[1:2], v0, s[44:45] offset:40
	global_load_dwordx2 v[6:7], v0, s[44:45]
	s_waitcnt vmcnt(1)
	v_and_b32_e32 v1, v1, v13
	v_and_b32_e32 v2, v2, v14
	v_mul_lo_u32 v2, v2, 24
	v_mul_hi_u32 v3, v1, 24
	v_mul_lo_u32 v1, v1, 24
	v_add_u32_e32 v2, v3, v2
	s_waitcnt vmcnt(0)
	v_add_co_u32_e32 v1, vcc, v6, v1
	v_addc_co_u32_e32 v2, vcc, v7, v2, vcc
	global_load_dwordx2 v[11:12], v[1:2], off glc
	s_waitcnt vmcnt(0)
	global_atomic_cmpswap_x2 v[6:7], v0, v[11:14], s[44:45] offset:24 glc
	s_waitcnt vmcnt(0)
	buffer_wbinvl1_vol
	v_cmp_ne_u64_e32 vcc, v[6:7], v[13:14]
	s_and_saveexec_b64 s[16:17], vcc
	s_cbranch_execz .LBB6_534
; %bb.531:
	s_mov_b64 s[18:19], 0
.LBB6_532:                              ; =>This Inner Loop Header: Depth=1
	s_sleep 1
	global_load_dwordx2 v[1:2], v0, s[44:45] offset:40
	global_load_dwordx2 v[11:12], v0, s[44:45]
	v_mov_b32_e32 v14, v7
	v_mov_b32_e32 v13, v6
	s_waitcnt vmcnt(1)
	v_and_b32_e32 v1, v1, v13
	s_waitcnt vmcnt(0)
	v_mad_u64_u32 v[6:7], s[20:21], v1, 24, v[11:12]
	v_and_b32_e32 v2, v2, v14
	v_mov_b32_e32 v1, v7
	v_mad_u64_u32 v[1:2], s[20:21], v2, 24, v[1:2]
	v_mov_b32_e32 v7, v1
	global_load_dwordx2 v[11:12], v[6:7], off glc
	s_waitcnt vmcnt(0)
	global_atomic_cmpswap_x2 v[6:7], v0, v[11:14], s[44:45] offset:24 glc
	s_waitcnt vmcnt(0)
	buffer_wbinvl1_vol
	v_cmp_eq_u64_e32 vcc, v[6:7], v[13:14]
	s_or_b64 s[18:19], vcc, s[18:19]
	s_andn2_b64 exec, exec, s[18:19]
	s_cbranch_execnz .LBB6_532
; %bb.533:
	s_or_b64 exec, exec, s[18:19]
.LBB6_534:
	s_or_b64 exec, exec, s[16:17]
.LBB6_535:
	s_or_b64 exec, exec, s[10:11]
	v_mov_b32_e32 v11, 0
	global_load_dwordx2 v[12:13], v11, s[44:45] offset:40
	global_load_dwordx4 v[0:3], v11, s[44:45]
	v_readfirstlane_b32 s10, v6
	v_readfirstlane_b32 s11, v7
	s_mov_b64 s[16:17], exec
	s_waitcnt vmcnt(1)
	v_readfirstlane_b32 s18, v12
	v_readfirstlane_b32 s19, v13
	s_and_b64 s[18:19], s[10:11], s[18:19]
	s_mul_i32 s15, s19, 24
	s_mul_hi_u32 s20, s18, 24
	s_mul_i32 s21, s18, 24
	s_add_i32 s15, s20, s15
	v_mov_b32_e32 v7, s15
	s_waitcnt vmcnt(0)
	v_add_co_u32_e32 v6, vcc, s21, v0
	v_addc_co_u32_e32 v7, vcc, v1, v7, vcc
	s_and_saveexec_b64 s[20:21], s[4:5]
	s_cbranch_execz .LBB6_537
; %bb.536:
	v_mov_b32_e32 v12, s16
	v_mov_b32_e32 v13, s17
	;; [unrolled: 1-line block ×4, first 2 shown]
	global_store_dwordx4 v[6:7], v[12:15], off offset:8
.LBB6_537:
	s_or_b64 exec, exec, s[20:21]
	s_lshl_b64 s[16:17], s[18:19], 12
	v_mov_b32_e32 v12, s17
	v_add_co_u32_e32 v2, vcc, s16, v2
	v_addc_co_u32_e32 v3, vcc, v3, v12, vcc
	s_movk_i32 s15, 0xff1f
	v_and_or_b32 v9, v9, s15, 32
	s_mov_b32 s16, 0
	v_mov_b32_e32 v12, v11
	v_readfirstlane_b32 s20, v2
	v_readfirstlane_b32 s21, v3
	v_add_co_u32_e32 v13, vcc, v2, v50
	s_mov_b32 s17, s16
	s_mov_b32 s18, s16
	s_mov_b32 s19, s16
	s_nop 0
	global_store_dwordx4 v50, v[9:12], s[20:21]
	v_addc_co_u32_e32 v14, vcc, 0, v3, vcc
	v_mov_b32_e32 v9, s16
	v_mov_b32_e32 v10, s17
	;; [unrolled: 1-line block ×4, first 2 shown]
	global_store_dwordx4 v50, v[9:12], s[20:21] offset:16
	global_store_dwordx4 v50, v[9:12], s[20:21] offset:32
	;; [unrolled: 1-line block ×3, first 2 shown]
	s_and_saveexec_b64 s[16:17], s[4:5]
	s_cbranch_execz .LBB6_545
; %bb.538:
	v_mov_b32_e32 v11, 0
	global_load_dwordx2 v[17:18], v11, s[44:45] offset:32 glc
	global_load_dwordx2 v[2:3], v11, s[44:45] offset:40
	v_mov_b32_e32 v15, s10
	v_mov_b32_e32 v16, s11
	s_waitcnt vmcnt(0)
	v_readfirstlane_b32 s18, v2
	v_readfirstlane_b32 s19, v3
	s_and_b64 s[18:19], s[18:19], s[10:11]
	s_mul_i32 s15, s19, 24
	s_mul_hi_u32 s19, s18, 24
	s_mul_i32 s18, s18, 24
	s_add_i32 s15, s19, s15
	v_mov_b32_e32 v2, s15
	v_add_co_u32_e32 v9, vcc, s18, v0
	v_addc_co_u32_e32 v10, vcc, v1, v2, vcc
	global_store_dwordx2 v[9:10], v[17:18], off
	s_waitcnt vmcnt(0)
	global_atomic_cmpswap_x2 v[2:3], v11, v[15:18], s[44:45] offset:32 glc
	s_waitcnt vmcnt(0)
	v_cmp_ne_u64_e32 vcc, v[2:3], v[17:18]
	s_and_saveexec_b64 s[18:19], vcc
	s_cbranch_execz .LBB6_541
; %bb.539:
	s_mov_b64 s[20:21], 0
.LBB6_540:                              ; =>This Inner Loop Header: Depth=1
	s_sleep 1
	global_store_dwordx2 v[9:10], v[2:3], off
	v_mov_b32_e32 v0, s10
	v_mov_b32_e32 v1, s11
	s_waitcnt vmcnt(0)
	global_atomic_cmpswap_x2 v[0:1], v11, v[0:3], s[44:45] offset:32 glc
	s_waitcnt vmcnt(0)
	v_cmp_eq_u64_e32 vcc, v[0:1], v[2:3]
	v_mov_b32_e32 v3, v1
	s_or_b64 s[20:21], vcc, s[20:21]
	v_mov_b32_e32 v2, v0
	s_andn2_b64 exec, exec, s[20:21]
	s_cbranch_execnz .LBB6_540
.LBB6_541:
	s_or_b64 exec, exec, s[18:19]
	v_mov_b32_e32 v3, 0
	global_load_dwordx2 v[0:1], v3, s[44:45] offset:16
	s_mov_b64 s[18:19], exec
	v_mbcnt_lo_u32_b32 v2, s18, 0
	v_mbcnt_hi_u32_b32 v2, s19, v2
	v_cmp_eq_u32_e32 vcc, 0, v2
	s_and_saveexec_b64 s[20:21], vcc
	s_cbranch_execz .LBB6_543
; %bb.542:
	s_bcnt1_i32_b64 s15, s[18:19]
	v_mov_b32_e32 v2, s15
	s_waitcnt vmcnt(0)
	global_atomic_add_x2 v[0:1], v[2:3], off offset:8
.LBB6_543:
	s_or_b64 exec, exec, s[20:21]
	s_waitcnt vmcnt(0)
	global_load_dwordx2 v[2:3], v[0:1], off offset:16
	s_waitcnt vmcnt(0)
	v_cmp_eq_u64_e32 vcc, 0, v[2:3]
	s_cbranch_vccnz .LBB6_545
; %bb.544:
	global_load_dword v0, v[0:1], off offset:24
	v_mov_b32_e32 v1, 0
	s_waitcnt vmcnt(0)
	global_store_dwordx2 v[2:3], v[0:1], off
	v_and_b32_e32 v0, 0xffffff, v0
	v_readfirstlane_b32 m0, v0
	s_sendmsg sendmsg(MSG_INTERRUPT)
.LBB6_545:
	s_or_b64 exec, exec, s[16:17]
	s_branch .LBB6_549
.LBB6_546:                              ;   in Loop: Header=BB6_549 Depth=1
	s_or_b64 exec, exec, s[16:17]
	v_readfirstlane_b32 s15, v0
	s_cmp_eq_u32 s15, 0
	s_cbranch_scc1 .LBB6_548
; %bb.547:                              ;   in Loop: Header=BB6_549 Depth=1
	s_sleep 1
	s_cbranch_execnz .LBB6_549
	s_branch .LBB6_551
.LBB6_548:
	s_branch .LBB6_551
.LBB6_549:                              ; =>This Inner Loop Header: Depth=1
	v_mov_b32_e32 v0, 1
	s_and_saveexec_b64 s[16:17], s[4:5]
	s_cbranch_execz .LBB6_546
; %bb.550:                              ;   in Loop: Header=BB6_549 Depth=1
	global_load_dword v0, v[6:7], off offset:20 glc
	s_waitcnt vmcnt(0)
	buffer_wbinvl1_vol
	v_and_b32_e32 v0, 1, v0
	s_branch .LBB6_546
.LBB6_551:
	global_load_dwordx2 v[0:1], v[13:14], off
	s_and_saveexec_b64 s[16:17], s[4:5]
	s_cbranch_execz .LBB6_554
; %bb.552:
	v_mov_b32_e32 v6, 0
	global_load_dwordx2 v[2:3], v6, s[44:45] offset:40
	global_load_dwordx2 v[13:14], v6, s[44:45] offset:24 glc
	global_load_dwordx2 v[15:16], v6, s[44:45]
	v_mov_b32_e32 v7, s11
	s_mov_b64 s[4:5], 0
	s_waitcnt vmcnt(2)
	v_add_co_u32_e32 v11, vcc, 1, v2
	v_addc_co_u32_e32 v12, vcc, 0, v3, vcc
	v_add_co_u32_e32 v9, vcc, s10, v11
	v_addc_co_u32_e32 v10, vcc, v12, v7, vcc
	v_cmp_eq_u64_e32 vcc, 0, v[9:10]
	v_cndmask_b32_e32 v10, v10, v12, vcc
	v_cndmask_b32_e32 v9, v9, v11, vcc
	v_and_b32_e32 v3, v10, v3
	v_and_b32_e32 v2, v9, v2
	v_mul_lo_u32 v3, v3, 24
	v_mul_hi_u32 v7, v2, 24
	v_mul_lo_u32 v2, v2, 24
	s_waitcnt vmcnt(1)
	v_mov_b32_e32 v11, v13
	v_mov_b32_e32 v12, v14
	v_add_u32_e32 v3, v7, v3
	s_waitcnt vmcnt(0)
	v_add_co_u32_e32 v2, vcc, v15, v2
	v_addc_co_u32_e32 v3, vcc, v16, v3, vcc
	global_store_dwordx2 v[2:3], v[13:14], off
	s_waitcnt vmcnt(0)
	global_atomic_cmpswap_x2 v[11:12], v6, v[9:12], s[44:45] offset:24 glc
	s_waitcnt vmcnt(0)
	v_cmp_ne_u64_e32 vcc, v[11:12], v[13:14]
	s_and_b64 exec, exec, vcc
	s_cbranch_execz .LBB6_554
.LBB6_553:                              ; =>This Inner Loop Header: Depth=1
	s_sleep 1
	global_store_dwordx2 v[2:3], v[11:12], off
	s_waitcnt vmcnt(0)
	global_atomic_cmpswap_x2 v[13:14], v6, v[9:12], s[44:45] offset:24 glc
	s_waitcnt vmcnt(0)
	v_cmp_eq_u64_e32 vcc, v[13:14], v[11:12]
	v_mov_b32_e32 v11, v13
	s_or_b64 s[4:5], vcc, s[4:5]
	v_mov_b32_e32 v12, v14
	s_andn2_b64 exec, exec, s[4:5]
	s_cbranch_execnz .LBB6_553
.LBB6_554:
	s_or_b64 exec, exec, s[16:17]
.LBB6_555:
	s_getpc_b64 s[10:11]
	s_add_u32 s10, s10, .str.1@rel32@lo+4
	s_addc_u32 s11, s11, .str.1@rel32@hi+12
	s_cmp_lg_u64 s[10:11], 0
	s_cbranch_scc0 .LBB6_640
; %bb.556:
	s_waitcnt vmcnt(0)
	v_and_b32_e32 v13, -3, v0
	v_mov_b32_e32 v14, v1
	s_mov_b64 s[16:17], 0x4f
	v_mov_b32_e32 v3, 0
	v_mov_b32_e32 v11, 2
	;; [unrolled: 1-line block ×3, first 2 shown]
	s_branch .LBB6_558
.LBB6_557:                              ;   in Loop: Header=BB6_558 Depth=1
	s_or_b64 exec, exec, s[22:23]
	s_sub_u32 s16, s16, s18
	s_subb_u32 s17, s17, s19
	s_add_u32 s10, s10, s18
	s_addc_u32 s11, s11, s19
	s_cmp_lg_u64 s[16:17], 0
	s_cbranch_scc0 .LBB6_639
.LBB6_558:                              ; =>This Loop Header: Depth=1
                                        ;     Child Loop BB6_561 Depth 2
                                        ;     Child Loop BB6_568 Depth 2
	;; [unrolled: 1-line block ×11, first 2 shown]
	v_cmp_lt_u64_e64 s[4:5], s[16:17], 56
	v_cmp_gt_u64_e64 s[20:21], s[16:17], 7
	s_and_b64 s[4:5], s[4:5], exec
	s_cselect_b32 s19, s17, 0
	s_cselect_b32 s18, s16, 56
	s_and_b64 vcc, exec, s[20:21]
	s_cbranch_vccnz .LBB6_563
; %bb.559:                              ;   in Loop: Header=BB6_558 Depth=1
	s_waitcnt vmcnt(0)
	v_mov_b32_e32 v15, 0
	s_cmp_eq_u64 s[16:17], 0
	v_mov_b32_e32 v16, 0
	s_mov_b64 s[4:5], 0
	s_cbranch_scc1 .LBB6_562
; %bb.560:                              ;   in Loop: Header=BB6_558 Depth=1
	v_mov_b32_e32 v15, 0
	s_lshl_b64 s[20:21], s[18:19], 3
	s_mov_b64 s[22:23], 0
	v_mov_b32_e32 v16, 0
	s_mov_b64 s[24:25], s[10:11]
.LBB6_561:                              ;   Parent Loop BB6_558 Depth=1
                                        ; =>  This Inner Loop Header: Depth=2
	global_load_ubyte v2, v3, s[24:25]
	s_waitcnt vmcnt(0)
	v_and_b32_e32 v2, 0xffff, v2
	v_lshlrev_b64 v[6:7], s22, v[2:3]
	s_add_u32 s22, s22, 8
	s_addc_u32 s23, s23, 0
	s_add_u32 s24, s24, 1
	s_addc_u32 s25, s25, 0
	v_or_b32_e32 v15, v6, v15
	s_cmp_lg_u32 s20, s22
	v_or_b32_e32 v16, v7, v16
	s_cbranch_scc1 .LBB6_561
.LBB6_562:                              ;   in Loop: Header=BB6_558 Depth=1
	s_mov_b32 s15, 0
	s_andn2_b64 vcc, exec, s[4:5]
	s_mov_b64 s[4:5], s[10:11]
	s_cbranch_vccz .LBB6_564
	s_branch .LBB6_565
.LBB6_563:                              ;   in Loop: Header=BB6_558 Depth=1
                                        ; implicit-def: $sgpr15
	s_mov_b64 s[4:5], s[10:11]
.LBB6_564:                              ;   in Loop: Header=BB6_558 Depth=1
	global_load_dwordx2 v[15:16], v3, s[10:11]
	s_add_i32 s15, s18, -8
	s_add_u32 s4, s10, 8
	s_addc_u32 s5, s11, 0
.LBB6_565:                              ;   in Loop: Header=BB6_558 Depth=1
	s_cmp_gt_u32 s15, 7
	s_cbranch_scc1 .LBB6_569
; %bb.566:                              ;   in Loop: Header=BB6_558 Depth=1
	s_cmp_eq_u32 s15, 0
	s_cbranch_scc1 .LBB6_570
; %bb.567:                              ;   in Loop: Header=BB6_558 Depth=1
	v_mov_b32_e32 v17, 0
	s_mov_b64 s[20:21], 0
	v_mov_b32_e32 v18, 0
	s_mov_b64 s[22:23], 0
.LBB6_568:                              ;   Parent Loop BB6_558 Depth=1
                                        ; =>  This Inner Loop Header: Depth=2
	s_add_u32 s24, s4, s22
	s_addc_u32 s25, s5, s23
	global_load_ubyte v2, v3, s[24:25]
	s_add_u32 s22, s22, 1
	s_addc_u32 s23, s23, 0
	s_waitcnt vmcnt(0)
	v_and_b32_e32 v2, 0xffff, v2
	v_lshlrev_b64 v[6:7], s20, v[2:3]
	s_add_u32 s20, s20, 8
	s_addc_u32 s21, s21, 0
	v_or_b32_e32 v17, v6, v17
	s_cmp_lg_u32 s15, s22
	v_or_b32_e32 v18, v7, v18
	s_cbranch_scc1 .LBB6_568
	s_branch .LBB6_571
.LBB6_569:                              ;   in Loop: Header=BB6_558 Depth=1
                                        ; implicit-def: $vgpr17_vgpr18
                                        ; implicit-def: $sgpr24
	s_branch .LBB6_572
.LBB6_570:                              ;   in Loop: Header=BB6_558 Depth=1
	v_mov_b32_e32 v17, 0
	v_mov_b32_e32 v18, 0
.LBB6_571:                              ;   in Loop: Header=BB6_558 Depth=1
	s_mov_b32 s24, 0
	s_cbranch_execnz .LBB6_573
.LBB6_572:                              ;   in Loop: Header=BB6_558 Depth=1
	global_load_dwordx2 v[17:18], v3, s[4:5]
	s_add_i32 s24, s15, -8
	s_add_u32 s4, s4, 8
	s_addc_u32 s5, s5, 0
.LBB6_573:                              ;   in Loop: Header=BB6_558 Depth=1
	s_cmp_gt_u32 s24, 7
	s_cbranch_scc1 .LBB6_577
; %bb.574:                              ;   in Loop: Header=BB6_558 Depth=1
	s_cmp_eq_u32 s24, 0
	s_cbranch_scc1 .LBB6_578
; %bb.575:                              ;   in Loop: Header=BB6_558 Depth=1
	v_mov_b32_e32 v19, 0
	s_mov_b64 s[20:21], 0
	v_mov_b32_e32 v20, 0
	s_mov_b64 s[22:23], 0
.LBB6_576:                              ;   Parent Loop BB6_558 Depth=1
                                        ; =>  This Inner Loop Header: Depth=2
	s_add_u32 s26, s4, s22
	s_addc_u32 s27, s5, s23
	global_load_ubyte v2, v3, s[26:27]
	s_add_u32 s22, s22, 1
	s_addc_u32 s23, s23, 0
	s_waitcnt vmcnt(0)
	v_and_b32_e32 v2, 0xffff, v2
	v_lshlrev_b64 v[6:7], s20, v[2:3]
	s_add_u32 s20, s20, 8
	s_addc_u32 s21, s21, 0
	v_or_b32_e32 v19, v6, v19
	s_cmp_lg_u32 s24, s22
	v_or_b32_e32 v20, v7, v20
	s_cbranch_scc1 .LBB6_576
	s_branch .LBB6_579
.LBB6_577:                              ;   in Loop: Header=BB6_558 Depth=1
                                        ; implicit-def: $sgpr15
	s_branch .LBB6_580
.LBB6_578:                              ;   in Loop: Header=BB6_558 Depth=1
	v_mov_b32_e32 v19, 0
	v_mov_b32_e32 v20, 0
.LBB6_579:                              ;   in Loop: Header=BB6_558 Depth=1
	s_mov_b32 s15, 0
	s_cbranch_execnz .LBB6_581
.LBB6_580:                              ;   in Loop: Header=BB6_558 Depth=1
	global_load_dwordx2 v[19:20], v3, s[4:5]
	s_add_i32 s15, s24, -8
	s_add_u32 s4, s4, 8
	s_addc_u32 s5, s5, 0
.LBB6_581:                              ;   in Loop: Header=BB6_558 Depth=1
	s_cmp_gt_u32 s15, 7
	s_cbranch_scc1 .LBB6_585
; %bb.582:                              ;   in Loop: Header=BB6_558 Depth=1
	s_cmp_eq_u32 s15, 0
	s_cbranch_scc1 .LBB6_586
; %bb.583:                              ;   in Loop: Header=BB6_558 Depth=1
	v_mov_b32_e32 v21, 0
	s_mov_b64 s[20:21], 0
	v_mov_b32_e32 v22, 0
	s_mov_b64 s[22:23], 0
.LBB6_584:                              ;   Parent Loop BB6_558 Depth=1
                                        ; =>  This Inner Loop Header: Depth=2
	s_add_u32 s24, s4, s22
	s_addc_u32 s25, s5, s23
	global_load_ubyte v2, v3, s[24:25]
	s_add_u32 s22, s22, 1
	s_addc_u32 s23, s23, 0
	s_waitcnt vmcnt(0)
	v_and_b32_e32 v2, 0xffff, v2
	v_lshlrev_b64 v[6:7], s20, v[2:3]
	s_add_u32 s20, s20, 8
	s_addc_u32 s21, s21, 0
	v_or_b32_e32 v21, v6, v21
	s_cmp_lg_u32 s15, s22
	v_or_b32_e32 v22, v7, v22
	s_cbranch_scc1 .LBB6_584
	s_branch .LBB6_587
.LBB6_585:                              ;   in Loop: Header=BB6_558 Depth=1
                                        ; implicit-def: $vgpr21_vgpr22
                                        ; implicit-def: $sgpr24
	s_branch .LBB6_588
.LBB6_586:                              ;   in Loop: Header=BB6_558 Depth=1
	v_mov_b32_e32 v21, 0
	v_mov_b32_e32 v22, 0
.LBB6_587:                              ;   in Loop: Header=BB6_558 Depth=1
	s_mov_b32 s24, 0
	s_cbranch_execnz .LBB6_589
.LBB6_588:                              ;   in Loop: Header=BB6_558 Depth=1
	global_load_dwordx2 v[21:22], v3, s[4:5]
	s_add_i32 s24, s15, -8
	s_add_u32 s4, s4, 8
	s_addc_u32 s5, s5, 0
.LBB6_589:                              ;   in Loop: Header=BB6_558 Depth=1
	s_cmp_gt_u32 s24, 7
	s_cbranch_scc1 .LBB6_593
; %bb.590:                              ;   in Loop: Header=BB6_558 Depth=1
	s_cmp_eq_u32 s24, 0
	s_cbranch_scc1 .LBB6_594
; %bb.591:                              ;   in Loop: Header=BB6_558 Depth=1
	v_mov_b32_e32 v23, 0
	s_mov_b64 s[20:21], 0
	v_mov_b32_e32 v24, 0
	s_mov_b64 s[22:23], 0
.LBB6_592:                              ;   Parent Loop BB6_558 Depth=1
                                        ; =>  This Inner Loop Header: Depth=2
	s_add_u32 s26, s4, s22
	s_addc_u32 s27, s5, s23
	global_load_ubyte v2, v3, s[26:27]
	s_add_u32 s22, s22, 1
	s_addc_u32 s23, s23, 0
	s_waitcnt vmcnt(0)
	v_and_b32_e32 v2, 0xffff, v2
	v_lshlrev_b64 v[6:7], s20, v[2:3]
	s_add_u32 s20, s20, 8
	s_addc_u32 s21, s21, 0
	v_or_b32_e32 v23, v6, v23
	s_cmp_lg_u32 s24, s22
	v_or_b32_e32 v24, v7, v24
	s_cbranch_scc1 .LBB6_592
	s_branch .LBB6_595
.LBB6_593:                              ;   in Loop: Header=BB6_558 Depth=1
                                        ; implicit-def: $sgpr15
	s_branch .LBB6_596
.LBB6_594:                              ;   in Loop: Header=BB6_558 Depth=1
	v_mov_b32_e32 v23, 0
	v_mov_b32_e32 v24, 0
.LBB6_595:                              ;   in Loop: Header=BB6_558 Depth=1
	s_mov_b32 s15, 0
	s_cbranch_execnz .LBB6_597
.LBB6_596:                              ;   in Loop: Header=BB6_558 Depth=1
	global_load_dwordx2 v[23:24], v3, s[4:5]
	s_add_i32 s15, s24, -8
	s_add_u32 s4, s4, 8
	s_addc_u32 s5, s5, 0
.LBB6_597:                              ;   in Loop: Header=BB6_558 Depth=1
	s_cmp_gt_u32 s15, 7
	s_cbranch_scc1 .LBB6_601
; %bb.598:                              ;   in Loop: Header=BB6_558 Depth=1
	s_cmp_eq_u32 s15, 0
	s_cbranch_scc1 .LBB6_602
; %bb.599:                              ;   in Loop: Header=BB6_558 Depth=1
	v_mov_b32_e32 v25, 0
	s_mov_b64 s[20:21], 0
	v_mov_b32_e32 v26, 0
	s_mov_b64 s[22:23], 0
.LBB6_600:                              ;   Parent Loop BB6_558 Depth=1
                                        ; =>  This Inner Loop Header: Depth=2
	s_add_u32 s24, s4, s22
	s_addc_u32 s25, s5, s23
	global_load_ubyte v2, v3, s[24:25]
	s_add_u32 s22, s22, 1
	s_addc_u32 s23, s23, 0
	s_waitcnt vmcnt(0)
	v_and_b32_e32 v2, 0xffff, v2
	v_lshlrev_b64 v[6:7], s20, v[2:3]
	s_add_u32 s20, s20, 8
	s_addc_u32 s21, s21, 0
	v_or_b32_e32 v25, v6, v25
	s_cmp_lg_u32 s15, s22
	v_or_b32_e32 v26, v7, v26
	s_cbranch_scc1 .LBB6_600
	s_branch .LBB6_603
.LBB6_601:                              ;   in Loop: Header=BB6_558 Depth=1
                                        ; implicit-def: $vgpr25_vgpr26
                                        ; implicit-def: $sgpr24
	s_branch .LBB6_604
.LBB6_602:                              ;   in Loop: Header=BB6_558 Depth=1
	v_mov_b32_e32 v25, 0
	v_mov_b32_e32 v26, 0
.LBB6_603:                              ;   in Loop: Header=BB6_558 Depth=1
	s_mov_b32 s24, 0
	s_cbranch_execnz .LBB6_605
.LBB6_604:                              ;   in Loop: Header=BB6_558 Depth=1
	global_load_dwordx2 v[25:26], v3, s[4:5]
	s_add_i32 s24, s15, -8
	s_add_u32 s4, s4, 8
	s_addc_u32 s5, s5, 0
.LBB6_605:                              ;   in Loop: Header=BB6_558 Depth=1
	s_cmp_gt_u32 s24, 7
	s_cbranch_scc1 .LBB6_609
; %bb.606:                              ;   in Loop: Header=BB6_558 Depth=1
	s_cmp_eq_u32 s24, 0
	s_cbranch_scc1 .LBB6_610
; %bb.607:                              ;   in Loop: Header=BB6_558 Depth=1
	v_mov_b32_e32 v27, 0
	s_mov_b64 s[20:21], 0
	v_mov_b32_e32 v28, 0
	s_mov_b64 s[22:23], s[4:5]
.LBB6_608:                              ;   Parent Loop BB6_558 Depth=1
                                        ; =>  This Inner Loop Header: Depth=2
	global_load_ubyte v2, v3, s[22:23]
	s_add_i32 s24, s24, -1
	s_waitcnt vmcnt(0)
	v_and_b32_e32 v2, 0xffff, v2
	v_lshlrev_b64 v[6:7], s20, v[2:3]
	s_add_u32 s20, s20, 8
	s_addc_u32 s21, s21, 0
	s_add_u32 s22, s22, 1
	s_addc_u32 s23, s23, 0
	v_or_b32_e32 v27, v6, v27
	s_cmp_lg_u32 s24, 0
	v_or_b32_e32 v28, v7, v28
	s_cbranch_scc1 .LBB6_608
	s_branch .LBB6_611
.LBB6_609:                              ;   in Loop: Header=BB6_558 Depth=1
	s_branch .LBB6_612
.LBB6_610:                              ;   in Loop: Header=BB6_558 Depth=1
	v_mov_b32_e32 v27, 0
	v_mov_b32_e32 v28, 0
.LBB6_611:                              ;   in Loop: Header=BB6_558 Depth=1
	s_cbranch_execnz .LBB6_613
.LBB6_612:                              ;   in Loop: Header=BB6_558 Depth=1
	global_load_dwordx2 v[27:28], v3, s[4:5]
.LBB6_613:                              ;   in Loop: Header=BB6_558 Depth=1
	v_readfirstlane_b32 s4, v51
	v_mov_b32_e32 v6, 0
	v_mov_b32_e32 v7, 0
	v_cmp_eq_u32_e64 s[4:5], s4, v51
	s_and_saveexec_b64 s[20:21], s[4:5]
	s_cbranch_execz .LBB6_619
; %bb.614:                              ;   in Loop: Header=BB6_558 Depth=1
	global_load_dwordx2 v[31:32], v3, s[44:45] offset:24 glc
	s_waitcnt vmcnt(0)
	buffer_wbinvl1_vol
	global_load_dwordx2 v[6:7], v3, s[44:45] offset:40
	global_load_dwordx2 v[9:10], v3, s[44:45]
	s_waitcnt vmcnt(1)
	v_and_b32_e32 v2, v6, v31
	v_and_b32_e32 v6, v7, v32
	v_mul_lo_u32 v6, v6, 24
	v_mul_hi_u32 v7, v2, 24
	v_mul_lo_u32 v2, v2, 24
	v_add_u32_e32 v7, v7, v6
	s_waitcnt vmcnt(0)
	v_add_co_u32_e32 v6, vcc, v9, v2
	v_addc_co_u32_e32 v7, vcc, v10, v7, vcc
	global_load_dwordx2 v[29:30], v[6:7], off glc
	s_waitcnt vmcnt(0)
	global_atomic_cmpswap_x2 v[6:7], v3, v[29:32], s[44:45] offset:24 glc
	s_waitcnt vmcnt(0)
	buffer_wbinvl1_vol
	v_cmp_ne_u64_e32 vcc, v[6:7], v[31:32]
	s_and_saveexec_b64 s[22:23], vcc
	s_cbranch_execz .LBB6_618
; %bb.615:                              ;   in Loop: Header=BB6_558 Depth=1
	s_mov_b64 s[24:25], 0
.LBB6_616:                              ;   Parent Loop BB6_558 Depth=1
                                        ; =>  This Inner Loop Header: Depth=2
	s_sleep 1
	global_load_dwordx2 v[9:10], v3, s[44:45] offset:40
	global_load_dwordx2 v[29:30], v3, s[44:45]
	v_mov_b32_e32 v32, v7
	v_mov_b32_e32 v31, v6
	s_waitcnt vmcnt(1)
	v_and_b32_e32 v2, v9, v31
	s_waitcnt vmcnt(0)
	v_mad_u64_u32 v[6:7], s[26:27], v2, 24, v[29:30]
	v_and_b32_e32 v9, v10, v32
	v_mov_b32_e32 v2, v7
	v_mad_u64_u32 v[9:10], s[26:27], v9, 24, v[2:3]
	v_mov_b32_e32 v7, v9
	global_load_dwordx2 v[29:30], v[6:7], off glc
	s_waitcnt vmcnt(0)
	global_atomic_cmpswap_x2 v[6:7], v3, v[29:32], s[44:45] offset:24 glc
	s_waitcnt vmcnt(0)
	buffer_wbinvl1_vol
	v_cmp_eq_u64_e32 vcc, v[6:7], v[31:32]
	s_or_b64 s[24:25], vcc, s[24:25]
	s_andn2_b64 exec, exec, s[24:25]
	s_cbranch_execnz .LBB6_616
; %bb.617:                              ;   in Loop: Header=BB6_558 Depth=1
	s_or_b64 exec, exec, s[24:25]
.LBB6_618:                              ;   in Loop: Header=BB6_558 Depth=1
	s_or_b64 exec, exec, s[22:23]
.LBB6_619:                              ;   in Loop: Header=BB6_558 Depth=1
	s_or_b64 exec, exec, s[20:21]
	global_load_dwordx2 v[9:10], v3, s[44:45] offset:40
	global_load_dwordx4 v[29:32], v3, s[44:45]
	v_readfirstlane_b32 s20, v6
	v_readfirstlane_b32 s21, v7
	s_mov_b64 s[22:23], exec
	s_waitcnt vmcnt(1)
	v_readfirstlane_b32 s24, v9
	v_readfirstlane_b32 s25, v10
	s_and_b64 s[24:25], s[20:21], s[24:25]
	s_mul_i32 s15, s25, 24
	s_mul_hi_u32 s26, s24, 24
	s_mul_i32 s27, s24, 24
	s_add_i32 s15, s26, s15
	v_mov_b32_e32 v2, s15
	s_waitcnt vmcnt(0)
	v_add_co_u32_e32 v6, vcc, s27, v29
	v_addc_co_u32_e32 v7, vcc, v30, v2, vcc
	s_and_saveexec_b64 s[26:27], s[4:5]
	s_cbranch_execz .LBB6_621
; %bb.620:                              ;   in Loop: Header=BB6_558 Depth=1
	v_mov_b32_e32 v9, s22
	v_mov_b32_e32 v10, s23
	global_store_dwordx4 v[6:7], v[9:12], off offset:8
.LBB6_621:                              ;   in Loop: Header=BB6_558 Depth=1
	s_or_b64 exec, exec, s[26:27]
	s_lshl_b64 s[22:23], s[24:25], 12
	v_mov_b32_e32 v2, s23
	v_add_co_u32_e32 v31, vcc, s22, v31
	v_addc_co_u32_e32 v32, vcc, v32, v2, vcc
	v_cmp_gt_u64_e64 vcc, s[16:17], 56
	v_or_b32_e32 v2, 2, v13
	s_lshl_b32 s15, s18, 2
	v_cndmask_b32_e32 v2, v2, v13, vcc
	s_add_i32 s15, s15, 28
	s_and_b32 s15, s15, 0x1e0
	v_and_b32_e32 v2, 0xffffff1f, v2
	v_or_b32_e32 v13, s15, v2
	v_readfirstlane_b32 s22, v31
	v_readfirstlane_b32 s23, v32
	s_nop 4
	global_store_dwordx4 v50, v[13:16], s[22:23]
	global_store_dwordx4 v50, v[17:20], s[22:23] offset:16
	global_store_dwordx4 v50, v[21:24], s[22:23] offset:32
	;; [unrolled: 1-line block ×3, first 2 shown]
	s_and_saveexec_b64 s[22:23], s[4:5]
	s_cbranch_execz .LBB6_629
; %bb.622:                              ;   in Loop: Header=BB6_558 Depth=1
	global_load_dwordx2 v[17:18], v3, s[44:45] offset:32 glc
	global_load_dwordx2 v[9:10], v3, s[44:45] offset:40
	v_mov_b32_e32 v15, s20
	v_mov_b32_e32 v16, s21
	s_waitcnt vmcnt(0)
	v_readfirstlane_b32 s24, v9
	v_readfirstlane_b32 s25, v10
	s_and_b64 s[24:25], s[24:25], s[20:21]
	s_mul_i32 s15, s25, 24
	s_mul_hi_u32 s25, s24, 24
	s_mul_i32 s24, s24, 24
	s_add_i32 s15, s25, s15
	v_mov_b32_e32 v2, s15
	v_add_co_u32_e32 v9, vcc, s24, v29
	v_addc_co_u32_e32 v10, vcc, v30, v2, vcc
	global_store_dwordx2 v[9:10], v[17:18], off
	s_waitcnt vmcnt(0)
	global_atomic_cmpswap_x2 v[15:16], v3, v[15:18], s[44:45] offset:32 glc
	s_waitcnt vmcnt(0)
	v_cmp_ne_u64_e32 vcc, v[15:16], v[17:18]
	s_and_saveexec_b64 s[24:25], vcc
	s_cbranch_execz .LBB6_625
; %bb.623:                              ;   in Loop: Header=BB6_558 Depth=1
	s_mov_b64 s[26:27], 0
.LBB6_624:                              ;   Parent Loop BB6_558 Depth=1
                                        ; =>  This Inner Loop Header: Depth=2
	s_sleep 1
	global_store_dwordx2 v[9:10], v[15:16], off
	v_mov_b32_e32 v13, s20
	v_mov_b32_e32 v14, s21
	s_waitcnt vmcnt(0)
	global_atomic_cmpswap_x2 v[13:14], v3, v[13:16], s[44:45] offset:32 glc
	s_waitcnt vmcnt(0)
	v_cmp_eq_u64_e32 vcc, v[13:14], v[15:16]
	v_mov_b32_e32 v16, v14
	s_or_b64 s[26:27], vcc, s[26:27]
	v_mov_b32_e32 v15, v13
	s_andn2_b64 exec, exec, s[26:27]
	s_cbranch_execnz .LBB6_624
.LBB6_625:                              ;   in Loop: Header=BB6_558 Depth=1
	s_or_b64 exec, exec, s[24:25]
	global_load_dwordx2 v[9:10], v3, s[44:45] offset:16
	s_mov_b64 s[26:27], exec
	v_mbcnt_lo_u32_b32 v2, s26, 0
	v_mbcnt_hi_u32_b32 v2, s27, v2
	v_cmp_eq_u32_e32 vcc, 0, v2
	s_and_saveexec_b64 s[24:25], vcc
	s_cbranch_execz .LBB6_627
; %bb.626:                              ;   in Loop: Header=BB6_558 Depth=1
	s_bcnt1_i32_b64 s15, s[26:27]
	v_mov_b32_e32 v2, s15
	s_waitcnt vmcnt(0)
	global_atomic_add_x2 v[9:10], v[2:3], off offset:8
.LBB6_627:                              ;   in Loop: Header=BB6_558 Depth=1
	s_or_b64 exec, exec, s[24:25]
	s_waitcnt vmcnt(0)
	global_load_dwordx2 v[13:14], v[9:10], off offset:16
	s_waitcnt vmcnt(0)
	v_cmp_eq_u64_e32 vcc, 0, v[13:14]
	s_cbranch_vccnz .LBB6_629
; %bb.628:                              ;   in Loop: Header=BB6_558 Depth=1
	global_load_dword v2, v[9:10], off offset:24
	s_waitcnt vmcnt(0)
	global_store_dwordx2 v[13:14], v[2:3], off
	v_and_b32_e32 v2, 0xffffff, v2
	v_readfirstlane_b32 m0, v2
	s_sendmsg sendmsg(MSG_INTERRUPT)
.LBB6_629:                              ;   in Loop: Header=BB6_558 Depth=1
	s_or_b64 exec, exec, s[22:23]
	v_add_co_u32_e32 v9, vcc, v31, v50
	v_addc_co_u32_e32 v10, vcc, 0, v32, vcc
	s_branch .LBB6_633
.LBB6_630:                              ;   in Loop: Header=BB6_633 Depth=2
	s_or_b64 exec, exec, s[22:23]
	v_readfirstlane_b32 s15, v2
	s_cmp_eq_u32 s15, 0
	s_cbranch_scc1 .LBB6_632
; %bb.631:                              ;   in Loop: Header=BB6_633 Depth=2
	s_sleep 1
	s_cbranch_execnz .LBB6_633
	s_branch .LBB6_635
.LBB6_632:                              ;   in Loop: Header=BB6_558 Depth=1
	s_branch .LBB6_635
.LBB6_633:                              ;   Parent Loop BB6_558 Depth=1
                                        ; =>  This Inner Loop Header: Depth=2
	v_mov_b32_e32 v2, 1
	s_and_saveexec_b64 s[22:23], s[4:5]
	s_cbranch_execz .LBB6_630
; %bb.634:                              ;   in Loop: Header=BB6_633 Depth=2
	global_load_dword v2, v[6:7], off offset:20 glc
	s_waitcnt vmcnt(0)
	buffer_wbinvl1_vol
	v_and_b32_e32 v2, 1, v2
	s_branch .LBB6_630
.LBB6_635:                              ;   in Loop: Header=BB6_558 Depth=1
	global_load_dwordx4 v[13:16], v[9:10], off
	s_and_saveexec_b64 s[22:23], s[4:5]
	s_cbranch_execz .LBB6_557
; %bb.636:                              ;   in Loop: Header=BB6_558 Depth=1
	global_load_dwordx2 v[6:7], v3, s[44:45] offset:40
	global_load_dwordx2 v[9:10], v3, s[44:45] offset:24 glc
	global_load_dwordx2 v[18:19], v3, s[44:45]
	v_mov_b32_e32 v2, s21
	s_waitcnt vmcnt(2)
	v_add_co_u32_e32 v17, vcc, 1, v6
	v_addc_co_u32_e32 v20, vcc, 0, v7, vcc
	v_add_co_u32_e32 v15, vcc, s20, v17
	v_addc_co_u32_e32 v16, vcc, v20, v2, vcc
	v_cmp_eq_u64_e32 vcc, 0, v[15:16]
	v_cndmask_b32_e32 v16, v16, v20, vcc
	v_cndmask_b32_e32 v15, v15, v17, vcc
	v_and_b32_e32 v2, v16, v7
	v_and_b32_e32 v6, v15, v6
	v_mul_lo_u32 v2, v2, 24
	v_mul_hi_u32 v7, v6, 24
	v_mul_lo_u32 v6, v6, 24
	s_waitcnt vmcnt(1)
	v_mov_b32_e32 v17, v9
	v_add_u32_e32 v2, v7, v2
	s_waitcnt vmcnt(0)
	v_add_co_u32_e32 v6, vcc, v18, v6
	v_addc_co_u32_e32 v7, vcc, v19, v2, vcc
	global_store_dwordx2 v[6:7], v[9:10], off
	v_mov_b32_e32 v18, v10
	s_waitcnt vmcnt(0)
	global_atomic_cmpswap_x2 v[17:18], v3, v[15:18], s[44:45] offset:24 glc
	s_waitcnt vmcnt(0)
	v_cmp_ne_u64_e32 vcc, v[17:18], v[9:10]
	s_and_b64 exec, exec, vcc
	s_cbranch_execz .LBB6_557
; %bb.637:                              ;   in Loop: Header=BB6_558 Depth=1
	s_mov_b64 s[4:5], 0
.LBB6_638:                              ;   Parent Loop BB6_558 Depth=1
                                        ; =>  This Inner Loop Header: Depth=2
	s_sleep 1
	global_store_dwordx2 v[6:7], v[17:18], off
	s_waitcnt vmcnt(0)
	global_atomic_cmpswap_x2 v[9:10], v3, v[15:18], s[44:45] offset:24 glc
	s_waitcnt vmcnt(0)
	v_cmp_eq_u64_e32 vcc, v[9:10], v[17:18]
	v_mov_b32_e32 v18, v10
	s_or_b64 s[4:5], vcc, s[4:5]
	v_mov_b32_e32 v17, v9
	s_andn2_b64 exec, exec, s[4:5]
	s_cbranch_execnz .LBB6_638
	s_branch .LBB6_557
.LBB6_639:
	s_branch .LBB6_667
.LBB6_640:
	s_cbranch_execz .LBB6_667
; %bb.641:
	v_readfirstlane_b32 s4, v51
	v_mov_b32_e32 v6, 0
	v_mov_b32_e32 v7, 0
	v_cmp_eq_u32_e64 s[4:5], s4, v51
	s_and_saveexec_b64 s[10:11], s[4:5]
	s_cbranch_execz .LBB6_647
; %bb.642:
	s_waitcnt vmcnt(0)
	v_mov_b32_e32 v2, 0
	global_load_dwordx2 v[11:12], v2, s[44:45] offset:24 glc
	s_waitcnt vmcnt(0)
	buffer_wbinvl1_vol
	global_load_dwordx2 v[6:7], v2, s[44:45] offset:40
	global_load_dwordx2 v[9:10], v2, s[44:45]
	s_waitcnt vmcnt(1)
	v_and_b32_e32 v3, v6, v11
	v_and_b32_e32 v6, v7, v12
	v_mul_lo_u32 v6, v6, 24
	v_mul_hi_u32 v7, v3, 24
	v_mul_lo_u32 v3, v3, 24
	v_add_u32_e32 v7, v7, v6
	s_waitcnt vmcnt(0)
	v_add_co_u32_e32 v6, vcc, v9, v3
	v_addc_co_u32_e32 v7, vcc, v10, v7, vcc
	global_load_dwordx2 v[9:10], v[6:7], off glc
	s_waitcnt vmcnt(0)
	global_atomic_cmpswap_x2 v[6:7], v2, v[9:12], s[44:45] offset:24 glc
	s_waitcnt vmcnt(0)
	buffer_wbinvl1_vol
	v_cmp_ne_u64_e32 vcc, v[6:7], v[11:12]
	s_and_saveexec_b64 s[16:17], vcc
	s_cbranch_execz .LBB6_646
; %bb.643:
	s_mov_b64 s[18:19], 0
.LBB6_644:                              ; =>This Inner Loop Header: Depth=1
	s_sleep 1
	global_load_dwordx2 v[9:10], v2, s[44:45] offset:40
	global_load_dwordx2 v[13:14], v2, s[44:45]
	v_mov_b32_e32 v12, v7
	v_mov_b32_e32 v11, v6
	s_waitcnt vmcnt(1)
	v_and_b32_e32 v3, v9, v11
	s_waitcnt vmcnt(0)
	v_mad_u64_u32 v[6:7], s[20:21], v3, 24, v[13:14]
	v_and_b32_e32 v9, v10, v12
	v_mov_b32_e32 v3, v7
	v_mad_u64_u32 v[9:10], s[20:21], v9, 24, v[3:4]
	v_mov_b32_e32 v7, v9
	global_load_dwordx2 v[9:10], v[6:7], off glc
	s_waitcnt vmcnt(0)
	global_atomic_cmpswap_x2 v[6:7], v2, v[9:12], s[44:45] offset:24 glc
	s_waitcnt vmcnt(0)
	buffer_wbinvl1_vol
	v_cmp_eq_u64_e32 vcc, v[6:7], v[11:12]
	s_or_b64 s[18:19], vcc, s[18:19]
	s_andn2_b64 exec, exec, s[18:19]
	s_cbranch_execnz .LBB6_644
; %bb.645:
	s_or_b64 exec, exec, s[18:19]
.LBB6_646:
	s_or_b64 exec, exec, s[16:17]
.LBB6_647:
	s_or_b64 exec, exec, s[10:11]
	s_waitcnt vmcnt(0)
	v_mov_b32_e32 v2, 0
	global_load_dwordx2 v[13:14], v2, s[44:45] offset:40
	global_load_dwordx4 v[9:12], v2, s[44:45]
	v_readfirstlane_b32 s10, v6
	v_readfirstlane_b32 s11, v7
	s_mov_b64 s[16:17], exec
	s_waitcnt vmcnt(1)
	v_readfirstlane_b32 s18, v13
	v_readfirstlane_b32 s19, v14
	s_and_b64 s[18:19], s[10:11], s[18:19]
	s_mul_i32 s15, s19, 24
	s_mul_hi_u32 s20, s18, 24
	s_mul_i32 s21, s18, 24
	s_add_i32 s15, s20, s15
	v_mov_b32_e32 v3, s15
	s_waitcnt vmcnt(0)
	v_add_co_u32_e32 v6, vcc, s21, v9
	v_addc_co_u32_e32 v7, vcc, v10, v3, vcc
	s_and_saveexec_b64 s[20:21], s[4:5]
	s_cbranch_execz .LBB6_649
; %bb.648:
	v_mov_b32_e32 v13, s16
	v_mov_b32_e32 v14, s17
	;; [unrolled: 1-line block ×4, first 2 shown]
	global_store_dwordx4 v[6:7], v[13:16], off offset:8
.LBB6_649:
	s_or_b64 exec, exec, s[20:21]
	s_lshl_b64 s[16:17], s[18:19], 12
	v_mov_b32_e32 v3, s17
	v_add_co_u32_e32 v11, vcc, s16, v11
	v_addc_co_u32_e32 v12, vcc, v12, v3, vcc
	s_movk_i32 s15, 0xff1d
	v_and_or_b32 v0, v0, s15, 34
	s_mov_b32 s16, 0
	v_mov_b32_e32 v3, v2
	v_readfirstlane_b32 s20, v11
	v_readfirstlane_b32 s21, v12
	s_mov_b32 s17, s16
	s_mov_b32 s18, s16
	;; [unrolled: 1-line block ×3, first 2 shown]
	s_nop 1
	global_store_dwordx4 v50, v[0:3], s[20:21]
	s_nop 0
	v_mov_b32_e32 v0, s16
	v_mov_b32_e32 v1, s17
	;; [unrolled: 1-line block ×4, first 2 shown]
	global_store_dwordx4 v50, v[0:3], s[20:21] offset:16
	global_store_dwordx4 v50, v[0:3], s[20:21] offset:32
	;; [unrolled: 1-line block ×3, first 2 shown]
	s_and_saveexec_b64 s[16:17], s[4:5]
	s_cbranch_execz .LBB6_657
; %bb.650:
	v_mov_b32_e32 v11, 0
	global_load_dwordx2 v[14:15], v11, s[44:45] offset:32 glc
	global_load_dwordx2 v[0:1], v11, s[44:45] offset:40
	v_mov_b32_e32 v12, s10
	v_mov_b32_e32 v13, s11
	s_waitcnt vmcnt(0)
	v_readfirstlane_b32 s18, v0
	v_readfirstlane_b32 s19, v1
	s_and_b64 s[18:19], s[18:19], s[10:11]
	s_mul_i32 s15, s19, 24
	s_mul_hi_u32 s19, s18, 24
	s_mul_i32 s18, s18, 24
	s_add_i32 s15, s19, s15
	v_mov_b32_e32 v0, s15
	v_add_co_u32_e32 v9, vcc, s18, v9
	v_addc_co_u32_e32 v10, vcc, v10, v0, vcc
	global_store_dwordx2 v[9:10], v[14:15], off
	s_waitcnt vmcnt(0)
	global_atomic_cmpswap_x2 v[2:3], v11, v[12:15], s[44:45] offset:32 glc
	s_waitcnt vmcnt(0)
	v_cmp_ne_u64_e32 vcc, v[2:3], v[14:15]
	s_and_saveexec_b64 s[18:19], vcc
	s_cbranch_execz .LBB6_653
; %bb.651:
	s_mov_b64 s[20:21], 0
.LBB6_652:                              ; =>This Inner Loop Header: Depth=1
	s_sleep 1
	global_store_dwordx2 v[9:10], v[2:3], off
	v_mov_b32_e32 v0, s10
	v_mov_b32_e32 v1, s11
	s_waitcnt vmcnt(0)
	global_atomic_cmpswap_x2 v[0:1], v11, v[0:3], s[44:45] offset:32 glc
	s_waitcnt vmcnt(0)
	v_cmp_eq_u64_e32 vcc, v[0:1], v[2:3]
	v_mov_b32_e32 v3, v1
	s_or_b64 s[20:21], vcc, s[20:21]
	v_mov_b32_e32 v2, v0
	s_andn2_b64 exec, exec, s[20:21]
	s_cbranch_execnz .LBB6_652
.LBB6_653:
	s_or_b64 exec, exec, s[18:19]
	v_mov_b32_e32 v3, 0
	global_load_dwordx2 v[0:1], v3, s[44:45] offset:16
	s_mov_b64 s[18:19], exec
	v_mbcnt_lo_u32_b32 v2, s18, 0
	v_mbcnt_hi_u32_b32 v2, s19, v2
	v_cmp_eq_u32_e32 vcc, 0, v2
	s_and_saveexec_b64 s[20:21], vcc
	s_cbranch_execz .LBB6_655
; %bb.654:
	s_bcnt1_i32_b64 s15, s[18:19]
	v_mov_b32_e32 v2, s15
	s_waitcnt vmcnt(0)
	global_atomic_add_x2 v[0:1], v[2:3], off offset:8
.LBB6_655:
	s_or_b64 exec, exec, s[20:21]
	s_waitcnt vmcnt(0)
	global_load_dwordx2 v[2:3], v[0:1], off offset:16
	s_waitcnt vmcnt(0)
	v_cmp_eq_u64_e32 vcc, 0, v[2:3]
	s_cbranch_vccnz .LBB6_657
; %bb.656:
	global_load_dword v0, v[0:1], off offset:24
	v_mov_b32_e32 v1, 0
	s_waitcnt vmcnt(0)
	global_store_dwordx2 v[2:3], v[0:1], off
	v_and_b32_e32 v0, 0xffffff, v0
	v_readfirstlane_b32 m0, v0
	s_sendmsg sendmsg(MSG_INTERRUPT)
.LBB6_657:
	s_or_b64 exec, exec, s[16:17]
	s_branch .LBB6_661
.LBB6_658:                              ;   in Loop: Header=BB6_661 Depth=1
	s_or_b64 exec, exec, s[16:17]
	v_readfirstlane_b32 s15, v0
	s_cmp_eq_u32 s15, 0
	s_cbranch_scc1 .LBB6_660
; %bb.659:                              ;   in Loop: Header=BB6_661 Depth=1
	s_sleep 1
	s_cbranch_execnz .LBB6_661
	s_branch .LBB6_663
.LBB6_660:
	s_branch .LBB6_663
.LBB6_661:                              ; =>This Inner Loop Header: Depth=1
	v_mov_b32_e32 v0, 1
	s_and_saveexec_b64 s[16:17], s[4:5]
	s_cbranch_execz .LBB6_658
; %bb.662:                              ;   in Loop: Header=BB6_661 Depth=1
	global_load_dword v0, v[6:7], off offset:20 glc
	s_waitcnt vmcnt(0)
	buffer_wbinvl1_vol
	v_and_b32_e32 v0, 1, v0
	s_branch .LBB6_658
.LBB6_663:
	s_and_saveexec_b64 s[16:17], s[4:5]
	s_cbranch_execz .LBB6_666
; %bb.664:
	v_mov_b32_e32 v9, 0
	global_load_dwordx2 v[2:3], v9, s[44:45] offset:40
	global_load_dwordx2 v[10:11], v9, s[44:45] offset:24 glc
	global_load_dwordx2 v[6:7], v9, s[44:45]
	v_mov_b32_e32 v1, s11
	s_mov_b64 s[4:5], 0
	s_waitcnt vmcnt(2)
	v_add_co_u32_e32 v12, vcc, 1, v2
	v_addc_co_u32_e32 v13, vcc, 0, v3, vcc
	v_add_co_u32_e32 v0, vcc, s10, v12
	v_addc_co_u32_e32 v1, vcc, v13, v1, vcc
	v_cmp_eq_u64_e32 vcc, 0, v[0:1]
	v_cndmask_b32_e32 v1, v1, v13, vcc
	v_cndmask_b32_e32 v0, v0, v12, vcc
	v_and_b32_e32 v3, v1, v3
	v_and_b32_e32 v2, v0, v2
	v_mul_lo_u32 v3, v3, 24
	v_mul_hi_u32 v12, v2, 24
	v_mul_lo_u32 v13, v2, 24
	s_waitcnt vmcnt(1)
	v_mov_b32_e32 v2, v10
	v_add_u32_e32 v3, v12, v3
	s_waitcnt vmcnt(0)
	v_add_co_u32_e32 v6, vcc, v6, v13
	v_addc_co_u32_e32 v7, vcc, v7, v3, vcc
	global_store_dwordx2 v[6:7], v[10:11], off
	v_mov_b32_e32 v3, v11
	s_waitcnt vmcnt(0)
	global_atomic_cmpswap_x2 v[2:3], v9, v[0:3], s[44:45] offset:24 glc
	s_waitcnt vmcnt(0)
	v_cmp_ne_u64_e32 vcc, v[2:3], v[10:11]
	s_and_b64 exec, exec, vcc
	s_cbranch_execz .LBB6_666
.LBB6_665:                              ; =>This Inner Loop Header: Depth=1
	s_sleep 1
	global_store_dwordx2 v[6:7], v[2:3], off
	s_waitcnt vmcnt(0)
	global_atomic_cmpswap_x2 v[10:11], v9, v[0:3], s[44:45] offset:24 glc
	s_waitcnt vmcnt(0)
	v_cmp_eq_u64_e32 vcc, v[10:11], v[2:3]
	v_mov_b32_e32 v2, v10
	s_or_b64 s[4:5], vcc, s[4:5]
	v_mov_b32_e32 v3, v11
	s_andn2_b64 exec, exec, s[4:5]
	s_cbranch_execnz .LBB6_665
.LBB6_666:
	s_or_b64 exec, exec, s[16:17]
.LBB6_667:
	v_readfirstlane_b32 s4, v51
	v_mov_b32_e32 v6, 0
	v_mov_b32_e32 v7, 0
	v_cmp_eq_u32_e64 s[4:5], s4, v51
	s_and_saveexec_b64 s[10:11], s[4:5]
	s_cbranch_execz .LBB6_673
; %bb.668:
	s_waitcnt vmcnt(0)
	v_mov_b32_e32 v0, 0
	global_load_dwordx2 v[11:12], v0, s[44:45] offset:24 glc
	s_waitcnt vmcnt(0)
	buffer_wbinvl1_vol
	global_load_dwordx2 v[1:2], v0, s[44:45] offset:40
	global_load_dwordx2 v[6:7], v0, s[44:45]
	s_waitcnt vmcnt(1)
	v_and_b32_e32 v1, v1, v11
	v_and_b32_e32 v2, v2, v12
	v_mul_lo_u32 v2, v2, 24
	v_mul_hi_u32 v3, v1, 24
	v_mul_lo_u32 v1, v1, 24
	v_add_u32_e32 v2, v3, v2
	s_waitcnt vmcnt(0)
	v_add_co_u32_e32 v1, vcc, v6, v1
	v_addc_co_u32_e32 v2, vcc, v7, v2, vcc
	global_load_dwordx2 v[9:10], v[1:2], off glc
	s_waitcnt vmcnt(0)
	global_atomic_cmpswap_x2 v[6:7], v0, v[9:12], s[44:45] offset:24 glc
	s_waitcnt vmcnt(0)
	buffer_wbinvl1_vol
	v_cmp_ne_u64_e32 vcc, v[6:7], v[11:12]
	s_and_saveexec_b64 s[16:17], vcc
	s_cbranch_execz .LBB6_672
; %bb.669:
	s_mov_b64 s[18:19], 0
.LBB6_670:                              ; =>This Inner Loop Header: Depth=1
	s_sleep 1
	global_load_dwordx2 v[1:2], v0, s[44:45] offset:40
	global_load_dwordx2 v[9:10], v0, s[44:45]
	v_mov_b32_e32 v12, v7
	v_mov_b32_e32 v11, v6
	s_waitcnt vmcnt(1)
	v_and_b32_e32 v1, v1, v11
	s_waitcnt vmcnt(0)
	v_mad_u64_u32 v[6:7], s[20:21], v1, 24, v[9:10]
	v_and_b32_e32 v2, v2, v12
	v_mov_b32_e32 v1, v7
	v_mad_u64_u32 v[1:2], s[20:21], v2, 24, v[1:2]
	v_mov_b32_e32 v7, v1
	global_load_dwordx2 v[9:10], v[6:7], off glc
	s_waitcnt vmcnt(0)
	global_atomic_cmpswap_x2 v[6:7], v0, v[9:12], s[44:45] offset:24 glc
	s_waitcnt vmcnt(0)
	buffer_wbinvl1_vol
	v_cmp_eq_u64_e32 vcc, v[6:7], v[11:12]
	s_or_b64 s[18:19], vcc, s[18:19]
	s_andn2_b64 exec, exec, s[18:19]
	s_cbranch_execnz .LBB6_670
; %bb.671:
	s_or_b64 exec, exec, s[18:19]
.LBB6_672:
	s_or_b64 exec, exec, s[16:17]
.LBB6_673:
	s_or_b64 exec, exec, s[10:11]
	s_waitcnt vmcnt(0)
	v_mov_b32_e32 v10, 0
	global_load_dwordx2 v[11:12], v10, s[44:45] offset:40
	global_load_dwordx4 v[0:3], v10, s[44:45]
	v_readfirstlane_b32 s10, v6
	v_readfirstlane_b32 s11, v7
	s_mov_b64 s[16:17], exec
	s_waitcnt vmcnt(1)
	v_readfirstlane_b32 s18, v11
	v_readfirstlane_b32 s19, v12
	s_and_b64 s[18:19], s[10:11], s[18:19]
	s_mul_i32 s15, s19, 24
	s_mul_hi_u32 s20, s18, 24
	s_mul_i32 s21, s18, 24
	s_add_i32 s15, s20, s15
	v_mov_b32_e32 v7, s15
	s_waitcnt vmcnt(0)
	v_add_co_u32_e32 v6, vcc, s21, v0
	v_addc_co_u32_e32 v7, vcc, v1, v7, vcc
	s_and_saveexec_b64 s[20:21], s[4:5]
	s_cbranch_execz .LBB6_675
; %bb.674:
	v_mov_b32_e32 v11, s16
	v_mov_b32_e32 v12, s17
	;; [unrolled: 1-line block ×4, first 2 shown]
	global_store_dwordx4 v[6:7], v[11:14], off offset:8
.LBB6_675:
	s_or_b64 exec, exec, s[20:21]
	s_lshl_b64 s[16:17], s[18:19], 12
	v_mov_b32_e32 v9, s17
	v_add_co_u32_e32 v2, vcc, s16, v2
	v_addc_co_u32_e32 v3, vcc, v3, v9, vcc
	s_mov_b32 s16, 0
	v_mov_b32_e32 v9, 33
	v_mov_b32_e32 v11, v10
	;; [unrolled: 1-line block ×3, first 2 shown]
	v_readfirstlane_b32 s20, v2
	v_readfirstlane_b32 s21, v3
	v_add_co_u32_e32 v13, vcc, v2, v50
	s_mov_b32 s17, s16
	s_mov_b32 s18, s16
	;; [unrolled: 1-line block ×3, first 2 shown]
	s_nop 0
	global_store_dwordx4 v50, v[9:12], s[20:21]
	v_addc_co_u32_e32 v14, vcc, 0, v3, vcc
	v_mov_b32_e32 v9, s16
	v_mov_b32_e32 v10, s17
	;; [unrolled: 1-line block ×4, first 2 shown]
	global_store_dwordx4 v50, v[9:12], s[20:21] offset:16
	global_store_dwordx4 v50, v[9:12], s[20:21] offset:32
	;; [unrolled: 1-line block ×3, first 2 shown]
	s_and_saveexec_b64 s[16:17], s[4:5]
	s_cbranch_execz .LBB6_683
; %bb.676:
	v_mov_b32_e32 v11, 0
	global_load_dwordx2 v[17:18], v11, s[44:45] offset:32 glc
	global_load_dwordx2 v[2:3], v11, s[44:45] offset:40
	v_mov_b32_e32 v15, s10
	v_mov_b32_e32 v16, s11
	s_waitcnt vmcnt(0)
	v_readfirstlane_b32 s18, v2
	v_readfirstlane_b32 s19, v3
	s_and_b64 s[18:19], s[18:19], s[10:11]
	s_mul_i32 s15, s19, 24
	s_mul_hi_u32 s19, s18, 24
	s_mul_i32 s18, s18, 24
	s_add_i32 s15, s19, s15
	v_mov_b32_e32 v2, s15
	v_add_co_u32_e32 v9, vcc, s18, v0
	v_addc_co_u32_e32 v10, vcc, v1, v2, vcc
	global_store_dwordx2 v[9:10], v[17:18], off
	s_waitcnt vmcnt(0)
	global_atomic_cmpswap_x2 v[2:3], v11, v[15:18], s[44:45] offset:32 glc
	s_waitcnt vmcnt(0)
	v_cmp_ne_u64_e32 vcc, v[2:3], v[17:18]
	s_and_saveexec_b64 s[18:19], vcc
	s_cbranch_execz .LBB6_679
; %bb.677:
	s_mov_b64 s[20:21], 0
.LBB6_678:                              ; =>This Inner Loop Header: Depth=1
	s_sleep 1
	global_store_dwordx2 v[9:10], v[2:3], off
	v_mov_b32_e32 v0, s10
	v_mov_b32_e32 v1, s11
	s_waitcnt vmcnt(0)
	global_atomic_cmpswap_x2 v[0:1], v11, v[0:3], s[44:45] offset:32 glc
	s_waitcnt vmcnt(0)
	v_cmp_eq_u64_e32 vcc, v[0:1], v[2:3]
	v_mov_b32_e32 v3, v1
	s_or_b64 s[20:21], vcc, s[20:21]
	v_mov_b32_e32 v2, v0
	s_andn2_b64 exec, exec, s[20:21]
	s_cbranch_execnz .LBB6_678
.LBB6_679:
	s_or_b64 exec, exec, s[18:19]
	v_mov_b32_e32 v3, 0
	global_load_dwordx2 v[0:1], v3, s[44:45] offset:16
	s_mov_b64 s[18:19], exec
	v_mbcnt_lo_u32_b32 v2, s18, 0
	v_mbcnt_hi_u32_b32 v2, s19, v2
	v_cmp_eq_u32_e32 vcc, 0, v2
	s_and_saveexec_b64 s[20:21], vcc
	s_cbranch_execz .LBB6_681
; %bb.680:
	s_bcnt1_i32_b64 s15, s[18:19]
	v_mov_b32_e32 v2, s15
	s_waitcnt vmcnt(0)
	global_atomic_add_x2 v[0:1], v[2:3], off offset:8
.LBB6_681:
	s_or_b64 exec, exec, s[20:21]
	s_waitcnt vmcnt(0)
	global_load_dwordx2 v[2:3], v[0:1], off offset:16
	s_waitcnt vmcnt(0)
	v_cmp_eq_u64_e32 vcc, 0, v[2:3]
	s_cbranch_vccnz .LBB6_683
; %bb.682:
	global_load_dword v0, v[0:1], off offset:24
	v_mov_b32_e32 v1, 0
	s_waitcnt vmcnt(0)
	global_store_dwordx2 v[2:3], v[0:1], off
	v_and_b32_e32 v0, 0xffffff, v0
	v_readfirstlane_b32 m0, v0
	s_sendmsg sendmsg(MSG_INTERRUPT)
.LBB6_683:
	s_or_b64 exec, exec, s[16:17]
	s_branch .LBB6_687
.LBB6_684:                              ;   in Loop: Header=BB6_687 Depth=1
	s_or_b64 exec, exec, s[16:17]
	v_readfirstlane_b32 s15, v0
	s_cmp_eq_u32 s15, 0
	s_cbranch_scc1 .LBB6_686
; %bb.685:                              ;   in Loop: Header=BB6_687 Depth=1
	s_sleep 1
	s_cbranch_execnz .LBB6_687
	s_branch .LBB6_689
.LBB6_686:
	s_branch .LBB6_689
.LBB6_687:                              ; =>This Inner Loop Header: Depth=1
	v_mov_b32_e32 v0, 1
	s_and_saveexec_b64 s[16:17], s[4:5]
	s_cbranch_execz .LBB6_684
; %bb.688:                              ;   in Loop: Header=BB6_687 Depth=1
	global_load_dword v0, v[6:7], off offset:20 glc
	s_waitcnt vmcnt(0)
	buffer_wbinvl1_vol
	v_and_b32_e32 v0, 1, v0
	s_branch .LBB6_684
.LBB6_689:
	global_load_dwordx2 v[0:1], v[13:14], off
	s_and_saveexec_b64 s[16:17], s[4:5]
	s_cbranch_execz .LBB6_692
; %bb.690:
	v_mov_b32_e32 v6, 0
	global_load_dwordx2 v[2:3], v6, s[44:45] offset:40
	global_load_dwordx2 v[13:14], v6, s[44:45] offset:24 glc
	global_load_dwordx2 v[15:16], v6, s[44:45]
	v_mov_b32_e32 v7, s11
	s_mov_b64 s[4:5], 0
	s_waitcnt vmcnt(2)
	v_add_co_u32_e32 v11, vcc, 1, v2
	v_addc_co_u32_e32 v12, vcc, 0, v3, vcc
	v_add_co_u32_e32 v9, vcc, s10, v11
	v_addc_co_u32_e32 v10, vcc, v12, v7, vcc
	v_cmp_eq_u64_e32 vcc, 0, v[9:10]
	v_cndmask_b32_e32 v10, v10, v12, vcc
	v_cndmask_b32_e32 v9, v9, v11, vcc
	v_and_b32_e32 v3, v10, v3
	v_and_b32_e32 v2, v9, v2
	v_mul_lo_u32 v3, v3, 24
	v_mul_hi_u32 v7, v2, 24
	v_mul_lo_u32 v2, v2, 24
	s_waitcnt vmcnt(1)
	v_mov_b32_e32 v11, v13
	v_mov_b32_e32 v12, v14
	v_add_u32_e32 v3, v7, v3
	s_waitcnt vmcnt(0)
	v_add_co_u32_e32 v2, vcc, v15, v2
	v_addc_co_u32_e32 v3, vcc, v16, v3, vcc
	global_store_dwordx2 v[2:3], v[13:14], off
	s_waitcnt vmcnt(0)
	global_atomic_cmpswap_x2 v[11:12], v6, v[9:12], s[44:45] offset:24 glc
	s_waitcnt vmcnt(0)
	v_cmp_ne_u64_e32 vcc, v[11:12], v[13:14]
	s_and_b64 exec, exec, vcc
	s_cbranch_execz .LBB6_692
.LBB6_691:                              ; =>This Inner Loop Header: Depth=1
	s_sleep 1
	global_store_dwordx2 v[2:3], v[11:12], off
	s_waitcnt vmcnt(0)
	global_atomic_cmpswap_x2 v[13:14], v6, v[9:12], s[44:45] offset:24 glc
	s_waitcnt vmcnt(0)
	v_cmp_eq_u64_e32 vcc, v[13:14], v[11:12]
	v_mov_b32_e32 v11, v13
	s_or_b64 s[4:5], vcc, s[4:5]
	v_mov_b32_e32 v12, v14
	s_andn2_b64 exec, exec, s[4:5]
	s_cbranch_execnz .LBB6_691
.LBB6_692:
	s_or_b64 exec, exec, s[16:17]
	s_and_b64 vcc, exec, s[46:47]
	s_cbranch_vccz .LBB6_777
; %bb.693:
	s_waitcnt vmcnt(0)
	v_and_b32_e32 v35, 2, v0
	v_mov_b32_e32 v3, 0
	v_and_b32_e32 v9, -3, v0
	v_mov_b32_e32 v10, v1
	s_mov_b64 s[16:17], 3
	v_mov_b32_e32 v13, 2
	v_mov_b32_e32 v14, 1
	s_getpc_b64 s[10:11]
	s_add_u32 s10, s10, .str.8@rel32@lo+4
	s_addc_u32 s11, s11, .str.8@rel32@hi+12
	s_branch .LBB6_695
.LBB6_694:                              ;   in Loop: Header=BB6_695 Depth=1
	s_or_b64 exec, exec, s[22:23]
	s_sub_u32 s16, s16, s18
	s_subb_u32 s17, s17, s19
	s_add_u32 s10, s10, s18
	s_addc_u32 s11, s11, s19
	s_cmp_lg_u64 s[16:17], 0
	s_cbranch_scc0 .LBB6_776
.LBB6_695:                              ; =>This Loop Header: Depth=1
                                        ;     Child Loop BB6_698 Depth 2
                                        ;     Child Loop BB6_705 Depth 2
	;; [unrolled: 1-line block ×11, first 2 shown]
	v_cmp_lt_u64_e64 s[4:5], s[16:17], 56
	v_cmp_gt_u64_e64 s[20:21], s[16:17], 7
	s_and_b64 s[4:5], s[4:5], exec
	s_cselect_b32 s19, s17, 0
	s_cselect_b32 s18, s16, 56
	s_and_b64 vcc, exec, s[20:21]
	s_cbranch_vccnz .LBB6_700
; %bb.696:                              ;   in Loop: Header=BB6_695 Depth=1
	v_mov_b32_e32 v17, 0
	s_cmp_eq_u64 s[16:17], 0
	v_mov_b32_e32 v18, 0
	s_mov_b64 s[4:5], 0
	s_cbranch_scc1 .LBB6_699
; %bb.697:                              ;   in Loop: Header=BB6_695 Depth=1
	v_mov_b32_e32 v17, 0
	s_lshl_b64 s[20:21], s[18:19], 3
	s_mov_b64 s[22:23], 0
	v_mov_b32_e32 v18, 0
	s_mov_b64 s[24:25], s[10:11]
.LBB6_698:                              ;   Parent Loop BB6_695 Depth=1
                                        ; =>  This Inner Loop Header: Depth=2
	global_load_ubyte v2, v3, s[24:25]
	s_waitcnt vmcnt(0)
	v_and_b32_e32 v2, 0xffff, v2
	v_lshlrev_b64 v[6:7], s22, v[2:3]
	s_add_u32 s22, s22, 8
	s_addc_u32 s23, s23, 0
	s_add_u32 s24, s24, 1
	s_addc_u32 s25, s25, 0
	v_or_b32_e32 v17, v6, v17
	s_cmp_lg_u32 s20, s22
	v_or_b32_e32 v18, v7, v18
	s_cbranch_scc1 .LBB6_698
.LBB6_699:                              ;   in Loop: Header=BB6_695 Depth=1
	s_mov_b32 s15, 0
	s_andn2_b64 vcc, exec, s[4:5]
	s_mov_b64 s[4:5], s[10:11]
	s_cbranch_vccz .LBB6_701
	s_branch .LBB6_702
.LBB6_700:                              ;   in Loop: Header=BB6_695 Depth=1
                                        ; implicit-def: $vgpr17_vgpr18
                                        ; implicit-def: $sgpr15
	s_mov_b64 s[4:5], s[10:11]
.LBB6_701:                              ;   in Loop: Header=BB6_695 Depth=1
	global_load_dwordx2 v[17:18], v3, s[10:11]
	s_add_i32 s15, s18, -8
	s_add_u32 s4, s10, 8
	s_addc_u32 s5, s11, 0
.LBB6_702:                              ;   in Loop: Header=BB6_695 Depth=1
	s_cmp_gt_u32 s15, 7
	s_cbranch_scc1 .LBB6_706
; %bb.703:                              ;   in Loop: Header=BB6_695 Depth=1
	s_cmp_eq_u32 s15, 0
	s_cbranch_scc1 .LBB6_707
; %bb.704:                              ;   in Loop: Header=BB6_695 Depth=1
	v_mov_b32_e32 v19, 0
	s_mov_b64 s[20:21], 0
	v_mov_b32_e32 v20, 0
	s_mov_b64 s[22:23], 0
.LBB6_705:                              ;   Parent Loop BB6_695 Depth=1
                                        ; =>  This Inner Loop Header: Depth=2
	s_add_u32 s24, s4, s22
	s_addc_u32 s25, s5, s23
	global_load_ubyte v2, v3, s[24:25]
	s_add_u32 s22, s22, 1
	s_addc_u32 s23, s23, 0
	s_waitcnt vmcnt(0)
	v_and_b32_e32 v2, 0xffff, v2
	v_lshlrev_b64 v[6:7], s20, v[2:3]
	s_add_u32 s20, s20, 8
	s_addc_u32 s21, s21, 0
	v_or_b32_e32 v19, v6, v19
	s_cmp_lg_u32 s15, s22
	v_or_b32_e32 v20, v7, v20
	s_cbranch_scc1 .LBB6_705
	s_branch .LBB6_708
.LBB6_706:                              ;   in Loop: Header=BB6_695 Depth=1
                                        ; implicit-def: $vgpr19_vgpr20
                                        ; implicit-def: $sgpr24
	s_branch .LBB6_709
.LBB6_707:                              ;   in Loop: Header=BB6_695 Depth=1
	v_mov_b32_e32 v19, 0
	v_mov_b32_e32 v20, 0
.LBB6_708:                              ;   in Loop: Header=BB6_695 Depth=1
	s_mov_b32 s24, 0
	s_cbranch_execnz .LBB6_710
.LBB6_709:                              ;   in Loop: Header=BB6_695 Depth=1
	global_load_dwordx2 v[19:20], v3, s[4:5]
	s_add_i32 s24, s15, -8
	s_add_u32 s4, s4, 8
	s_addc_u32 s5, s5, 0
.LBB6_710:                              ;   in Loop: Header=BB6_695 Depth=1
	s_cmp_gt_u32 s24, 7
	s_cbranch_scc1 .LBB6_714
; %bb.711:                              ;   in Loop: Header=BB6_695 Depth=1
	s_cmp_eq_u32 s24, 0
	s_cbranch_scc1 .LBB6_715
; %bb.712:                              ;   in Loop: Header=BB6_695 Depth=1
	v_mov_b32_e32 v21, 0
	s_mov_b64 s[20:21], 0
	v_mov_b32_e32 v22, 0
	s_mov_b64 s[22:23], 0
.LBB6_713:                              ;   Parent Loop BB6_695 Depth=1
                                        ; =>  This Inner Loop Header: Depth=2
	s_add_u32 s26, s4, s22
	s_addc_u32 s27, s5, s23
	global_load_ubyte v2, v3, s[26:27]
	s_add_u32 s22, s22, 1
	s_addc_u32 s23, s23, 0
	s_waitcnt vmcnt(0)
	v_and_b32_e32 v2, 0xffff, v2
	v_lshlrev_b64 v[6:7], s20, v[2:3]
	s_add_u32 s20, s20, 8
	s_addc_u32 s21, s21, 0
	v_or_b32_e32 v21, v6, v21
	s_cmp_lg_u32 s24, s22
	v_or_b32_e32 v22, v7, v22
	s_cbranch_scc1 .LBB6_713
	s_branch .LBB6_716
.LBB6_714:                              ;   in Loop: Header=BB6_695 Depth=1
                                        ; implicit-def: $sgpr15
	s_branch .LBB6_717
.LBB6_715:                              ;   in Loop: Header=BB6_695 Depth=1
	v_mov_b32_e32 v21, 0
	v_mov_b32_e32 v22, 0
.LBB6_716:                              ;   in Loop: Header=BB6_695 Depth=1
	s_mov_b32 s15, 0
	s_cbranch_execnz .LBB6_718
.LBB6_717:                              ;   in Loop: Header=BB6_695 Depth=1
	global_load_dwordx2 v[21:22], v3, s[4:5]
	s_add_i32 s15, s24, -8
	s_add_u32 s4, s4, 8
	s_addc_u32 s5, s5, 0
.LBB6_718:                              ;   in Loop: Header=BB6_695 Depth=1
	s_cmp_gt_u32 s15, 7
	s_cbranch_scc1 .LBB6_722
; %bb.719:                              ;   in Loop: Header=BB6_695 Depth=1
	s_cmp_eq_u32 s15, 0
	s_cbranch_scc1 .LBB6_723
; %bb.720:                              ;   in Loop: Header=BB6_695 Depth=1
	v_mov_b32_e32 v23, 0
	s_mov_b64 s[20:21], 0
	v_mov_b32_e32 v24, 0
	s_mov_b64 s[22:23], 0
.LBB6_721:                              ;   Parent Loop BB6_695 Depth=1
                                        ; =>  This Inner Loop Header: Depth=2
	s_add_u32 s24, s4, s22
	s_addc_u32 s25, s5, s23
	global_load_ubyte v2, v3, s[24:25]
	s_add_u32 s22, s22, 1
	s_addc_u32 s23, s23, 0
	s_waitcnt vmcnt(0)
	v_and_b32_e32 v2, 0xffff, v2
	v_lshlrev_b64 v[6:7], s20, v[2:3]
	s_add_u32 s20, s20, 8
	s_addc_u32 s21, s21, 0
	v_or_b32_e32 v23, v6, v23
	s_cmp_lg_u32 s15, s22
	v_or_b32_e32 v24, v7, v24
	s_cbranch_scc1 .LBB6_721
	s_branch .LBB6_724
.LBB6_722:                              ;   in Loop: Header=BB6_695 Depth=1
                                        ; implicit-def: $vgpr23_vgpr24
                                        ; implicit-def: $sgpr24
	s_branch .LBB6_725
.LBB6_723:                              ;   in Loop: Header=BB6_695 Depth=1
	v_mov_b32_e32 v23, 0
	v_mov_b32_e32 v24, 0
.LBB6_724:                              ;   in Loop: Header=BB6_695 Depth=1
	s_mov_b32 s24, 0
	s_cbranch_execnz .LBB6_726
.LBB6_725:                              ;   in Loop: Header=BB6_695 Depth=1
	global_load_dwordx2 v[23:24], v3, s[4:5]
	s_add_i32 s24, s15, -8
	s_add_u32 s4, s4, 8
	s_addc_u32 s5, s5, 0
.LBB6_726:                              ;   in Loop: Header=BB6_695 Depth=1
	s_cmp_gt_u32 s24, 7
	s_cbranch_scc1 .LBB6_730
; %bb.727:                              ;   in Loop: Header=BB6_695 Depth=1
	s_cmp_eq_u32 s24, 0
	s_cbranch_scc1 .LBB6_731
; %bb.728:                              ;   in Loop: Header=BB6_695 Depth=1
	v_mov_b32_e32 v25, 0
	s_mov_b64 s[20:21], 0
	v_mov_b32_e32 v26, 0
	s_mov_b64 s[22:23], 0
.LBB6_729:                              ;   Parent Loop BB6_695 Depth=1
                                        ; =>  This Inner Loop Header: Depth=2
	s_add_u32 s26, s4, s22
	s_addc_u32 s27, s5, s23
	global_load_ubyte v2, v3, s[26:27]
	s_add_u32 s22, s22, 1
	s_addc_u32 s23, s23, 0
	s_waitcnt vmcnt(0)
	v_and_b32_e32 v2, 0xffff, v2
	v_lshlrev_b64 v[6:7], s20, v[2:3]
	s_add_u32 s20, s20, 8
	s_addc_u32 s21, s21, 0
	v_or_b32_e32 v25, v6, v25
	s_cmp_lg_u32 s24, s22
	v_or_b32_e32 v26, v7, v26
	s_cbranch_scc1 .LBB6_729
	s_branch .LBB6_732
.LBB6_730:                              ;   in Loop: Header=BB6_695 Depth=1
                                        ; implicit-def: $sgpr15
	s_branch .LBB6_733
.LBB6_731:                              ;   in Loop: Header=BB6_695 Depth=1
	v_mov_b32_e32 v25, 0
	v_mov_b32_e32 v26, 0
.LBB6_732:                              ;   in Loop: Header=BB6_695 Depth=1
	s_mov_b32 s15, 0
	s_cbranch_execnz .LBB6_734
.LBB6_733:                              ;   in Loop: Header=BB6_695 Depth=1
	global_load_dwordx2 v[25:26], v3, s[4:5]
	s_add_i32 s15, s24, -8
	s_add_u32 s4, s4, 8
	s_addc_u32 s5, s5, 0
.LBB6_734:                              ;   in Loop: Header=BB6_695 Depth=1
	s_cmp_gt_u32 s15, 7
	s_cbranch_scc1 .LBB6_738
; %bb.735:                              ;   in Loop: Header=BB6_695 Depth=1
	s_cmp_eq_u32 s15, 0
	s_cbranch_scc1 .LBB6_739
; %bb.736:                              ;   in Loop: Header=BB6_695 Depth=1
	v_mov_b32_e32 v27, 0
	s_mov_b64 s[20:21], 0
	v_mov_b32_e32 v28, 0
	s_mov_b64 s[22:23], 0
.LBB6_737:                              ;   Parent Loop BB6_695 Depth=1
                                        ; =>  This Inner Loop Header: Depth=2
	s_add_u32 s24, s4, s22
	s_addc_u32 s25, s5, s23
	global_load_ubyte v2, v3, s[24:25]
	s_add_u32 s22, s22, 1
	s_addc_u32 s23, s23, 0
	s_waitcnt vmcnt(0)
	v_and_b32_e32 v2, 0xffff, v2
	v_lshlrev_b64 v[6:7], s20, v[2:3]
	s_add_u32 s20, s20, 8
	s_addc_u32 s21, s21, 0
	v_or_b32_e32 v27, v6, v27
	s_cmp_lg_u32 s15, s22
	v_or_b32_e32 v28, v7, v28
	s_cbranch_scc1 .LBB6_737
	s_branch .LBB6_740
.LBB6_738:                              ;   in Loop: Header=BB6_695 Depth=1
                                        ; implicit-def: $vgpr27_vgpr28
                                        ; implicit-def: $sgpr24
	s_branch .LBB6_741
.LBB6_739:                              ;   in Loop: Header=BB6_695 Depth=1
	v_mov_b32_e32 v27, 0
	v_mov_b32_e32 v28, 0
.LBB6_740:                              ;   in Loop: Header=BB6_695 Depth=1
	s_mov_b32 s24, 0
	s_cbranch_execnz .LBB6_742
.LBB6_741:                              ;   in Loop: Header=BB6_695 Depth=1
	global_load_dwordx2 v[27:28], v3, s[4:5]
	s_add_i32 s24, s15, -8
	s_add_u32 s4, s4, 8
	s_addc_u32 s5, s5, 0
.LBB6_742:                              ;   in Loop: Header=BB6_695 Depth=1
	s_cmp_gt_u32 s24, 7
	s_cbranch_scc1 .LBB6_746
; %bb.743:                              ;   in Loop: Header=BB6_695 Depth=1
	s_cmp_eq_u32 s24, 0
	s_cbranch_scc1 .LBB6_747
; %bb.744:                              ;   in Loop: Header=BB6_695 Depth=1
	v_mov_b32_e32 v29, 0
	s_mov_b64 s[20:21], 0
	v_mov_b32_e32 v30, 0
	s_mov_b64 s[22:23], s[4:5]
.LBB6_745:                              ;   Parent Loop BB6_695 Depth=1
                                        ; =>  This Inner Loop Header: Depth=2
	global_load_ubyte v2, v3, s[22:23]
	s_add_i32 s24, s24, -1
	s_waitcnt vmcnt(0)
	v_and_b32_e32 v2, 0xffff, v2
	v_lshlrev_b64 v[6:7], s20, v[2:3]
	s_add_u32 s20, s20, 8
	s_addc_u32 s21, s21, 0
	s_add_u32 s22, s22, 1
	s_addc_u32 s23, s23, 0
	v_or_b32_e32 v29, v6, v29
	s_cmp_lg_u32 s24, 0
	v_or_b32_e32 v30, v7, v30
	s_cbranch_scc1 .LBB6_745
	s_branch .LBB6_748
.LBB6_746:                              ;   in Loop: Header=BB6_695 Depth=1
	s_branch .LBB6_749
.LBB6_747:                              ;   in Loop: Header=BB6_695 Depth=1
	v_mov_b32_e32 v29, 0
	v_mov_b32_e32 v30, 0
.LBB6_748:                              ;   in Loop: Header=BB6_695 Depth=1
	s_cbranch_execnz .LBB6_750
.LBB6_749:                              ;   in Loop: Header=BB6_695 Depth=1
	global_load_dwordx2 v[29:30], v3, s[4:5]
.LBB6_750:                              ;   in Loop: Header=BB6_695 Depth=1
	v_readfirstlane_b32 s4, v51
	v_mov_b32_e32 v6, 0
	v_mov_b32_e32 v7, 0
	v_cmp_eq_u32_e64 s[4:5], s4, v51
	s_and_saveexec_b64 s[20:21], s[4:5]
	s_cbranch_execz .LBB6_756
; %bb.751:                              ;   in Loop: Header=BB6_695 Depth=1
	global_load_dwordx2 v[33:34], v3, s[44:45] offset:24 glc
	s_waitcnt vmcnt(0)
	buffer_wbinvl1_vol
	global_load_dwordx2 v[6:7], v3, s[44:45] offset:40
	global_load_dwordx2 v[11:12], v3, s[44:45]
	s_waitcnt vmcnt(1)
	v_and_b32_e32 v2, v6, v33
	v_and_b32_e32 v6, v7, v34
	v_mul_lo_u32 v6, v6, 24
	v_mul_hi_u32 v7, v2, 24
	v_mul_lo_u32 v2, v2, 24
	v_add_u32_e32 v7, v7, v6
	s_waitcnt vmcnt(0)
	v_add_co_u32_e32 v6, vcc, v11, v2
	v_addc_co_u32_e32 v7, vcc, v12, v7, vcc
	global_load_dwordx2 v[31:32], v[6:7], off glc
	s_waitcnt vmcnt(0)
	global_atomic_cmpswap_x2 v[6:7], v3, v[31:34], s[44:45] offset:24 glc
	s_waitcnt vmcnt(0)
	buffer_wbinvl1_vol
	v_cmp_ne_u64_e32 vcc, v[6:7], v[33:34]
	s_and_saveexec_b64 s[22:23], vcc
	s_cbranch_execz .LBB6_755
; %bb.752:                              ;   in Loop: Header=BB6_695 Depth=1
	s_mov_b64 s[24:25], 0
.LBB6_753:                              ;   Parent Loop BB6_695 Depth=1
                                        ; =>  This Inner Loop Header: Depth=2
	s_sleep 1
	global_load_dwordx2 v[11:12], v3, s[44:45] offset:40
	global_load_dwordx2 v[15:16], v3, s[44:45]
	v_mov_b32_e32 v34, v7
	v_mov_b32_e32 v33, v6
	s_waitcnt vmcnt(1)
	v_and_b32_e32 v2, v11, v33
	s_waitcnt vmcnt(0)
	v_mad_u64_u32 v[6:7], s[26:27], v2, 24, v[15:16]
	v_and_b32_e32 v11, v12, v34
	v_mov_b32_e32 v2, v7
	v_mad_u64_u32 v[11:12], s[26:27], v11, 24, v[2:3]
	v_mov_b32_e32 v7, v11
	global_load_dwordx2 v[31:32], v[6:7], off glc
	s_waitcnt vmcnt(0)
	global_atomic_cmpswap_x2 v[6:7], v3, v[31:34], s[44:45] offset:24 glc
	s_waitcnt vmcnt(0)
	buffer_wbinvl1_vol
	v_cmp_eq_u64_e32 vcc, v[6:7], v[33:34]
	s_or_b64 s[24:25], vcc, s[24:25]
	s_andn2_b64 exec, exec, s[24:25]
	s_cbranch_execnz .LBB6_753
; %bb.754:                              ;   in Loop: Header=BB6_695 Depth=1
	s_or_b64 exec, exec, s[24:25]
.LBB6_755:                              ;   in Loop: Header=BB6_695 Depth=1
	s_or_b64 exec, exec, s[22:23]
.LBB6_756:                              ;   in Loop: Header=BB6_695 Depth=1
	s_or_b64 exec, exec, s[20:21]
	global_load_dwordx2 v[11:12], v3, s[44:45] offset:40
	global_load_dwordx4 v[31:34], v3, s[44:45]
	v_readfirstlane_b32 s20, v6
	v_readfirstlane_b32 s21, v7
	s_mov_b64 s[22:23], exec
	s_waitcnt vmcnt(1)
	v_readfirstlane_b32 s24, v11
	v_readfirstlane_b32 s25, v12
	s_and_b64 s[24:25], s[20:21], s[24:25]
	s_mul_i32 s15, s25, 24
	s_mul_hi_u32 s26, s24, 24
	s_mul_i32 s27, s24, 24
	s_add_i32 s15, s26, s15
	v_mov_b32_e32 v2, s15
	s_waitcnt vmcnt(0)
	v_add_co_u32_e32 v6, vcc, s27, v31
	v_addc_co_u32_e32 v7, vcc, v32, v2, vcc
	s_and_saveexec_b64 s[26:27], s[4:5]
	s_cbranch_execz .LBB6_758
; %bb.757:                              ;   in Loop: Header=BB6_695 Depth=1
	v_mov_b32_e32 v11, s22
	v_mov_b32_e32 v12, s23
	global_store_dwordx4 v[6:7], v[11:14], off offset:8
.LBB6_758:                              ;   in Loop: Header=BB6_695 Depth=1
	s_or_b64 exec, exec, s[26:27]
	s_lshl_b64 s[22:23], s[24:25], 12
	v_mov_b32_e32 v2, s23
	v_add_co_u32_e32 v33, vcc, s22, v33
	v_addc_co_u32_e32 v34, vcc, v34, v2, vcc
	v_cmp_gt_u64_e64 vcc, s[16:17], 56
	v_or_b32_e32 v2, 0, v10
	v_or_b32_e32 v11, v9, v35
	s_lshl_b32 s15, s18, 2
	v_cndmask_b32_e32 v16, v2, v10, vcc
	v_cndmask_b32_e32 v2, v11, v9, vcc
	s_add_i32 s15, s15, 28
	s_and_b32 s15, s15, 0x1e0
	v_and_b32_e32 v2, 0xffffff1f, v2
	v_or_b32_e32 v15, s15, v2
	v_readfirstlane_b32 s22, v33
	v_readfirstlane_b32 s23, v34
	s_nop 4
	global_store_dwordx4 v50, v[15:18], s[22:23]
	global_store_dwordx4 v50, v[19:22], s[22:23] offset:16
	global_store_dwordx4 v50, v[23:26], s[22:23] offset:32
	;; [unrolled: 1-line block ×3, first 2 shown]
	s_and_saveexec_b64 s[22:23], s[4:5]
	s_cbranch_execz .LBB6_766
; %bb.759:                              ;   in Loop: Header=BB6_695 Depth=1
	global_load_dwordx2 v[19:20], v3, s[44:45] offset:32 glc
	global_load_dwordx2 v[9:10], v3, s[44:45] offset:40
	v_mov_b32_e32 v17, s20
	v_mov_b32_e32 v18, s21
	s_waitcnt vmcnt(0)
	v_readfirstlane_b32 s24, v9
	v_readfirstlane_b32 s25, v10
	s_and_b64 s[24:25], s[24:25], s[20:21]
	s_mul_i32 s15, s25, 24
	s_mul_hi_u32 s25, s24, 24
	s_mul_i32 s24, s24, 24
	s_add_i32 s15, s25, s15
	v_mov_b32_e32 v2, s15
	v_add_co_u32_e32 v15, vcc, s24, v31
	v_addc_co_u32_e32 v16, vcc, v32, v2, vcc
	global_store_dwordx2 v[15:16], v[19:20], off
	s_waitcnt vmcnt(0)
	global_atomic_cmpswap_x2 v[11:12], v3, v[17:20], s[44:45] offset:32 glc
	s_waitcnt vmcnt(0)
	v_cmp_ne_u64_e32 vcc, v[11:12], v[19:20]
	s_and_saveexec_b64 s[24:25], vcc
	s_cbranch_execz .LBB6_762
; %bb.760:                              ;   in Loop: Header=BB6_695 Depth=1
	s_mov_b64 s[26:27], 0
.LBB6_761:                              ;   Parent Loop BB6_695 Depth=1
                                        ; =>  This Inner Loop Header: Depth=2
	s_sleep 1
	global_store_dwordx2 v[15:16], v[11:12], off
	v_mov_b32_e32 v9, s20
	v_mov_b32_e32 v10, s21
	s_waitcnt vmcnt(0)
	global_atomic_cmpswap_x2 v[9:10], v3, v[9:12], s[44:45] offset:32 glc
	s_waitcnt vmcnt(0)
	v_cmp_eq_u64_e32 vcc, v[9:10], v[11:12]
	v_mov_b32_e32 v12, v10
	s_or_b64 s[26:27], vcc, s[26:27]
	v_mov_b32_e32 v11, v9
	s_andn2_b64 exec, exec, s[26:27]
	s_cbranch_execnz .LBB6_761
.LBB6_762:                              ;   in Loop: Header=BB6_695 Depth=1
	s_or_b64 exec, exec, s[24:25]
	global_load_dwordx2 v[9:10], v3, s[44:45] offset:16
	s_mov_b64 s[26:27], exec
	v_mbcnt_lo_u32_b32 v2, s26, 0
	v_mbcnt_hi_u32_b32 v2, s27, v2
	v_cmp_eq_u32_e32 vcc, 0, v2
	s_and_saveexec_b64 s[24:25], vcc
	s_cbranch_execz .LBB6_764
; %bb.763:                              ;   in Loop: Header=BB6_695 Depth=1
	s_bcnt1_i32_b64 s15, s[26:27]
	v_mov_b32_e32 v2, s15
	s_waitcnt vmcnt(0)
	global_atomic_add_x2 v[9:10], v[2:3], off offset:8
.LBB6_764:                              ;   in Loop: Header=BB6_695 Depth=1
	s_or_b64 exec, exec, s[24:25]
	s_waitcnt vmcnt(0)
	global_load_dwordx2 v[11:12], v[9:10], off offset:16
	s_waitcnt vmcnt(0)
	v_cmp_eq_u64_e32 vcc, 0, v[11:12]
	s_cbranch_vccnz .LBB6_766
; %bb.765:                              ;   in Loop: Header=BB6_695 Depth=1
	global_load_dword v2, v[9:10], off offset:24
	s_waitcnt vmcnt(0)
	global_store_dwordx2 v[11:12], v[2:3], off
	v_and_b32_e32 v2, 0xffffff, v2
	v_readfirstlane_b32 m0, v2
	s_sendmsg sendmsg(MSG_INTERRUPT)
.LBB6_766:                              ;   in Loop: Header=BB6_695 Depth=1
	s_or_b64 exec, exec, s[22:23]
	v_add_co_u32_e32 v9, vcc, v33, v50
	v_addc_co_u32_e32 v10, vcc, 0, v34, vcc
	s_branch .LBB6_770
.LBB6_767:                              ;   in Loop: Header=BB6_770 Depth=2
	s_or_b64 exec, exec, s[22:23]
	v_readfirstlane_b32 s15, v2
	s_cmp_eq_u32 s15, 0
	s_cbranch_scc1 .LBB6_769
; %bb.768:                              ;   in Loop: Header=BB6_770 Depth=2
	s_sleep 1
	s_cbranch_execnz .LBB6_770
	s_branch .LBB6_772
.LBB6_769:                              ;   in Loop: Header=BB6_695 Depth=1
	s_branch .LBB6_772
.LBB6_770:                              ;   Parent Loop BB6_695 Depth=1
                                        ; =>  This Inner Loop Header: Depth=2
	v_mov_b32_e32 v2, 1
	s_and_saveexec_b64 s[22:23], s[4:5]
	s_cbranch_execz .LBB6_767
; %bb.771:                              ;   in Loop: Header=BB6_770 Depth=2
	global_load_dword v2, v[6:7], off offset:20 glc
	s_waitcnt vmcnt(0)
	buffer_wbinvl1_vol
	v_and_b32_e32 v2, 1, v2
	s_branch .LBB6_767
.LBB6_772:                              ;   in Loop: Header=BB6_695 Depth=1
	global_load_dwordx4 v[9:12], v[9:10], off
	s_and_saveexec_b64 s[22:23], s[4:5]
	s_cbranch_execz .LBB6_694
; %bb.773:                              ;   in Loop: Header=BB6_695 Depth=1
	global_load_dwordx2 v[6:7], v3, s[44:45] offset:40
	global_load_dwordx2 v[11:12], v3, s[44:45] offset:24 glc
	global_load_dwordx2 v[18:19], v3, s[44:45]
	v_mov_b32_e32 v2, s21
	s_waitcnt vmcnt(2)
	v_add_co_u32_e32 v17, vcc, 1, v6
	v_addc_co_u32_e32 v20, vcc, 0, v7, vcc
	v_add_co_u32_e32 v15, vcc, s20, v17
	v_addc_co_u32_e32 v16, vcc, v20, v2, vcc
	v_cmp_eq_u64_e32 vcc, 0, v[15:16]
	v_cndmask_b32_e32 v16, v16, v20, vcc
	v_cndmask_b32_e32 v15, v15, v17, vcc
	v_and_b32_e32 v2, v16, v7
	v_and_b32_e32 v6, v15, v6
	v_mul_lo_u32 v2, v2, 24
	v_mul_hi_u32 v7, v6, 24
	v_mul_lo_u32 v6, v6, 24
	s_waitcnt vmcnt(1)
	v_mov_b32_e32 v17, v11
	v_add_u32_e32 v2, v7, v2
	s_waitcnt vmcnt(0)
	v_add_co_u32_e32 v6, vcc, v18, v6
	v_addc_co_u32_e32 v7, vcc, v19, v2, vcc
	global_store_dwordx2 v[6:7], v[11:12], off
	v_mov_b32_e32 v18, v12
	s_waitcnt vmcnt(0)
	global_atomic_cmpswap_x2 v[17:18], v3, v[15:18], s[44:45] offset:24 glc
	s_waitcnt vmcnt(0)
	v_cmp_ne_u64_e32 vcc, v[17:18], v[11:12]
	s_and_b64 exec, exec, vcc
	s_cbranch_execz .LBB6_694
; %bb.774:                              ;   in Loop: Header=BB6_695 Depth=1
	s_mov_b64 s[4:5], 0
.LBB6_775:                              ;   Parent Loop BB6_695 Depth=1
                                        ; =>  This Inner Loop Header: Depth=2
	s_sleep 1
	global_store_dwordx2 v[6:7], v[17:18], off
	s_waitcnt vmcnt(0)
	global_atomic_cmpswap_x2 v[11:12], v3, v[15:18], s[44:45] offset:24 glc
	s_waitcnt vmcnt(0)
	v_cmp_eq_u64_e32 vcc, v[11:12], v[17:18]
	v_mov_b32_e32 v18, v12
	s_or_b64 s[4:5], vcc, s[4:5]
	v_mov_b32_e32 v17, v11
	s_andn2_b64 exec, exec, s[4:5]
	s_cbranch_execnz .LBB6_775
	s_branch .LBB6_694
.LBB6_776:
	s_branch .LBB6_804
.LBB6_777:
                                        ; implicit-def: $vgpr9_vgpr10
	s_cbranch_execz .LBB6_804
; %bb.778:
	v_readfirstlane_b32 s4, v51
	v_mov_b32_e32 v6, 0
	v_mov_b32_e32 v7, 0
	v_cmp_eq_u32_e64 s[4:5], s4, v51
	s_and_saveexec_b64 s[10:11], s[4:5]
	s_cbranch_execz .LBB6_784
; %bb.779:
	v_mov_b32_e32 v2, 0
	global_load_dwordx2 v[11:12], v2, s[44:45] offset:24 glc
	s_waitcnt vmcnt(0)
	buffer_wbinvl1_vol
	global_load_dwordx2 v[6:7], v2, s[44:45] offset:40
	global_load_dwordx2 v[9:10], v2, s[44:45]
	s_waitcnt vmcnt(1)
	v_and_b32_e32 v3, v6, v11
	v_and_b32_e32 v6, v7, v12
	v_mul_lo_u32 v6, v6, 24
	v_mul_hi_u32 v7, v3, 24
	v_mul_lo_u32 v3, v3, 24
	v_add_u32_e32 v7, v7, v6
	s_waitcnt vmcnt(0)
	v_add_co_u32_e32 v6, vcc, v9, v3
	v_addc_co_u32_e32 v7, vcc, v10, v7, vcc
	global_load_dwordx2 v[9:10], v[6:7], off glc
	s_waitcnt vmcnt(0)
	global_atomic_cmpswap_x2 v[6:7], v2, v[9:12], s[44:45] offset:24 glc
	s_waitcnt vmcnt(0)
	buffer_wbinvl1_vol
	v_cmp_ne_u64_e32 vcc, v[6:7], v[11:12]
	s_and_saveexec_b64 s[16:17], vcc
	s_cbranch_execz .LBB6_783
; %bb.780:
	s_mov_b64 s[18:19], 0
.LBB6_781:                              ; =>This Inner Loop Header: Depth=1
	s_sleep 1
	global_load_dwordx2 v[9:10], v2, s[44:45] offset:40
	global_load_dwordx2 v[13:14], v2, s[44:45]
	v_mov_b32_e32 v12, v7
	v_mov_b32_e32 v11, v6
	s_waitcnt vmcnt(1)
	v_and_b32_e32 v3, v9, v11
	s_waitcnt vmcnt(0)
	v_mad_u64_u32 v[6:7], s[20:21], v3, 24, v[13:14]
	v_and_b32_e32 v9, v10, v12
	v_mov_b32_e32 v3, v7
	v_mad_u64_u32 v[9:10], s[20:21], v9, 24, v[3:4]
	v_mov_b32_e32 v7, v9
	global_load_dwordx2 v[9:10], v[6:7], off glc
	s_waitcnt vmcnt(0)
	global_atomic_cmpswap_x2 v[6:7], v2, v[9:12], s[44:45] offset:24 glc
	s_waitcnt vmcnt(0)
	buffer_wbinvl1_vol
	v_cmp_eq_u64_e32 vcc, v[6:7], v[11:12]
	s_or_b64 s[18:19], vcc, s[18:19]
	s_andn2_b64 exec, exec, s[18:19]
	s_cbranch_execnz .LBB6_781
; %bb.782:
	s_or_b64 exec, exec, s[18:19]
.LBB6_783:
	s_or_b64 exec, exec, s[16:17]
.LBB6_784:
	s_or_b64 exec, exec, s[10:11]
	v_mov_b32_e32 v2, 0
	global_load_dwordx2 v[13:14], v2, s[44:45] offset:40
	global_load_dwordx4 v[9:12], v2, s[44:45]
	v_readfirstlane_b32 s10, v6
	v_readfirstlane_b32 s11, v7
	s_mov_b64 s[16:17], exec
	s_waitcnt vmcnt(1)
	v_readfirstlane_b32 s18, v13
	v_readfirstlane_b32 s19, v14
	s_and_b64 s[18:19], s[10:11], s[18:19]
	s_mul_i32 s15, s19, 24
	s_mul_hi_u32 s20, s18, 24
	s_mul_i32 s21, s18, 24
	s_add_i32 s15, s20, s15
	v_mov_b32_e32 v3, s15
	s_waitcnt vmcnt(0)
	v_add_co_u32_e32 v6, vcc, s21, v9
	v_addc_co_u32_e32 v7, vcc, v10, v3, vcc
	s_and_saveexec_b64 s[20:21], s[4:5]
	s_cbranch_execz .LBB6_786
; %bb.785:
	v_mov_b32_e32 v13, s16
	v_mov_b32_e32 v14, s17
	;; [unrolled: 1-line block ×4, first 2 shown]
	global_store_dwordx4 v[6:7], v[13:16], off offset:8
.LBB6_786:
	s_or_b64 exec, exec, s[20:21]
	s_lshl_b64 s[16:17], s[18:19], 12
	v_mov_b32_e32 v3, s17
	v_add_co_u32_e32 v13, vcc, s16, v11
	v_addc_co_u32_e32 v14, vcc, v12, v3, vcc
	s_movk_i32 s15, 0xff1f
	v_and_or_b32 v0, v0, s15, 32
	s_mov_b32 s16, 0
	v_mov_b32_e32 v3, v2
	v_readfirstlane_b32 s20, v13
	v_readfirstlane_b32 s21, v14
	v_add_co_u32_e32 v11, vcc, v13, v50
	s_mov_b32 s17, s16
	s_mov_b32 s18, s16
	;; [unrolled: 1-line block ×3, first 2 shown]
	s_nop 0
	global_store_dwordx4 v50, v[0:3], s[20:21]
	v_addc_co_u32_e32 v12, vcc, 0, v14, vcc
	v_mov_b32_e32 v0, s16
	v_mov_b32_e32 v1, s17
	;; [unrolled: 1-line block ×4, first 2 shown]
	global_store_dwordx4 v50, v[0:3], s[20:21] offset:16
	global_store_dwordx4 v50, v[0:3], s[20:21] offset:32
	;; [unrolled: 1-line block ×3, first 2 shown]
	s_and_saveexec_b64 s[16:17], s[4:5]
	s_cbranch_execz .LBB6_794
; %bb.787:
	v_mov_b32_e32 v13, 0
	global_load_dwordx2 v[16:17], v13, s[44:45] offset:32 glc
	global_load_dwordx2 v[0:1], v13, s[44:45] offset:40
	v_mov_b32_e32 v14, s10
	v_mov_b32_e32 v15, s11
	s_waitcnt vmcnt(0)
	v_readfirstlane_b32 s18, v0
	v_readfirstlane_b32 s19, v1
	s_and_b64 s[18:19], s[18:19], s[10:11]
	s_mul_i32 s15, s19, 24
	s_mul_hi_u32 s19, s18, 24
	s_mul_i32 s18, s18, 24
	s_add_i32 s15, s19, s15
	v_mov_b32_e32 v0, s15
	v_add_co_u32_e32 v9, vcc, s18, v9
	v_addc_co_u32_e32 v10, vcc, v10, v0, vcc
	global_store_dwordx2 v[9:10], v[16:17], off
	s_waitcnt vmcnt(0)
	global_atomic_cmpswap_x2 v[2:3], v13, v[14:17], s[44:45] offset:32 glc
	s_waitcnt vmcnt(0)
	v_cmp_ne_u64_e32 vcc, v[2:3], v[16:17]
	s_and_saveexec_b64 s[18:19], vcc
	s_cbranch_execz .LBB6_790
; %bb.788:
	s_mov_b64 s[20:21], 0
.LBB6_789:                              ; =>This Inner Loop Header: Depth=1
	s_sleep 1
	global_store_dwordx2 v[9:10], v[2:3], off
	v_mov_b32_e32 v0, s10
	v_mov_b32_e32 v1, s11
	s_waitcnt vmcnt(0)
	global_atomic_cmpswap_x2 v[0:1], v13, v[0:3], s[44:45] offset:32 glc
	s_waitcnt vmcnt(0)
	v_cmp_eq_u64_e32 vcc, v[0:1], v[2:3]
	v_mov_b32_e32 v3, v1
	s_or_b64 s[20:21], vcc, s[20:21]
	v_mov_b32_e32 v2, v0
	s_andn2_b64 exec, exec, s[20:21]
	s_cbranch_execnz .LBB6_789
.LBB6_790:
	s_or_b64 exec, exec, s[18:19]
	v_mov_b32_e32 v3, 0
	global_load_dwordx2 v[0:1], v3, s[44:45] offset:16
	s_mov_b64 s[18:19], exec
	v_mbcnt_lo_u32_b32 v2, s18, 0
	v_mbcnt_hi_u32_b32 v2, s19, v2
	v_cmp_eq_u32_e32 vcc, 0, v2
	s_and_saveexec_b64 s[20:21], vcc
	s_cbranch_execz .LBB6_792
; %bb.791:
	s_bcnt1_i32_b64 s15, s[18:19]
	v_mov_b32_e32 v2, s15
	s_waitcnt vmcnt(0)
	global_atomic_add_x2 v[0:1], v[2:3], off offset:8
.LBB6_792:
	s_or_b64 exec, exec, s[20:21]
	s_waitcnt vmcnt(0)
	global_load_dwordx2 v[2:3], v[0:1], off offset:16
	s_waitcnt vmcnt(0)
	v_cmp_eq_u64_e32 vcc, 0, v[2:3]
	s_cbranch_vccnz .LBB6_794
; %bb.793:
	global_load_dword v0, v[0:1], off offset:24
	v_mov_b32_e32 v1, 0
	s_waitcnt vmcnt(0)
	global_store_dwordx2 v[2:3], v[0:1], off
	v_and_b32_e32 v0, 0xffffff, v0
	v_readfirstlane_b32 m0, v0
	s_sendmsg sendmsg(MSG_INTERRUPT)
.LBB6_794:
	s_or_b64 exec, exec, s[16:17]
	s_branch .LBB6_798
.LBB6_795:                              ;   in Loop: Header=BB6_798 Depth=1
	s_or_b64 exec, exec, s[16:17]
	v_readfirstlane_b32 s15, v0
	s_cmp_eq_u32 s15, 0
	s_cbranch_scc1 .LBB6_797
; %bb.796:                              ;   in Loop: Header=BB6_798 Depth=1
	s_sleep 1
	s_cbranch_execnz .LBB6_798
	s_branch .LBB6_800
.LBB6_797:
	s_branch .LBB6_800
.LBB6_798:                              ; =>This Inner Loop Header: Depth=1
	v_mov_b32_e32 v0, 1
	s_and_saveexec_b64 s[16:17], s[4:5]
	s_cbranch_execz .LBB6_795
; %bb.799:                              ;   in Loop: Header=BB6_798 Depth=1
	global_load_dword v0, v[6:7], off offset:20 glc
	s_waitcnt vmcnt(0)
	buffer_wbinvl1_vol
	v_and_b32_e32 v0, 1, v0
	s_branch .LBB6_795
.LBB6_800:
	global_load_dwordx2 v[9:10], v[11:12], off
	s_and_saveexec_b64 s[16:17], s[4:5]
	s_cbranch_execz .LBB6_803
; %bb.801:
	v_mov_b32_e32 v11, 0
	global_load_dwordx2 v[2:3], v11, s[44:45] offset:40
	global_load_dwordx2 v[12:13], v11, s[44:45] offset:24 glc
	global_load_dwordx2 v[6:7], v11, s[44:45]
	v_mov_b32_e32 v1, s11
	s_mov_b64 s[4:5], 0
	s_waitcnt vmcnt(2)
	v_add_co_u32_e32 v14, vcc, 1, v2
	v_addc_co_u32_e32 v15, vcc, 0, v3, vcc
	v_add_co_u32_e32 v0, vcc, s10, v14
	v_addc_co_u32_e32 v1, vcc, v15, v1, vcc
	v_cmp_eq_u64_e32 vcc, 0, v[0:1]
	v_cndmask_b32_e32 v1, v1, v15, vcc
	v_cndmask_b32_e32 v0, v0, v14, vcc
	v_and_b32_e32 v3, v1, v3
	v_and_b32_e32 v2, v0, v2
	v_mul_lo_u32 v3, v3, 24
	v_mul_hi_u32 v14, v2, 24
	v_mul_lo_u32 v15, v2, 24
	s_waitcnt vmcnt(1)
	v_mov_b32_e32 v2, v12
	v_add_u32_e32 v3, v14, v3
	s_waitcnt vmcnt(0)
	v_add_co_u32_e32 v6, vcc, v6, v15
	v_addc_co_u32_e32 v7, vcc, v7, v3, vcc
	global_store_dwordx2 v[6:7], v[12:13], off
	v_mov_b32_e32 v3, v13
	s_waitcnt vmcnt(0)
	global_atomic_cmpswap_x2 v[2:3], v11, v[0:3], s[44:45] offset:24 glc
	s_waitcnt vmcnt(0)
	v_cmp_ne_u64_e32 vcc, v[2:3], v[12:13]
	s_and_b64 exec, exec, vcc
	s_cbranch_execz .LBB6_803
.LBB6_802:                              ; =>This Inner Loop Header: Depth=1
	s_sleep 1
	global_store_dwordx2 v[6:7], v[2:3], off
	s_waitcnt vmcnt(0)
	global_atomic_cmpswap_x2 v[12:13], v11, v[0:3], s[44:45] offset:24 glc
	s_waitcnt vmcnt(0)
	v_cmp_eq_u64_e32 vcc, v[12:13], v[2:3]
	v_mov_b32_e32 v2, v12
	s_or_b64 s[4:5], vcc, s[4:5]
	v_mov_b32_e32 v3, v13
	s_andn2_b64 exec, exec, s[4:5]
	s_cbranch_execnz .LBB6_802
.LBB6_803:
	s_or_b64 exec, exec, s[16:17]
.LBB6_804:
	v_readfirstlane_b32 s4, v51
	v_mov_b32_e32 v6, 0
	v_mov_b32_e32 v7, 0
	v_cmp_eq_u32_e64 s[4:5], s4, v51
	s_and_saveexec_b64 s[10:11], s[4:5]
	s_cbranch_execz .LBB6_810
; %bb.805:
	s_waitcnt vmcnt(0)
	v_mov_b32_e32 v0, 0
	global_load_dwordx2 v[13:14], v0, s[44:45] offset:24 glc
	s_waitcnt vmcnt(0)
	buffer_wbinvl1_vol
	global_load_dwordx2 v[1:2], v0, s[44:45] offset:40
	global_load_dwordx2 v[6:7], v0, s[44:45]
	s_waitcnt vmcnt(1)
	v_and_b32_e32 v1, v1, v13
	v_and_b32_e32 v2, v2, v14
	v_mul_lo_u32 v2, v2, 24
	v_mul_hi_u32 v3, v1, 24
	v_mul_lo_u32 v1, v1, 24
	v_add_u32_e32 v2, v3, v2
	s_waitcnt vmcnt(0)
	v_add_co_u32_e32 v1, vcc, v6, v1
	v_addc_co_u32_e32 v2, vcc, v7, v2, vcc
	global_load_dwordx2 v[11:12], v[1:2], off glc
	s_waitcnt vmcnt(0)
	global_atomic_cmpswap_x2 v[6:7], v0, v[11:14], s[44:45] offset:24 glc
	s_waitcnt vmcnt(0)
	buffer_wbinvl1_vol
	v_cmp_ne_u64_e32 vcc, v[6:7], v[13:14]
	s_and_saveexec_b64 s[16:17], vcc
	s_cbranch_execz .LBB6_809
; %bb.806:
	s_mov_b64 s[18:19], 0
.LBB6_807:                              ; =>This Inner Loop Header: Depth=1
	s_sleep 1
	global_load_dwordx2 v[1:2], v0, s[44:45] offset:40
	global_load_dwordx2 v[11:12], v0, s[44:45]
	v_mov_b32_e32 v14, v7
	v_mov_b32_e32 v13, v6
	s_waitcnt vmcnt(1)
	v_and_b32_e32 v1, v1, v13
	s_waitcnt vmcnt(0)
	v_mad_u64_u32 v[6:7], s[20:21], v1, 24, v[11:12]
	v_and_b32_e32 v2, v2, v14
	v_mov_b32_e32 v1, v7
	v_mad_u64_u32 v[1:2], s[20:21], v2, 24, v[1:2]
	v_mov_b32_e32 v7, v1
	global_load_dwordx2 v[11:12], v[6:7], off glc
	s_waitcnt vmcnt(0)
	global_atomic_cmpswap_x2 v[6:7], v0, v[11:14], s[44:45] offset:24 glc
	s_waitcnt vmcnt(0)
	buffer_wbinvl1_vol
	v_cmp_eq_u64_e32 vcc, v[6:7], v[13:14]
	s_or_b64 s[18:19], vcc, s[18:19]
	s_andn2_b64 exec, exec, s[18:19]
	s_cbranch_execnz .LBB6_807
; %bb.808:
	s_or_b64 exec, exec, s[18:19]
.LBB6_809:
	s_or_b64 exec, exec, s[16:17]
.LBB6_810:
	s_or_b64 exec, exec, s[10:11]
	s_waitcnt vmcnt(0)
	v_mov_b32_e32 v12, 0
	global_load_dwordx2 v[13:14], v12, s[44:45] offset:40
	global_load_dwordx4 v[0:3], v12, s[44:45]
	v_readfirstlane_b32 s10, v6
	v_readfirstlane_b32 s11, v7
	s_mov_b64 s[16:17], exec
	s_waitcnt vmcnt(1)
	v_readfirstlane_b32 s18, v13
	v_readfirstlane_b32 s19, v14
	s_and_b64 s[18:19], s[10:11], s[18:19]
	s_mul_i32 s15, s19, 24
	s_mul_hi_u32 s20, s18, 24
	s_mul_i32 s21, s18, 24
	s_add_i32 s15, s20, s15
	v_mov_b32_e32 v7, s15
	s_waitcnt vmcnt(0)
	v_add_co_u32_e32 v6, vcc, s21, v0
	v_addc_co_u32_e32 v7, vcc, v1, v7, vcc
	s_and_saveexec_b64 s[20:21], s[4:5]
	s_cbranch_execz .LBB6_812
; %bb.811:
	v_mov_b32_e32 v13, s16
	v_mov_b32_e32 v14, s17
	;; [unrolled: 1-line block ×4, first 2 shown]
	global_store_dwordx4 v[6:7], v[13:16], off offset:8
.LBB6_812:
	s_or_b64 exec, exec, s[20:21]
	s_lshl_b64 s[16:17], s[18:19], 12
	v_mov_b32_e32 v11, s17
	v_add_co_u32_e32 v2, vcc, s16, v2
	v_addc_co_u32_e32 v3, vcc, v3, v11, vcc
	s_movk_i32 s15, 0xff1d
	v_and_or_b32 v9, v9, s15, 34
	s_mov_b32 s16, 0
	v_mov_b32_e32 v11, 58
	v_readfirstlane_b32 s20, v2
	v_readfirstlane_b32 s21, v3
	s_mov_b32 s17, s16
	s_mov_b32 s18, s16
	;; [unrolled: 1-line block ×3, first 2 shown]
	s_nop 1
	global_store_dwordx4 v50, v[9:12], s[20:21]
	s_nop 0
	v_mov_b32_e32 v9, s16
	v_mov_b32_e32 v10, s17
	;; [unrolled: 1-line block ×4, first 2 shown]
	global_store_dwordx4 v50, v[9:12], s[20:21] offset:16
	global_store_dwordx4 v50, v[9:12], s[20:21] offset:32
	global_store_dwordx4 v50, v[9:12], s[20:21] offset:48
	s_and_saveexec_b64 s[16:17], s[4:5]
	s_cbranch_execz .LBB6_820
; %bb.813:
	v_mov_b32_e32 v11, 0
	global_load_dwordx2 v[14:15], v11, s[44:45] offset:32 glc
	global_load_dwordx2 v[2:3], v11, s[44:45] offset:40
	v_mov_b32_e32 v12, s10
	v_mov_b32_e32 v13, s11
	s_waitcnt vmcnt(0)
	v_readfirstlane_b32 s18, v2
	v_readfirstlane_b32 s19, v3
	s_and_b64 s[18:19], s[18:19], s[10:11]
	s_mul_i32 s15, s19, 24
	s_mul_hi_u32 s19, s18, 24
	s_mul_i32 s18, s18, 24
	s_add_i32 s15, s19, s15
	v_mov_b32_e32 v2, s15
	v_add_co_u32_e32 v9, vcc, s18, v0
	v_addc_co_u32_e32 v10, vcc, v1, v2, vcc
	global_store_dwordx2 v[9:10], v[14:15], off
	s_waitcnt vmcnt(0)
	global_atomic_cmpswap_x2 v[2:3], v11, v[12:15], s[44:45] offset:32 glc
	s_waitcnt vmcnt(0)
	v_cmp_ne_u64_e32 vcc, v[2:3], v[14:15]
	s_and_saveexec_b64 s[18:19], vcc
	s_cbranch_execz .LBB6_816
; %bb.814:
	s_mov_b64 s[20:21], 0
.LBB6_815:                              ; =>This Inner Loop Header: Depth=1
	s_sleep 1
	global_store_dwordx2 v[9:10], v[2:3], off
	v_mov_b32_e32 v0, s10
	v_mov_b32_e32 v1, s11
	s_waitcnt vmcnt(0)
	global_atomic_cmpswap_x2 v[0:1], v11, v[0:3], s[44:45] offset:32 glc
	s_waitcnt vmcnt(0)
	v_cmp_eq_u64_e32 vcc, v[0:1], v[2:3]
	v_mov_b32_e32 v3, v1
	s_or_b64 s[20:21], vcc, s[20:21]
	v_mov_b32_e32 v2, v0
	s_andn2_b64 exec, exec, s[20:21]
	s_cbranch_execnz .LBB6_815
.LBB6_816:
	s_or_b64 exec, exec, s[18:19]
	v_mov_b32_e32 v3, 0
	global_load_dwordx2 v[0:1], v3, s[44:45] offset:16
	s_mov_b64 s[18:19], exec
	v_mbcnt_lo_u32_b32 v2, s18, 0
	v_mbcnt_hi_u32_b32 v2, s19, v2
	v_cmp_eq_u32_e32 vcc, 0, v2
	s_and_saveexec_b64 s[20:21], vcc
	s_cbranch_execz .LBB6_818
; %bb.817:
	s_bcnt1_i32_b64 s15, s[18:19]
	v_mov_b32_e32 v2, s15
	s_waitcnt vmcnt(0)
	global_atomic_add_x2 v[0:1], v[2:3], off offset:8
.LBB6_818:
	s_or_b64 exec, exec, s[20:21]
	s_waitcnt vmcnt(0)
	global_load_dwordx2 v[2:3], v[0:1], off offset:16
	s_waitcnt vmcnt(0)
	v_cmp_eq_u64_e32 vcc, 0, v[2:3]
	s_cbranch_vccnz .LBB6_820
; %bb.819:
	global_load_dword v0, v[0:1], off offset:24
	v_mov_b32_e32 v1, 0
	s_waitcnt vmcnt(0)
	global_store_dwordx2 v[2:3], v[0:1], off
	v_and_b32_e32 v0, 0xffffff, v0
	v_readfirstlane_b32 m0, v0
	s_sendmsg sendmsg(MSG_INTERRUPT)
.LBB6_820:
	s_or_b64 exec, exec, s[16:17]
	s_branch .LBB6_824
.LBB6_821:                              ;   in Loop: Header=BB6_824 Depth=1
	s_or_b64 exec, exec, s[16:17]
	v_readfirstlane_b32 s15, v0
	s_cmp_eq_u32 s15, 0
	s_cbranch_scc1 .LBB6_823
; %bb.822:                              ;   in Loop: Header=BB6_824 Depth=1
	s_sleep 1
	s_cbranch_execnz .LBB6_824
	s_branch .LBB6_826
.LBB6_823:
	s_branch .LBB6_826
.LBB6_824:                              ; =>This Inner Loop Header: Depth=1
	v_mov_b32_e32 v0, 1
	s_and_saveexec_b64 s[16:17], s[4:5]
	s_cbranch_execz .LBB6_821
; %bb.825:                              ;   in Loop: Header=BB6_824 Depth=1
	global_load_dword v0, v[6:7], off offset:20 glc
	s_waitcnt vmcnt(0)
	buffer_wbinvl1_vol
	v_and_b32_e32 v0, 1, v0
	s_branch .LBB6_821
.LBB6_826:
	s_and_saveexec_b64 s[16:17], s[4:5]
	s_cbranch_execz .LBB6_829
; %bb.827:
	v_mov_b32_e32 v9, 0
	global_load_dwordx2 v[2:3], v9, s[44:45] offset:40
	global_load_dwordx2 v[10:11], v9, s[44:45] offset:24 glc
	global_load_dwordx2 v[6:7], v9, s[44:45]
	v_mov_b32_e32 v1, s11
	s_mov_b64 s[4:5], 0
	s_waitcnt vmcnt(2)
	v_add_co_u32_e32 v12, vcc, 1, v2
	v_addc_co_u32_e32 v13, vcc, 0, v3, vcc
	v_add_co_u32_e32 v0, vcc, s10, v12
	v_addc_co_u32_e32 v1, vcc, v13, v1, vcc
	v_cmp_eq_u64_e32 vcc, 0, v[0:1]
	v_cndmask_b32_e32 v1, v1, v13, vcc
	v_cndmask_b32_e32 v0, v0, v12, vcc
	v_and_b32_e32 v3, v1, v3
	v_and_b32_e32 v2, v0, v2
	v_mul_lo_u32 v3, v3, 24
	v_mul_hi_u32 v12, v2, 24
	v_mul_lo_u32 v13, v2, 24
	s_waitcnt vmcnt(1)
	v_mov_b32_e32 v2, v10
	v_add_u32_e32 v3, v12, v3
	s_waitcnt vmcnt(0)
	v_add_co_u32_e32 v6, vcc, v6, v13
	v_addc_co_u32_e32 v7, vcc, v7, v3, vcc
	global_store_dwordx2 v[6:7], v[10:11], off
	v_mov_b32_e32 v3, v11
	s_waitcnt vmcnt(0)
	global_atomic_cmpswap_x2 v[2:3], v9, v[0:3], s[44:45] offset:24 glc
	s_waitcnt vmcnt(0)
	v_cmp_ne_u64_e32 vcc, v[2:3], v[10:11]
	s_and_b64 exec, exec, vcc
	s_cbranch_execz .LBB6_829
.LBB6_828:                              ; =>This Inner Loop Header: Depth=1
	s_sleep 1
	global_store_dwordx2 v[6:7], v[2:3], off
	s_waitcnt vmcnt(0)
	global_atomic_cmpswap_x2 v[10:11], v9, v[0:3], s[44:45] offset:24 glc
	s_waitcnt vmcnt(0)
	v_cmp_eq_u64_e32 vcc, v[10:11], v[2:3]
	v_mov_b32_e32 v2, v10
	s_or_b64 s[4:5], vcc, s[4:5]
	v_mov_b32_e32 v3, v11
	s_andn2_b64 exec, exec, s[4:5]
	s_cbranch_execnz .LBB6_828
.LBB6_829:
	s_or_b64 exec, exec, s[16:17]
	v_readfirstlane_b32 s4, v51
	v_mov_b32_e32 v6, 0
	v_mov_b32_e32 v7, 0
	v_cmp_eq_u32_e64 s[4:5], s4, v51
	s_and_saveexec_b64 s[10:11], s[4:5]
	s_cbranch_execz .LBB6_835
; %bb.830:
	v_mov_b32_e32 v0, 0
	global_load_dwordx2 v[11:12], v0, s[44:45] offset:24 glc
	s_waitcnt vmcnt(0)
	buffer_wbinvl1_vol
	global_load_dwordx2 v[1:2], v0, s[44:45] offset:40
	global_load_dwordx2 v[6:7], v0, s[44:45]
	s_waitcnt vmcnt(1)
	v_and_b32_e32 v1, v1, v11
	v_and_b32_e32 v2, v2, v12
	v_mul_lo_u32 v2, v2, 24
	v_mul_hi_u32 v3, v1, 24
	v_mul_lo_u32 v1, v1, 24
	v_add_u32_e32 v2, v3, v2
	s_waitcnt vmcnt(0)
	v_add_co_u32_e32 v1, vcc, v6, v1
	v_addc_co_u32_e32 v2, vcc, v7, v2, vcc
	global_load_dwordx2 v[9:10], v[1:2], off glc
	s_waitcnt vmcnt(0)
	global_atomic_cmpswap_x2 v[6:7], v0, v[9:12], s[44:45] offset:24 glc
	s_waitcnt vmcnt(0)
	buffer_wbinvl1_vol
	v_cmp_ne_u64_e32 vcc, v[6:7], v[11:12]
	s_and_saveexec_b64 s[16:17], vcc
	s_cbranch_execz .LBB6_834
; %bb.831:
	s_mov_b64 s[18:19], 0
.LBB6_832:                              ; =>This Inner Loop Header: Depth=1
	s_sleep 1
	global_load_dwordx2 v[1:2], v0, s[44:45] offset:40
	global_load_dwordx2 v[9:10], v0, s[44:45]
	v_mov_b32_e32 v12, v7
	v_mov_b32_e32 v11, v6
	s_waitcnt vmcnt(1)
	v_and_b32_e32 v1, v1, v11
	s_waitcnt vmcnt(0)
	v_mad_u64_u32 v[6:7], s[20:21], v1, 24, v[9:10]
	v_and_b32_e32 v2, v2, v12
	v_mov_b32_e32 v1, v7
	v_mad_u64_u32 v[1:2], s[20:21], v2, 24, v[1:2]
	v_mov_b32_e32 v7, v1
	global_load_dwordx2 v[9:10], v[6:7], off glc
	s_waitcnt vmcnt(0)
	global_atomic_cmpswap_x2 v[6:7], v0, v[9:12], s[44:45] offset:24 glc
	s_waitcnt vmcnt(0)
	buffer_wbinvl1_vol
	v_cmp_eq_u64_e32 vcc, v[6:7], v[11:12]
	s_or_b64 s[18:19], vcc, s[18:19]
	s_andn2_b64 exec, exec, s[18:19]
	s_cbranch_execnz .LBB6_832
; %bb.833:
	s_or_b64 exec, exec, s[18:19]
.LBB6_834:
	s_or_b64 exec, exec, s[16:17]
.LBB6_835:
	s_or_b64 exec, exec, s[10:11]
	v_mov_b32_e32 v10, 0
	global_load_dwordx2 v[11:12], v10, s[44:45] offset:40
	global_load_dwordx4 v[0:3], v10, s[44:45]
	v_readfirstlane_b32 s10, v6
	v_readfirstlane_b32 s11, v7
	s_mov_b64 s[16:17], exec
	s_waitcnt vmcnt(1)
	v_readfirstlane_b32 s18, v11
	v_readfirstlane_b32 s19, v12
	s_and_b64 s[18:19], s[10:11], s[18:19]
	s_mul_i32 s15, s19, 24
	s_mul_hi_u32 s20, s18, 24
	s_mul_i32 s21, s18, 24
	s_add_i32 s15, s20, s15
	v_mov_b32_e32 v7, s15
	s_waitcnt vmcnt(0)
	v_add_co_u32_e32 v6, vcc, s21, v0
	v_addc_co_u32_e32 v7, vcc, v1, v7, vcc
	s_and_saveexec_b64 s[20:21], s[4:5]
	s_cbranch_execz .LBB6_837
; %bb.836:
	v_mov_b32_e32 v11, s16
	v_mov_b32_e32 v12, s17
	;; [unrolled: 1-line block ×4, first 2 shown]
	global_store_dwordx4 v[6:7], v[11:14], off offset:8
.LBB6_837:
	s_or_b64 exec, exec, s[20:21]
	s_lshl_b64 s[16:17], s[18:19], 12
	v_mov_b32_e32 v9, s17
	v_add_co_u32_e32 v2, vcc, s16, v2
	v_addc_co_u32_e32 v3, vcc, v3, v9, vcc
	s_mov_b32 s16, 0
	v_mov_b32_e32 v9, 33
	v_mov_b32_e32 v11, v10
	v_mov_b32_e32 v12, v10
	v_readfirstlane_b32 s20, v2
	v_readfirstlane_b32 s21, v3
	v_add_co_u32_e32 v13, vcc, v2, v50
	s_mov_b32 s17, s16
	s_mov_b32 s18, s16
	;; [unrolled: 1-line block ×3, first 2 shown]
	s_nop 0
	global_store_dwordx4 v50, v[9:12], s[20:21]
	v_addc_co_u32_e32 v14, vcc, 0, v3, vcc
	v_mov_b32_e32 v9, s16
	v_mov_b32_e32 v10, s17
	;; [unrolled: 1-line block ×4, first 2 shown]
	global_store_dwordx4 v50, v[9:12], s[20:21] offset:16
	global_store_dwordx4 v50, v[9:12], s[20:21] offset:32
	global_store_dwordx4 v50, v[9:12], s[20:21] offset:48
	s_and_saveexec_b64 s[16:17], s[4:5]
	s_cbranch_execz .LBB6_845
; %bb.838:
	v_mov_b32_e32 v11, 0
	global_load_dwordx2 v[17:18], v11, s[44:45] offset:32 glc
	global_load_dwordx2 v[2:3], v11, s[44:45] offset:40
	v_mov_b32_e32 v15, s10
	v_mov_b32_e32 v16, s11
	s_waitcnt vmcnt(0)
	v_readfirstlane_b32 s18, v2
	v_readfirstlane_b32 s19, v3
	s_and_b64 s[18:19], s[18:19], s[10:11]
	s_mul_i32 s15, s19, 24
	s_mul_hi_u32 s19, s18, 24
	s_mul_i32 s18, s18, 24
	s_add_i32 s15, s19, s15
	v_mov_b32_e32 v2, s15
	v_add_co_u32_e32 v9, vcc, s18, v0
	v_addc_co_u32_e32 v10, vcc, v1, v2, vcc
	global_store_dwordx2 v[9:10], v[17:18], off
	s_waitcnt vmcnt(0)
	global_atomic_cmpswap_x2 v[2:3], v11, v[15:18], s[44:45] offset:32 glc
	s_waitcnt vmcnt(0)
	v_cmp_ne_u64_e32 vcc, v[2:3], v[17:18]
	s_and_saveexec_b64 s[18:19], vcc
	s_cbranch_execz .LBB6_841
; %bb.839:
	s_mov_b64 s[20:21], 0
.LBB6_840:                              ; =>This Inner Loop Header: Depth=1
	s_sleep 1
	global_store_dwordx2 v[9:10], v[2:3], off
	v_mov_b32_e32 v0, s10
	v_mov_b32_e32 v1, s11
	s_waitcnt vmcnt(0)
	global_atomic_cmpswap_x2 v[0:1], v11, v[0:3], s[44:45] offset:32 glc
	s_waitcnt vmcnt(0)
	v_cmp_eq_u64_e32 vcc, v[0:1], v[2:3]
	v_mov_b32_e32 v3, v1
	s_or_b64 s[20:21], vcc, s[20:21]
	v_mov_b32_e32 v2, v0
	s_andn2_b64 exec, exec, s[20:21]
	s_cbranch_execnz .LBB6_840
.LBB6_841:
	s_or_b64 exec, exec, s[18:19]
	v_mov_b32_e32 v3, 0
	global_load_dwordx2 v[0:1], v3, s[44:45] offset:16
	s_mov_b64 s[18:19], exec
	v_mbcnt_lo_u32_b32 v2, s18, 0
	v_mbcnt_hi_u32_b32 v2, s19, v2
	v_cmp_eq_u32_e32 vcc, 0, v2
	s_and_saveexec_b64 s[20:21], vcc
	s_cbranch_execz .LBB6_843
; %bb.842:
	s_bcnt1_i32_b64 s15, s[18:19]
	v_mov_b32_e32 v2, s15
	s_waitcnt vmcnt(0)
	global_atomic_add_x2 v[0:1], v[2:3], off offset:8
.LBB6_843:
	s_or_b64 exec, exec, s[20:21]
	s_waitcnt vmcnt(0)
	global_load_dwordx2 v[2:3], v[0:1], off offset:16
	s_waitcnt vmcnt(0)
	v_cmp_eq_u64_e32 vcc, 0, v[2:3]
	s_cbranch_vccnz .LBB6_845
; %bb.844:
	global_load_dword v0, v[0:1], off offset:24
	v_mov_b32_e32 v1, 0
	s_waitcnt vmcnt(0)
	global_store_dwordx2 v[2:3], v[0:1], off
	v_and_b32_e32 v0, 0xffffff, v0
	v_readfirstlane_b32 m0, v0
	s_sendmsg sendmsg(MSG_INTERRUPT)
.LBB6_845:
	s_or_b64 exec, exec, s[16:17]
	s_branch .LBB6_849
.LBB6_846:                              ;   in Loop: Header=BB6_849 Depth=1
	s_or_b64 exec, exec, s[16:17]
	v_readfirstlane_b32 s15, v0
	s_cmp_eq_u32 s15, 0
	s_cbranch_scc1 .LBB6_848
; %bb.847:                              ;   in Loop: Header=BB6_849 Depth=1
	s_sleep 1
	s_cbranch_execnz .LBB6_849
	s_branch .LBB6_851
.LBB6_848:
	s_branch .LBB6_851
.LBB6_849:                              ; =>This Inner Loop Header: Depth=1
	v_mov_b32_e32 v0, 1
	s_and_saveexec_b64 s[16:17], s[4:5]
	s_cbranch_execz .LBB6_846
; %bb.850:                              ;   in Loop: Header=BB6_849 Depth=1
	global_load_dword v0, v[6:7], off offset:20 glc
	s_waitcnt vmcnt(0)
	buffer_wbinvl1_vol
	v_and_b32_e32 v0, 1, v0
	s_branch .LBB6_846
.LBB6_851:
	global_load_dwordx2 v[0:1], v[13:14], off
	s_and_saveexec_b64 s[16:17], s[4:5]
	s_cbranch_execz .LBB6_854
; %bb.852:
	v_mov_b32_e32 v6, 0
	global_load_dwordx2 v[2:3], v6, s[44:45] offset:40
	global_load_dwordx2 v[13:14], v6, s[44:45] offset:24 glc
	global_load_dwordx2 v[15:16], v6, s[44:45]
	v_mov_b32_e32 v7, s11
	s_mov_b64 s[4:5], 0
	s_waitcnt vmcnt(2)
	v_add_co_u32_e32 v11, vcc, 1, v2
	v_addc_co_u32_e32 v12, vcc, 0, v3, vcc
	v_add_co_u32_e32 v9, vcc, s10, v11
	v_addc_co_u32_e32 v10, vcc, v12, v7, vcc
	v_cmp_eq_u64_e32 vcc, 0, v[9:10]
	v_cndmask_b32_e32 v10, v10, v12, vcc
	v_cndmask_b32_e32 v9, v9, v11, vcc
	v_and_b32_e32 v3, v10, v3
	v_and_b32_e32 v2, v9, v2
	v_mul_lo_u32 v3, v3, 24
	v_mul_hi_u32 v7, v2, 24
	v_mul_lo_u32 v2, v2, 24
	s_waitcnt vmcnt(1)
	v_mov_b32_e32 v11, v13
	v_mov_b32_e32 v12, v14
	v_add_u32_e32 v3, v7, v3
	s_waitcnt vmcnt(0)
	v_add_co_u32_e32 v2, vcc, v15, v2
	v_addc_co_u32_e32 v3, vcc, v16, v3, vcc
	global_store_dwordx2 v[2:3], v[13:14], off
	s_waitcnt vmcnt(0)
	global_atomic_cmpswap_x2 v[11:12], v6, v[9:12], s[44:45] offset:24 glc
	s_waitcnt vmcnt(0)
	v_cmp_ne_u64_e32 vcc, v[11:12], v[13:14]
	s_and_b64 exec, exec, vcc
	s_cbranch_execz .LBB6_854
.LBB6_853:                              ; =>This Inner Loop Header: Depth=1
	s_sleep 1
	global_store_dwordx2 v[2:3], v[11:12], off
	s_waitcnt vmcnt(0)
	global_atomic_cmpswap_x2 v[13:14], v6, v[9:12], s[44:45] offset:24 glc
	s_waitcnt vmcnt(0)
	v_cmp_eq_u64_e32 vcc, v[13:14], v[11:12]
	v_mov_b32_e32 v11, v13
	s_or_b64 s[4:5], vcc, s[4:5]
	v_mov_b32_e32 v12, v14
	s_andn2_b64 exec, exec, s[4:5]
	s_cbranch_execnz .LBB6_853
.LBB6_854:
	s_or_b64 exec, exec, s[16:17]
	s_getpc_b64 s[10:11]
	s_add_u32 s10, s10, .str.9@rel32@lo+4
	s_addc_u32 s11, s11, .str.9@rel32@hi+12
	s_cmp_lg_u64 s[10:11], 0
	s_cbranch_scc0 .LBB6_939
; %bb.855:
	s_waitcnt vmcnt(0)
	v_and_b32_e32 v35, 2, v0
	v_mov_b32_e32 v3, 0
	v_and_b32_e32 v9, -3, v0
	v_mov_b32_e32 v10, v1
	s_mov_b64 s[16:17], 4
	v_mov_b32_e32 v13, 2
	v_mov_b32_e32 v14, 1
	s_branch .LBB6_857
.LBB6_856:                              ;   in Loop: Header=BB6_857 Depth=1
	s_or_b64 exec, exec, s[22:23]
	s_sub_u32 s16, s16, s18
	s_subb_u32 s17, s17, s19
	s_add_u32 s10, s10, s18
	s_addc_u32 s11, s11, s19
	s_cmp_lg_u64 s[16:17], 0
	s_cbranch_scc0 .LBB6_938
.LBB6_857:                              ; =>This Loop Header: Depth=1
                                        ;     Child Loop BB6_860 Depth 2
                                        ;     Child Loop BB6_867 Depth 2
                                        ;     Child Loop BB6_875 Depth 2
                                        ;     Child Loop BB6_883 Depth 2
                                        ;     Child Loop BB6_891 Depth 2
                                        ;     Child Loop BB6_899 Depth 2
                                        ;     Child Loop BB6_907 Depth 2
                                        ;     Child Loop BB6_915 Depth 2
                                        ;     Child Loop BB6_923 Depth 2
                                        ;     Child Loop BB6_932 Depth 2
                                        ;     Child Loop BB6_937 Depth 2
	v_cmp_lt_u64_e64 s[4:5], s[16:17], 56
	v_cmp_gt_u64_e64 s[20:21], s[16:17], 7
	s_and_b64 s[4:5], s[4:5], exec
	s_cselect_b32 s19, s17, 0
	s_cselect_b32 s18, s16, 56
	s_and_b64 vcc, exec, s[20:21]
	s_cbranch_vccnz .LBB6_862
; %bb.858:                              ;   in Loop: Header=BB6_857 Depth=1
	v_mov_b32_e32 v17, 0
	s_cmp_eq_u64 s[16:17], 0
	v_mov_b32_e32 v18, 0
	s_mov_b64 s[4:5], 0
	s_cbranch_scc1 .LBB6_861
; %bb.859:                              ;   in Loop: Header=BB6_857 Depth=1
	v_mov_b32_e32 v17, 0
	s_lshl_b64 s[20:21], s[18:19], 3
	s_mov_b64 s[22:23], 0
	v_mov_b32_e32 v18, 0
	s_mov_b64 s[24:25], s[10:11]
.LBB6_860:                              ;   Parent Loop BB6_857 Depth=1
                                        ; =>  This Inner Loop Header: Depth=2
	global_load_ubyte v2, v3, s[24:25]
	s_waitcnt vmcnt(0)
	v_and_b32_e32 v2, 0xffff, v2
	v_lshlrev_b64 v[6:7], s22, v[2:3]
	s_add_u32 s22, s22, 8
	s_addc_u32 s23, s23, 0
	s_add_u32 s24, s24, 1
	s_addc_u32 s25, s25, 0
	v_or_b32_e32 v17, v6, v17
	s_cmp_lg_u32 s20, s22
	v_or_b32_e32 v18, v7, v18
	s_cbranch_scc1 .LBB6_860
.LBB6_861:                              ;   in Loop: Header=BB6_857 Depth=1
	s_mov_b32 s15, 0
	s_andn2_b64 vcc, exec, s[4:5]
	s_mov_b64 s[4:5], s[10:11]
	s_cbranch_vccz .LBB6_863
	s_branch .LBB6_864
.LBB6_862:                              ;   in Loop: Header=BB6_857 Depth=1
                                        ; implicit-def: $vgpr17_vgpr18
                                        ; implicit-def: $sgpr15
	s_mov_b64 s[4:5], s[10:11]
.LBB6_863:                              ;   in Loop: Header=BB6_857 Depth=1
	global_load_dwordx2 v[17:18], v3, s[10:11]
	s_add_i32 s15, s18, -8
	s_add_u32 s4, s10, 8
	s_addc_u32 s5, s11, 0
.LBB6_864:                              ;   in Loop: Header=BB6_857 Depth=1
	s_cmp_gt_u32 s15, 7
	s_cbranch_scc1 .LBB6_868
; %bb.865:                              ;   in Loop: Header=BB6_857 Depth=1
	s_cmp_eq_u32 s15, 0
	s_cbranch_scc1 .LBB6_869
; %bb.866:                              ;   in Loop: Header=BB6_857 Depth=1
	v_mov_b32_e32 v19, 0
	s_mov_b64 s[20:21], 0
	v_mov_b32_e32 v20, 0
	s_mov_b64 s[22:23], 0
.LBB6_867:                              ;   Parent Loop BB6_857 Depth=1
                                        ; =>  This Inner Loop Header: Depth=2
	s_add_u32 s24, s4, s22
	s_addc_u32 s25, s5, s23
	global_load_ubyte v2, v3, s[24:25]
	s_add_u32 s22, s22, 1
	s_addc_u32 s23, s23, 0
	s_waitcnt vmcnt(0)
	v_and_b32_e32 v2, 0xffff, v2
	v_lshlrev_b64 v[6:7], s20, v[2:3]
	s_add_u32 s20, s20, 8
	s_addc_u32 s21, s21, 0
	v_or_b32_e32 v19, v6, v19
	s_cmp_lg_u32 s15, s22
	v_or_b32_e32 v20, v7, v20
	s_cbranch_scc1 .LBB6_867
	s_branch .LBB6_870
.LBB6_868:                              ;   in Loop: Header=BB6_857 Depth=1
                                        ; implicit-def: $vgpr19_vgpr20
                                        ; implicit-def: $sgpr24
	s_branch .LBB6_871
.LBB6_869:                              ;   in Loop: Header=BB6_857 Depth=1
	v_mov_b32_e32 v19, 0
	v_mov_b32_e32 v20, 0
.LBB6_870:                              ;   in Loop: Header=BB6_857 Depth=1
	s_mov_b32 s24, 0
	s_cbranch_execnz .LBB6_872
.LBB6_871:                              ;   in Loop: Header=BB6_857 Depth=1
	global_load_dwordx2 v[19:20], v3, s[4:5]
	s_add_i32 s24, s15, -8
	s_add_u32 s4, s4, 8
	s_addc_u32 s5, s5, 0
.LBB6_872:                              ;   in Loop: Header=BB6_857 Depth=1
	s_cmp_gt_u32 s24, 7
	s_cbranch_scc1 .LBB6_876
; %bb.873:                              ;   in Loop: Header=BB6_857 Depth=1
	s_cmp_eq_u32 s24, 0
	s_cbranch_scc1 .LBB6_877
; %bb.874:                              ;   in Loop: Header=BB6_857 Depth=1
	v_mov_b32_e32 v21, 0
	s_mov_b64 s[20:21], 0
	v_mov_b32_e32 v22, 0
	s_mov_b64 s[22:23], 0
.LBB6_875:                              ;   Parent Loop BB6_857 Depth=1
                                        ; =>  This Inner Loop Header: Depth=2
	s_add_u32 s26, s4, s22
	s_addc_u32 s27, s5, s23
	global_load_ubyte v2, v3, s[26:27]
	s_add_u32 s22, s22, 1
	s_addc_u32 s23, s23, 0
	s_waitcnt vmcnt(0)
	v_and_b32_e32 v2, 0xffff, v2
	v_lshlrev_b64 v[6:7], s20, v[2:3]
	s_add_u32 s20, s20, 8
	s_addc_u32 s21, s21, 0
	v_or_b32_e32 v21, v6, v21
	s_cmp_lg_u32 s24, s22
	v_or_b32_e32 v22, v7, v22
	s_cbranch_scc1 .LBB6_875
	s_branch .LBB6_878
.LBB6_876:                              ;   in Loop: Header=BB6_857 Depth=1
                                        ; implicit-def: $sgpr15
	s_branch .LBB6_879
.LBB6_877:                              ;   in Loop: Header=BB6_857 Depth=1
	v_mov_b32_e32 v21, 0
	v_mov_b32_e32 v22, 0
.LBB6_878:                              ;   in Loop: Header=BB6_857 Depth=1
	s_mov_b32 s15, 0
	s_cbranch_execnz .LBB6_880
.LBB6_879:                              ;   in Loop: Header=BB6_857 Depth=1
	global_load_dwordx2 v[21:22], v3, s[4:5]
	s_add_i32 s15, s24, -8
	s_add_u32 s4, s4, 8
	s_addc_u32 s5, s5, 0
.LBB6_880:                              ;   in Loop: Header=BB6_857 Depth=1
	s_cmp_gt_u32 s15, 7
	s_cbranch_scc1 .LBB6_884
; %bb.881:                              ;   in Loop: Header=BB6_857 Depth=1
	s_cmp_eq_u32 s15, 0
	s_cbranch_scc1 .LBB6_885
; %bb.882:                              ;   in Loop: Header=BB6_857 Depth=1
	v_mov_b32_e32 v23, 0
	s_mov_b64 s[20:21], 0
	v_mov_b32_e32 v24, 0
	s_mov_b64 s[22:23], 0
.LBB6_883:                              ;   Parent Loop BB6_857 Depth=1
                                        ; =>  This Inner Loop Header: Depth=2
	s_add_u32 s24, s4, s22
	s_addc_u32 s25, s5, s23
	global_load_ubyte v2, v3, s[24:25]
	s_add_u32 s22, s22, 1
	s_addc_u32 s23, s23, 0
	s_waitcnt vmcnt(0)
	v_and_b32_e32 v2, 0xffff, v2
	v_lshlrev_b64 v[6:7], s20, v[2:3]
	s_add_u32 s20, s20, 8
	s_addc_u32 s21, s21, 0
	v_or_b32_e32 v23, v6, v23
	s_cmp_lg_u32 s15, s22
	v_or_b32_e32 v24, v7, v24
	s_cbranch_scc1 .LBB6_883
	s_branch .LBB6_886
.LBB6_884:                              ;   in Loop: Header=BB6_857 Depth=1
                                        ; implicit-def: $vgpr23_vgpr24
                                        ; implicit-def: $sgpr24
	s_branch .LBB6_887
.LBB6_885:                              ;   in Loop: Header=BB6_857 Depth=1
	v_mov_b32_e32 v23, 0
	v_mov_b32_e32 v24, 0
.LBB6_886:                              ;   in Loop: Header=BB6_857 Depth=1
	s_mov_b32 s24, 0
	s_cbranch_execnz .LBB6_888
.LBB6_887:                              ;   in Loop: Header=BB6_857 Depth=1
	global_load_dwordx2 v[23:24], v3, s[4:5]
	s_add_i32 s24, s15, -8
	s_add_u32 s4, s4, 8
	s_addc_u32 s5, s5, 0
.LBB6_888:                              ;   in Loop: Header=BB6_857 Depth=1
	s_cmp_gt_u32 s24, 7
	s_cbranch_scc1 .LBB6_892
; %bb.889:                              ;   in Loop: Header=BB6_857 Depth=1
	s_cmp_eq_u32 s24, 0
	s_cbranch_scc1 .LBB6_893
; %bb.890:                              ;   in Loop: Header=BB6_857 Depth=1
	v_mov_b32_e32 v25, 0
	s_mov_b64 s[20:21], 0
	v_mov_b32_e32 v26, 0
	s_mov_b64 s[22:23], 0
.LBB6_891:                              ;   Parent Loop BB6_857 Depth=1
                                        ; =>  This Inner Loop Header: Depth=2
	s_add_u32 s26, s4, s22
	s_addc_u32 s27, s5, s23
	global_load_ubyte v2, v3, s[26:27]
	s_add_u32 s22, s22, 1
	s_addc_u32 s23, s23, 0
	s_waitcnt vmcnt(0)
	v_and_b32_e32 v2, 0xffff, v2
	v_lshlrev_b64 v[6:7], s20, v[2:3]
	s_add_u32 s20, s20, 8
	s_addc_u32 s21, s21, 0
	v_or_b32_e32 v25, v6, v25
	s_cmp_lg_u32 s24, s22
	v_or_b32_e32 v26, v7, v26
	s_cbranch_scc1 .LBB6_891
	s_branch .LBB6_894
.LBB6_892:                              ;   in Loop: Header=BB6_857 Depth=1
                                        ; implicit-def: $sgpr15
	s_branch .LBB6_895
.LBB6_893:                              ;   in Loop: Header=BB6_857 Depth=1
	v_mov_b32_e32 v25, 0
	v_mov_b32_e32 v26, 0
.LBB6_894:                              ;   in Loop: Header=BB6_857 Depth=1
	s_mov_b32 s15, 0
	s_cbranch_execnz .LBB6_896
.LBB6_895:                              ;   in Loop: Header=BB6_857 Depth=1
	global_load_dwordx2 v[25:26], v3, s[4:5]
	s_add_i32 s15, s24, -8
	s_add_u32 s4, s4, 8
	s_addc_u32 s5, s5, 0
.LBB6_896:                              ;   in Loop: Header=BB6_857 Depth=1
	s_cmp_gt_u32 s15, 7
	s_cbranch_scc1 .LBB6_900
; %bb.897:                              ;   in Loop: Header=BB6_857 Depth=1
	s_cmp_eq_u32 s15, 0
	s_cbranch_scc1 .LBB6_901
; %bb.898:                              ;   in Loop: Header=BB6_857 Depth=1
	v_mov_b32_e32 v27, 0
	s_mov_b64 s[20:21], 0
	v_mov_b32_e32 v28, 0
	s_mov_b64 s[22:23], 0
.LBB6_899:                              ;   Parent Loop BB6_857 Depth=1
                                        ; =>  This Inner Loop Header: Depth=2
	s_add_u32 s24, s4, s22
	s_addc_u32 s25, s5, s23
	global_load_ubyte v2, v3, s[24:25]
	s_add_u32 s22, s22, 1
	s_addc_u32 s23, s23, 0
	s_waitcnt vmcnt(0)
	v_and_b32_e32 v2, 0xffff, v2
	v_lshlrev_b64 v[6:7], s20, v[2:3]
	s_add_u32 s20, s20, 8
	s_addc_u32 s21, s21, 0
	v_or_b32_e32 v27, v6, v27
	s_cmp_lg_u32 s15, s22
	v_or_b32_e32 v28, v7, v28
	s_cbranch_scc1 .LBB6_899
	s_branch .LBB6_902
.LBB6_900:                              ;   in Loop: Header=BB6_857 Depth=1
                                        ; implicit-def: $vgpr27_vgpr28
                                        ; implicit-def: $sgpr24
	s_branch .LBB6_903
.LBB6_901:                              ;   in Loop: Header=BB6_857 Depth=1
	v_mov_b32_e32 v27, 0
	v_mov_b32_e32 v28, 0
.LBB6_902:                              ;   in Loop: Header=BB6_857 Depth=1
	s_mov_b32 s24, 0
	s_cbranch_execnz .LBB6_904
.LBB6_903:                              ;   in Loop: Header=BB6_857 Depth=1
	global_load_dwordx2 v[27:28], v3, s[4:5]
	s_add_i32 s24, s15, -8
	s_add_u32 s4, s4, 8
	s_addc_u32 s5, s5, 0
.LBB6_904:                              ;   in Loop: Header=BB6_857 Depth=1
	s_cmp_gt_u32 s24, 7
	s_cbranch_scc1 .LBB6_908
; %bb.905:                              ;   in Loop: Header=BB6_857 Depth=1
	s_cmp_eq_u32 s24, 0
	s_cbranch_scc1 .LBB6_909
; %bb.906:                              ;   in Loop: Header=BB6_857 Depth=1
	v_mov_b32_e32 v29, 0
	s_mov_b64 s[20:21], 0
	v_mov_b32_e32 v30, 0
	s_mov_b64 s[22:23], s[4:5]
.LBB6_907:                              ;   Parent Loop BB6_857 Depth=1
                                        ; =>  This Inner Loop Header: Depth=2
	global_load_ubyte v2, v3, s[22:23]
	s_add_i32 s24, s24, -1
	s_waitcnt vmcnt(0)
	v_and_b32_e32 v2, 0xffff, v2
	v_lshlrev_b64 v[6:7], s20, v[2:3]
	s_add_u32 s20, s20, 8
	s_addc_u32 s21, s21, 0
	s_add_u32 s22, s22, 1
	s_addc_u32 s23, s23, 0
	v_or_b32_e32 v29, v6, v29
	s_cmp_lg_u32 s24, 0
	v_or_b32_e32 v30, v7, v30
	s_cbranch_scc1 .LBB6_907
	s_branch .LBB6_910
.LBB6_908:                              ;   in Loop: Header=BB6_857 Depth=1
	s_branch .LBB6_911
.LBB6_909:                              ;   in Loop: Header=BB6_857 Depth=1
	v_mov_b32_e32 v29, 0
	v_mov_b32_e32 v30, 0
.LBB6_910:                              ;   in Loop: Header=BB6_857 Depth=1
	s_cbranch_execnz .LBB6_912
.LBB6_911:                              ;   in Loop: Header=BB6_857 Depth=1
	global_load_dwordx2 v[29:30], v3, s[4:5]
.LBB6_912:                              ;   in Loop: Header=BB6_857 Depth=1
	v_readfirstlane_b32 s4, v51
	v_mov_b32_e32 v6, 0
	v_mov_b32_e32 v7, 0
	v_cmp_eq_u32_e64 s[4:5], s4, v51
	s_and_saveexec_b64 s[20:21], s[4:5]
	s_cbranch_execz .LBB6_918
; %bb.913:                              ;   in Loop: Header=BB6_857 Depth=1
	global_load_dwordx2 v[33:34], v3, s[44:45] offset:24 glc
	s_waitcnt vmcnt(0)
	buffer_wbinvl1_vol
	global_load_dwordx2 v[6:7], v3, s[44:45] offset:40
	global_load_dwordx2 v[11:12], v3, s[44:45]
	s_waitcnt vmcnt(1)
	v_and_b32_e32 v2, v6, v33
	v_and_b32_e32 v6, v7, v34
	v_mul_lo_u32 v6, v6, 24
	v_mul_hi_u32 v7, v2, 24
	v_mul_lo_u32 v2, v2, 24
	v_add_u32_e32 v7, v7, v6
	s_waitcnt vmcnt(0)
	v_add_co_u32_e32 v6, vcc, v11, v2
	v_addc_co_u32_e32 v7, vcc, v12, v7, vcc
	global_load_dwordx2 v[31:32], v[6:7], off glc
	s_waitcnt vmcnt(0)
	global_atomic_cmpswap_x2 v[6:7], v3, v[31:34], s[44:45] offset:24 glc
	s_waitcnt vmcnt(0)
	buffer_wbinvl1_vol
	v_cmp_ne_u64_e32 vcc, v[6:7], v[33:34]
	s_and_saveexec_b64 s[22:23], vcc
	s_cbranch_execz .LBB6_917
; %bb.914:                              ;   in Loop: Header=BB6_857 Depth=1
	s_mov_b64 s[24:25], 0
.LBB6_915:                              ;   Parent Loop BB6_857 Depth=1
                                        ; =>  This Inner Loop Header: Depth=2
	s_sleep 1
	global_load_dwordx2 v[11:12], v3, s[44:45] offset:40
	global_load_dwordx2 v[15:16], v3, s[44:45]
	v_mov_b32_e32 v34, v7
	v_mov_b32_e32 v33, v6
	s_waitcnt vmcnt(1)
	v_and_b32_e32 v2, v11, v33
	s_waitcnt vmcnt(0)
	v_mad_u64_u32 v[6:7], s[26:27], v2, 24, v[15:16]
	v_and_b32_e32 v11, v12, v34
	v_mov_b32_e32 v2, v7
	v_mad_u64_u32 v[11:12], s[26:27], v11, 24, v[2:3]
	v_mov_b32_e32 v7, v11
	global_load_dwordx2 v[31:32], v[6:7], off glc
	s_waitcnt vmcnt(0)
	global_atomic_cmpswap_x2 v[6:7], v3, v[31:34], s[44:45] offset:24 glc
	s_waitcnt vmcnt(0)
	buffer_wbinvl1_vol
	v_cmp_eq_u64_e32 vcc, v[6:7], v[33:34]
	s_or_b64 s[24:25], vcc, s[24:25]
	s_andn2_b64 exec, exec, s[24:25]
	s_cbranch_execnz .LBB6_915
; %bb.916:                              ;   in Loop: Header=BB6_857 Depth=1
	s_or_b64 exec, exec, s[24:25]
.LBB6_917:                              ;   in Loop: Header=BB6_857 Depth=1
	s_or_b64 exec, exec, s[22:23]
.LBB6_918:                              ;   in Loop: Header=BB6_857 Depth=1
	s_or_b64 exec, exec, s[20:21]
	global_load_dwordx2 v[11:12], v3, s[44:45] offset:40
	global_load_dwordx4 v[31:34], v3, s[44:45]
	v_readfirstlane_b32 s20, v6
	v_readfirstlane_b32 s21, v7
	s_mov_b64 s[22:23], exec
	s_waitcnt vmcnt(1)
	v_readfirstlane_b32 s24, v11
	v_readfirstlane_b32 s25, v12
	s_and_b64 s[24:25], s[20:21], s[24:25]
	s_mul_i32 s15, s25, 24
	s_mul_hi_u32 s26, s24, 24
	s_mul_i32 s27, s24, 24
	s_add_i32 s15, s26, s15
	v_mov_b32_e32 v2, s15
	s_waitcnt vmcnt(0)
	v_add_co_u32_e32 v6, vcc, s27, v31
	v_addc_co_u32_e32 v7, vcc, v32, v2, vcc
	s_and_saveexec_b64 s[26:27], s[4:5]
	s_cbranch_execz .LBB6_920
; %bb.919:                              ;   in Loop: Header=BB6_857 Depth=1
	v_mov_b32_e32 v11, s22
	v_mov_b32_e32 v12, s23
	global_store_dwordx4 v[6:7], v[11:14], off offset:8
.LBB6_920:                              ;   in Loop: Header=BB6_857 Depth=1
	s_or_b64 exec, exec, s[26:27]
	s_lshl_b64 s[22:23], s[24:25], 12
	v_mov_b32_e32 v2, s23
	v_add_co_u32_e32 v33, vcc, s22, v33
	v_addc_co_u32_e32 v34, vcc, v34, v2, vcc
	v_cmp_gt_u64_e64 vcc, s[16:17], 56
	v_or_b32_e32 v2, 0, v10
	v_or_b32_e32 v11, v9, v35
	s_lshl_b32 s15, s18, 2
	v_cndmask_b32_e32 v16, v2, v10, vcc
	v_cndmask_b32_e32 v2, v11, v9, vcc
	s_add_i32 s15, s15, 28
	s_and_b32 s15, s15, 0x1e0
	v_and_b32_e32 v2, 0xffffff1f, v2
	v_or_b32_e32 v15, s15, v2
	v_readfirstlane_b32 s22, v33
	v_readfirstlane_b32 s23, v34
	s_nop 4
	global_store_dwordx4 v50, v[15:18], s[22:23]
	global_store_dwordx4 v50, v[19:22], s[22:23] offset:16
	global_store_dwordx4 v50, v[23:26], s[22:23] offset:32
	;; [unrolled: 1-line block ×3, first 2 shown]
	s_and_saveexec_b64 s[22:23], s[4:5]
	s_cbranch_execz .LBB6_928
; %bb.921:                              ;   in Loop: Header=BB6_857 Depth=1
	global_load_dwordx2 v[19:20], v3, s[44:45] offset:32 glc
	global_load_dwordx2 v[9:10], v3, s[44:45] offset:40
	v_mov_b32_e32 v17, s20
	v_mov_b32_e32 v18, s21
	s_waitcnt vmcnt(0)
	v_readfirstlane_b32 s24, v9
	v_readfirstlane_b32 s25, v10
	s_and_b64 s[24:25], s[24:25], s[20:21]
	s_mul_i32 s15, s25, 24
	s_mul_hi_u32 s25, s24, 24
	s_mul_i32 s24, s24, 24
	s_add_i32 s15, s25, s15
	v_mov_b32_e32 v2, s15
	v_add_co_u32_e32 v15, vcc, s24, v31
	v_addc_co_u32_e32 v16, vcc, v32, v2, vcc
	global_store_dwordx2 v[15:16], v[19:20], off
	s_waitcnt vmcnt(0)
	global_atomic_cmpswap_x2 v[11:12], v3, v[17:20], s[44:45] offset:32 glc
	s_waitcnt vmcnt(0)
	v_cmp_ne_u64_e32 vcc, v[11:12], v[19:20]
	s_and_saveexec_b64 s[24:25], vcc
	s_cbranch_execz .LBB6_924
; %bb.922:                              ;   in Loop: Header=BB6_857 Depth=1
	s_mov_b64 s[26:27], 0
.LBB6_923:                              ;   Parent Loop BB6_857 Depth=1
                                        ; =>  This Inner Loop Header: Depth=2
	s_sleep 1
	global_store_dwordx2 v[15:16], v[11:12], off
	v_mov_b32_e32 v9, s20
	v_mov_b32_e32 v10, s21
	s_waitcnt vmcnt(0)
	global_atomic_cmpswap_x2 v[9:10], v3, v[9:12], s[44:45] offset:32 glc
	s_waitcnt vmcnt(0)
	v_cmp_eq_u64_e32 vcc, v[9:10], v[11:12]
	v_mov_b32_e32 v12, v10
	s_or_b64 s[26:27], vcc, s[26:27]
	v_mov_b32_e32 v11, v9
	s_andn2_b64 exec, exec, s[26:27]
	s_cbranch_execnz .LBB6_923
.LBB6_924:                              ;   in Loop: Header=BB6_857 Depth=1
	s_or_b64 exec, exec, s[24:25]
	global_load_dwordx2 v[9:10], v3, s[44:45] offset:16
	s_mov_b64 s[26:27], exec
	v_mbcnt_lo_u32_b32 v2, s26, 0
	v_mbcnt_hi_u32_b32 v2, s27, v2
	v_cmp_eq_u32_e32 vcc, 0, v2
	s_and_saveexec_b64 s[24:25], vcc
	s_cbranch_execz .LBB6_926
; %bb.925:                              ;   in Loop: Header=BB6_857 Depth=1
	s_bcnt1_i32_b64 s15, s[26:27]
	v_mov_b32_e32 v2, s15
	s_waitcnt vmcnt(0)
	global_atomic_add_x2 v[9:10], v[2:3], off offset:8
.LBB6_926:                              ;   in Loop: Header=BB6_857 Depth=1
	s_or_b64 exec, exec, s[24:25]
	s_waitcnt vmcnt(0)
	global_load_dwordx2 v[11:12], v[9:10], off offset:16
	s_waitcnt vmcnt(0)
	v_cmp_eq_u64_e32 vcc, 0, v[11:12]
	s_cbranch_vccnz .LBB6_928
; %bb.927:                              ;   in Loop: Header=BB6_857 Depth=1
	global_load_dword v2, v[9:10], off offset:24
	s_waitcnt vmcnt(0)
	global_store_dwordx2 v[11:12], v[2:3], off
	v_and_b32_e32 v2, 0xffffff, v2
	v_readfirstlane_b32 m0, v2
	s_sendmsg sendmsg(MSG_INTERRUPT)
.LBB6_928:                              ;   in Loop: Header=BB6_857 Depth=1
	s_or_b64 exec, exec, s[22:23]
	v_add_co_u32_e32 v9, vcc, v33, v50
	v_addc_co_u32_e32 v10, vcc, 0, v34, vcc
	s_branch .LBB6_932
.LBB6_929:                              ;   in Loop: Header=BB6_932 Depth=2
	s_or_b64 exec, exec, s[22:23]
	v_readfirstlane_b32 s15, v2
	s_cmp_eq_u32 s15, 0
	s_cbranch_scc1 .LBB6_931
; %bb.930:                              ;   in Loop: Header=BB6_932 Depth=2
	s_sleep 1
	s_cbranch_execnz .LBB6_932
	s_branch .LBB6_934
.LBB6_931:                              ;   in Loop: Header=BB6_857 Depth=1
	s_branch .LBB6_934
.LBB6_932:                              ;   Parent Loop BB6_857 Depth=1
                                        ; =>  This Inner Loop Header: Depth=2
	v_mov_b32_e32 v2, 1
	s_and_saveexec_b64 s[22:23], s[4:5]
	s_cbranch_execz .LBB6_929
; %bb.933:                              ;   in Loop: Header=BB6_932 Depth=2
	global_load_dword v2, v[6:7], off offset:20 glc
	s_waitcnt vmcnt(0)
	buffer_wbinvl1_vol
	v_and_b32_e32 v2, 1, v2
	s_branch .LBB6_929
.LBB6_934:                              ;   in Loop: Header=BB6_857 Depth=1
	global_load_dwordx4 v[9:12], v[9:10], off
	s_and_saveexec_b64 s[22:23], s[4:5]
	s_cbranch_execz .LBB6_856
; %bb.935:                              ;   in Loop: Header=BB6_857 Depth=1
	global_load_dwordx2 v[6:7], v3, s[44:45] offset:40
	global_load_dwordx2 v[11:12], v3, s[44:45] offset:24 glc
	global_load_dwordx2 v[18:19], v3, s[44:45]
	v_mov_b32_e32 v2, s21
	s_waitcnt vmcnt(2)
	v_add_co_u32_e32 v17, vcc, 1, v6
	v_addc_co_u32_e32 v20, vcc, 0, v7, vcc
	v_add_co_u32_e32 v15, vcc, s20, v17
	v_addc_co_u32_e32 v16, vcc, v20, v2, vcc
	v_cmp_eq_u64_e32 vcc, 0, v[15:16]
	v_cndmask_b32_e32 v16, v16, v20, vcc
	v_cndmask_b32_e32 v15, v15, v17, vcc
	v_and_b32_e32 v2, v16, v7
	v_and_b32_e32 v6, v15, v6
	v_mul_lo_u32 v2, v2, 24
	v_mul_hi_u32 v7, v6, 24
	v_mul_lo_u32 v6, v6, 24
	s_waitcnt vmcnt(1)
	v_mov_b32_e32 v17, v11
	v_add_u32_e32 v2, v7, v2
	s_waitcnt vmcnt(0)
	v_add_co_u32_e32 v6, vcc, v18, v6
	v_addc_co_u32_e32 v7, vcc, v19, v2, vcc
	global_store_dwordx2 v[6:7], v[11:12], off
	v_mov_b32_e32 v18, v12
	s_waitcnt vmcnt(0)
	global_atomic_cmpswap_x2 v[17:18], v3, v[15:18], s[44:45] offset:24 glc
	s_waitcnt vmcnt(0)
	v_cmp_ne_u64_e32 vcc, v[17:18], v[11:12]
	s_and_b64 exec, exec, vcc
	s_cbranch_execz .LBB6_856
; %bb.936:                              ;   in Loop: Header=BB6_857 Depth=1
	s_mov_b64 s[4:5], 0
.LBB6_937:                              ;   Parent Loop BB6_857 Depth=1
                                        ; =>  This Inner Loop Header: Depth=2
	s_sleep 1
	global_store_dwordx2 v[6:7], v[17:18], off
	s_waitcnt vmcnt(0)
	global_atomic_cmpswap_x2 v[11:12], v3, v[15:18], s[44:45] offset:24 glc
	s_waitcnt vmcnt(0)
	v_cmp_eq_u64_e32 vcc, v[11:12], v[17:18]
	v_mov_b32_e32 v18, v12
	s_or_b64 s[4:5], vcc, s[4:5]
	v_mov_b32_e32 v17, v11
	s_andn2_b64 exec, exec, s[4:5]
	s_cbranch_execnz .LBB6_937
	s_branch .LBB6_856
.LBB6_938:
	s_branch .LBB6_966
.LBB6_939:
                                        ; implicit-def: $vgpr9_vgpr10
	s_cbranch_execz .LBB6_966
; %bb.940:
	v_readfirstlane_b32 s4, v51
	v_mov_b32_e32 v6, 0
	v_mov_b32_e32 v7, 0
	v_cmp_eq_u32_e64 s[4:5], s4, v51
	s_and_saveexec_b64 s[10:11], s[4:5]
	s_cbranch_execz .LBB6_946
; %bb.941:
	v_mov_b32_e32 v2, 0
	global_load_dwordx2 v[11:12], v2, s[44:45] offset:24 glc
	s_waitcnt vmcnt(0)
	buffer_wbinvl1_vol
	global_load_dwordx2 v[6:7], v2, s[44:45] offset:40
	global_load_dwordx2 v[9:10], v2, s[44:45]
	s_waitcnt vmcnt(1)
	v_and_b32_e32 v3, v6, v11
	v_and_b32_e32 v6, v7, v12
	v_mul_lo_u32 v6, v6, 24
	v_mul_hi_u32 v7, v3, 24
	v_mul_lo_u32 v3, v3, 24
	v_add_u32_e32 v7, v7, v6
	s_waitcnt vmcnt(0)
	v_add_co_u32_e32 v6, vcc, v9, v3
	v_addc_co_u32_e32 v7, vcc, v10, v7, vcc
	global_load_dwordx2 v[9:10], v[6:7], off glc
	s_waitcnt vmcnt(0)
	global_atomic_cmpswap_x2 v[6:7], v2, v[9:12], s[44:45] offset:24 glc
	s_waitcnt vmcnt(0)
	buffer_wbinvl1_vol
	v_cmp_ne_u64_e32 vcc, v[6:7], v[11:12]
	s_and_saveexec_b64 s[16:17], vcc
	s_cbranch_execz .LBB6_945
; %bb.942:
	s_mov_b64 s[18:19], 0
.LBB6_943:                              ; =>This Inner Loop Header: Depth=1
	s_sleep 1
	global_load_dwordx2 v[9:10], v2, s[44:45] offset:40
	global_load_dwordx2 v[13:14], v2, s[44:45]
	v_mov_b32_e32 v12, v7
	v_mov_b32_e32 v11, v6
	s_waitcnt vmcnt(1)
	v_and_b32_e32 v3, v9, v11
	s_waitcnt vmcnt(0)
	v_mad_u64_u32 v[6:7], s[20:21], v3, 24, v[13:14]
	v_and_b32_e32 v9, v10, v12
	v_mov_b32_e32 v3, v7
	v_mad_u64_u32 v[9:10], s[20:21], v9, 24, v[3:4]
	v_mov_b32_e32 v7, v9
	global_load_dwordx2 v[9:10], v[6:7], off glc
	s_waitcnt vmcnt(0)
	global_atomic_cmpswap_x2 v[6:7], v2, v[9:12], s[44:45] offset:24 glc
	s_waitcnt vmcnt(0)
	buffer_wbinvl1_vol
	v_cmp_eq_u64_e32 vcc, v[6:7], v[11:12]
	s_or_b64 s[18:19], vcc, s[18:19]
	s_andn2_b64 exec, exec, s[18:19]
	s_cbranch_execnz .LBB6_943
; %bb.944:
	s_or_b64 exec, exec, s[18:19]
.LBB6_945:
	s_or_b64 exec, exec, s[16:17]
.LBB6_946:
	s_or_b64 exec, exec, s[10:11]
	v_mov_b32_e32 v2, 0
	global_load_dwordx2 v[13:14], v2, s[44:45] offset:40
	global_load_dwordx4 v[9:12], v2, s[44:45]
	v_readfirstlane_b32 s10, v6
	v_readfirstlane_b32 s11, v7
	s_mov_b64 s[16:17], exec
	s_waitcnt vmcnt(1)
	v_readfirstlane_b32 s18, v13
	v_readfirstlane_b32 s19, v14
	s_and_b64 s[18:19], s[10:11], s[18:19]
	s_mul_i32 s15, s19, 24
	s_mul_hi_u32 s20, s18, 24
	s_mul_i32 s21, s18, 24
	s_add_i32 s15, s20, s15
	v_mov_b32_e32 v3, s15
	s_waitcnt vmcnt(0)
	v_add_co_u32_e32 v6, vcc, s21, v9
	v_addc_co_u32_e32 v7, vcc, v10, v3, vcc
	s_and_saveexec_b64 s[20:21], s[4:5]
	s_cbranch_execz .LBB6_948
; %bb.947:
	v_mov_b32_e32 v13, s16
	v_mov_b32_e32 v14, s17
	;; [unrolled: 1-line block ×4, first 2 shown]
	global_store_dwordx4 v[6:7], v[13:16], off offset:8
.LBB6_948:
	s_or_b64 exec, exec, s[20:21]
	s_lshl_b64 s[16:17], s[18:19], 12
	v_mov_b32_e32 v3, s17
	v_add_co_u32_e32 v13, vcc, s16, v11
	v_addc_co_u32_e32 v14, vcc, v12, v3, vcc
	s_movk_i32 s15, 0xff1f
	v_and_or_b32 v0, v0, s15, 32
	s_mov_b32 s16, 0
	v_mov_b32_e32 v3, v2
	v_readfirstlane_b32 s20, v13
	v_readfirstlane_b32 s21, v14
	v_add_co_u32_e32 v11, vcc, v13, v50
	s_mov_b32 s17, s16
	s_mov_b32 s18, s16
	;; [unrolled: 1-line block ×3, first 2 shown]
	s_nop 0
	global_store_dwordx4 v50, v[0:3], s[20:21]
	v_addc_co_u32_e32 v12, vcc, 0, v14, vcc
	v_mov_b32_e32 v0, s16
	v_mov_b32_e32 v1, s17
	;; [unrolled: 1-line block ×4, first 2 shown]
	global_store_dwordx4 v50, v[0:3], s[20:21] offset:16
	global_store_dwordx4 v50, v[0:3], s[20:21] offset:32
	;; [unrolled: 1-line block ×3, first 2 shown]
	s_and_saveexec_b64 s[16:17], s[4:5]
	s_cbranch_execz .LBB6_956
; %bb.949:
	v_mov_b32_e32 v13, 0
	global_load_dwordx2 v[16:17], v13, s[44:45] offset:32 glc
	global_load_dwordx2 v[0:1], v13, s[44:45] offset:40
	v_mov_b32_e32 v14, s10
	v_mov_b32_e32 v15, s11
	s_waitcnt vmcnt(0)
	v_readfirstlane_b32 s18, v0
	v_readfirstlane_b32 s19, v1
	s_and_b64 s[18:19], s[18:19], s[10:11]
	s_mul_i32 s15, s19, 24
	s_mul_hi_u32 s19, s18, 24
	s_mul_i32 s18, s18, 24
	s_add_i32 s15, s19, s15
	v_mov_b32_e32 v0, s15
	v_add_co_u32_e32 v9, vcc, s18, v9
	v_addc_co_u32_e32 v10, vcc, v10, v0, vcc
	global_store_dwordx2 v[9:10], v[16:17], off
	s_waitcnt vmcnt(0)
	global_atomic_cmpswap_x2 v[2:3], v13, v[14:17], s[44:45] offset:32 glc
	s_waitcnt vmcnt(0)
	v_cmp_ne_u64_e32 vcc, v[2:3], v[16:17]
	s_and_saveexec_b64 s[18:19], vcc
	s_cbranch_execz .LBB6_952
; %bb.950:
	s_mov_b64 s[20:21], 0
.LBB6_951:                              ; =>This Inner Loop Header: Depth=1
	s_sleep 1
	global_store_dwordx2 v[9:10], v[2:3], off
	v_mov_b32_e32 v0, s10
	v_mov_b32_e32 v1, s11
	s_waitcnt vmcnt(0)
	global_atomic_cmpswap_x2 v[0:1], v13, v[0:3], s[44:45] offset:32 glc
	s_waitcnt vmcnt(0)
	v_cmp_eq_u64_e32 vcc, v[0:1], v[2:3]
	v_mov_b32_e32 v3, v1
	s_or_b64 s[20:21], vcc, s[20:21]
	v_mov_b32_e32 v2, v0
	s_andn2_b64 exec, exec, s[20:21]
	s_cbranch_execnz .LBB6_951
.LBB6_952:
	s_or_b64 exec, exec, s[18:19]
	v_mov_b32_e32 v3, 0
	global_load_dwordx2 v[0:1], v3, s[44:45] offset:16
	s_mov_b64 s[18:19], exec
	v_mbcnt_lo_u32_b32 v2, s18, 0
	v_mbcnt_hi_u32_b32 v2, s19, v2
	v_cmp_eq_u32_e32 vcc, 0, v2
	s_and_saveexec_b64 s[20:21], vcc
	s_cbranch_execz .LBB6_954
; %bb.953:
	s_bcnt1_i32_b64 s15, s[18:19]
	v_mov_b32_e32 v2, s15
	s_waitcnt vmcnt(0)
	global_atomic_add_x2 v[0:1], v[2:3], off offset:8
.LBB6_954:
	s_or_b64 exec, exec, s[20:21]
	s_waitcnt vmcnt(0)
	global_load_dwordx2 v[2:3], v[0:1], off offset:16
	s_waitcnt vmcnt(0)
	v_cmp_eq_u64_e32 vcc, 0, v[2:3]
	s_cbranch_vccnz .LBB6_956
; %bb.955:
	global_load_dword v0, v[0:1], off offset:24
	v_mov_b32_e32 v1, 0
	s_waitcnt vmcnt(0)
	global_store_dwordx2 v[2:3], v[0:1], off
	v_and_b32_e32 v0, 0xffffff, v0
	v_readfirstlane_b32 m0, v0
	s_sendmsg sendmsg(MSG_INTERRUPT)
.LBB6_956:
	s_or_b64 exec, exec, s[16:17]
	s_branch .LBB6_960
.LBB6_957:                              ;   in Loop: Header=BB6_960 Depth=1
	s_or_b64 exec, exec, s[16:17]
	v_readfirstlane_b32 s15, v0
	s_cmp_eq_u32 s15, 0
	s_cbranch_scc1 .LBB6_959
; %bb.958:                              ;   in Loop: Header=BB6_960 Depth=1
	s_sleep 1
	s_cbranch_execnz .LBB6_960
	s_branch .LBB6_962
.LBB6_959:
	s_branch .LBB6_962
.LBB6_960:                              ; =>This Inner Loop Header: Depth=1
	v_mov_b32_e32 v0, 1
	s_and_saveexec_b64 s[16:17], s[4:5]
	s_cbranch_execz .LBB6_957
; %bb.961:                              ;   in Loop: Header=BB6_960 Depth=1
	global_load_dword v0, v[6:7], off offset:20 glc
	s_waitcnt vmcnt(0)
	buffer_wbinvl1_vol
	v_and_b32_e32 v0, 1, v0
	s_branch .LBB6_957
.LBB6_962:
	global_load_dwordx2 v[9:10], v[11:12], off
	s_and_saveexec_b64 s[16:17], s[4:5]
	s_cbranch_execz .LBB6_965
; %bb.963:
	v_mov_b32_e32 v11, 0
	global_load_dwordx2 v[2:3], v11, s[44:45] offset:40
	global_load_dwordx2 v[12:13], v11, s[44:45] offset:24 glc
	global_load_dwordx2 v[6:7], v11, s[44:45]
	v_mov_b32_e32 v1, s11
	s_mov_b64 s[4:5], 0
	s_waitcnt vmcnt(2)
	v_add_co_u32_e32 v14, vcc, 1, v2
	v_addc_co_u32_e32 v15, vcc, 0, v3, vcc
	v_add_co_u32_e32 v0, vcc, s10, v14
	v_addc_co_u32_e32 v1, vcc, v15, v1, vcc
	v_cmp_eq_u64_e32 vcc, 0, v[0:1]
	v_cndmask_b32_e32 v1, v1, v15, vcc
	v_cndmask_b32_e32 v0, v0, v14, vcc
	v_and_b32_e32 v3, v1, v3
	v_and_b32_e32 v2, v0, v2
	v_mul_lo_u32 v3, v3, 24
	v_mul_hi_u32 v14, v2, 24
	v_mul_lo_u32 v15, v2, 24
	s_waitcnt vmcnt(1)
	v_mov_b32_e32 v2, v12
	v_add_u32_e32 v3, v14, v3
	s_waitcnt vmcnt(0)
	v_add_co_u32_e32 v6, vcc, v6, v15
	v_addc_co_u32_e32 v7, vcc, v7, v3, vcc
	global_store_dwordx2 v[6:7], v[12:13], off
	v_mov_b32_e32 v3, v13
	s_waitcnt vmcnt(0)
	global_atomic_cmpswap_x2 v[2:3], v11, v[0:3], s[44:45] offset:24 glc
	s_waitcnt vmcnt(0)
	v_cmp_ne_u64_e32 vcc, v[2:3], v[12:13]
	s_and_b64 exec, exec, vcc
	s_cbranch_execz .LBB6_965
.LBB6_964:                              ; =>This Inner Loop Header: Depth=1
	s_sleep 1
	global_store_dwordx2 v[6:7], v[2:3], off
	s_waitcnt vmcnt(0)
	global_atomic_cmpswap_x2 v[12:13], v11, v[0:3], s[44:45] offset:24 glc
	s_waitcnt vmcnt(0)
	v_cmp_eq_u64_e32 vcc, v[12:13], v[2:3]
	v_mov_b32_e32 v2, v12
	s_or_b64 s[4:5], vcc, s[4:5]
	v_mov_b32_e32 v3, v13
	s_andn2_b64 exec, exec, s[4:5]
	s_cbranch_execnz .LBB6_964
.LBB6_965:
	s_or_b64 exec, exec, s[16:17]
.LBB6_966:
	v_readfirstlane_b32 s4, v51
	v_mov_b32_e32 v6, 0
	v_mov_b32_e32 v7, 0
	v_cmp_eq_u32_e64 s[4:5], s4, v51
	s_and_saveexec_b64 s[10:11], s[4:5]
	s_cbranch_execz .LBB6_972
; %bb.967:
	s_waitcnt vmcnt(0)
	v_mov_b32_e32 v0, 0
	global_load_dwordx2 v[13:14], v0, s[44:45] offset:24 glc
	s_waitcnt vmcnt(0)
	buffer_wbinvl1_vol
	global_load_dwordx2 v[1:2], v0, s[44:45] offset:40
	global_load_dwordx2 v[6:7], v0, s[44:45]
	s_waitcnt vmcnt(1)
	v_and_b32_e32 v1, v1, v13
	v_and_b32_e32 v2, v2, v14
	v_mul_lo_u32 v2, v2, 24
	v_mul_hi_u32 v3, v1, 24
	v_mul_lo_u32 v1, v1, 24
	v_add_u32_e32 v2, v3, v2
	s_waitcnt vmcnt(0)
	v_add_co_u32_e32 v1, vcc, v6, v1
	v_addc_co_u32_e32 v2, vcc, v7, v2, vcc
	global_load_dwordx2 v[11:12], v[1:2], off glc
	s_waitcnt vmcnt(0)
	global_atomic_cmpswap_x2 v[6:7], v0, v[11:14], s[44:45] offset:24 glc
	s_waitcnt vmcnt(0)
	buffer_wbinvl1_vol
	v_cmp_ne_u64_e32 vcc, v[6:7], v[13:14]
	s_and_saveexec_b64 s[16:17], vcc
	s_cbranch_execz .LBB6_971
; %bb.968:
	s_mov_b64 s[18:19], 0
.LBB6_969:                              ; =>This Inner Loop Header: Depth=1
	s_sleep 1
	global_load_dwordx2 v[1:2], v0, s[44:45] offset:40
	global_load_dwordx2 v[11:12], v0, s[44:45]
	v_mov_b32_e32 v14, v7
	v_mov_b32_e32 v13, v6
	s_waitcnt vmcnt(1)
	v_and_b32_e32 v1, v1, v13
	s_waitcnt vmcnt(0)
	v_mad_u64_u32 v[6:7], s[20:21], v1, 24, v[11:12]
	v_and_b32_e32 v2, v2, v14
	v_mov_b32_e32 v1, v7
	v_mad_u64_u32 v[1:2], s[20:21], v2, 24, v[1:2]
	v_mov_b32_e32 v7, v1
	global_load_dwordx2 v[11:12], v[6:7], off glc
	s_waitcnt vmcnt(0)
	global_atomic_cmpswap_x2 v[6:7], v0, v[11:14], s[44:45] offset:24 glc
	s_waitcnt vmcnt(0)
	buffer_wbinvl1_vol
	v_cmp_eq_u64_e32 vcc, v[6:7], v[13:14]
	s_or_b64 s[18:19], vcc, s[18:19]
	s_andn2_b64 exec, exec, s[18:19]
	s_cbranch_execnz .LBB6_969
; %bb.970:
	s_or_b64 exec, exec, s[18:19]
.LBB6_971:
	s_or_b64 exec, exec, s[16:17]
.LBB6_972:
	s_or_b64 exec, exec, s[10:11]
	v_mov_b32_e32 v13, 0
	global_load_dwordx2 v[11:12], v13, s[44:45] offset:40
	global_load_dwordx4 v[0:3], v13, s[44:45]
	v_readfirstlane_b32 s10, v6
	v_readfirstlane_b32 s11, v7
	s_mov_b64 s[16:17], exec
	s_waitcnt vmcnt(1)
	v_readfirstlane_b32 s18, v11
	v_readfirstlane_b32 s19, v12
	s_and_b64 s[18:19], s[10:11], s[18:19]
	s_mul_i32 s15, s19, 24
	s_mul_hi_u32 s20, s18, 24
	s_mul_i32 s21, s18, 24
	s_add_i32 s15, s20, s15
	v_mov_b32_e32 v7, s15
	s_waitcnt vmcnt(0)
	v_add_co_u32_e32 v6, vcc, s21, v0
	v_addc_co_u32_e32 v7, vcc, v1, v7, vcc
	s_and_saveexec_b64 s[20:21], s[4:5]
	s_cbranch_execz .LBB6_974
; %bb.973:
	v_mov_b32_e32 v11, s16
	v_mov_b32_e32 v12, s17
	;; [unrolled: 1-line block ×4, first 2 shown]
	global_store_dwordx4 v[6:7], v[11:14], off offset:8
.LBB6_974:
	s_or_b64 exec, exec, s[20:21]
	s_lshl_b64 s[16:17], s[18:19], 12
	v_mov_b32_e32 v11, s17
	v_add_co_u32_e32 v2, vcc, s16, v2
	v_addc_co_u32_e32 v3, vcc, v3, v11, vcc
	s_movk_i32 s15, 0xff1d
	v_and_or_b32 v9, v9, s15, 34
	v_ashrrev_i32_e32 v12, 31, v8
	v_mov_b32_e32 v11, v8
	v_readfirstlane_b32 s20, v2
	v_readfirstlane_b32 s21, v3
	s_mov_b32 s16, 0
	s_mov_b32 s17, s16
	;; [unrolled: 1-line block ×4, first 2 shown]
	s_nop 0
	global_store_dwordx4 v50, v[9:12], s[20:21]
	v_mov_b32_e32 v8, s16
	v_mov_b32_e32 v9, s17
	;; [unrolled: 1-line block ×4, first 2 shown]
	global_store_dwordx4 v50, v[8:11], s[20:21] offset:16
	global_store_dwordx4 v50, v[8:11], s[20:21] offset:32
	;; [unrolled: 1-line block ×3, first 2 shown]
	s_and_saveexec_b64 s[16:17], s[4:5]
	s_cbranch_execz .LBB6_982
; %bb.975:
	v_mov_b32_e32 v10, 0
	global_load_dwordx2 v[13:14], v10, s[44:45] offset:32 glc
	global_load_dwordx2 v[2:3], v10, s[44:45] offset:40
	v_mov_b32_e32 v11, s10
	v_mov_b32_e32 v12, s11
	s_waitcnt vmcnt(0)
	v_readfirstlane_b32 s18, v2
	v_readfirstlane_b32 s19, v3
	s_and_b64 s[18:19], s[18:19], s[10:11]
	s_mul_i32 s15, s19, 24
	s_mul_hi_u32 s19, s18, 24
	s_mul_i32 s18, s18, 24
	s_add_i32 s15, s19, s15
	v_mov_b32_e32 v2, s15
	v_add_co_u32_e32 v8, vcc, s18, v0
	v_addc_co_u32_e32 v9, vcc, v1, v2, vcc
	global_store_dwordx2 v[8:9], v[13:14], off
	s_waitcnt vmcnt(0)
	global_atomic_cmpswap_x2 v[2:3], v10, v[11:14], s[44:45] offset:32 glc
	s_waitcnt vmcnt(0)
	v_cmp_ne_u64_e32 vcc, v[2:3], v[13:14]
	s_and_saveexec_b64 s[18:19], vcc
	s_cbranch_execz .LBB6_978
; %bb.976:
	s_mov_b64 s[20:21], 0
.LBB6_977:                              ; =>This Inner Loop Header: Depth=1
	s_sleep 1
	global_store_dwordx2 v[8:9], v[2:3], off
	v_mov_b32_e32 v0, s10
	v_mov_b32_e32 v1, s11
	s_waitcnt vmcnt(0)
	global_atomic_cmpswap_x2 v[0:1], v10, v[0:3], s[44:45] offset:32 glc
	s_waitcnt vmcnt(0)
	v_cmp_eq_u64_e32 vcc, v[0:1], v[2:3]
	v_mov_b32_e32 v3, v1
	s_or_b64 s[20:21], vcc, s[20:21]
	v_mov_b32_e32 v2, v0
	s_andn2_b64 exec, exec, s[20:21]
	s_cbranch_execnz .LBB6_977
.LBB6_978:
	s_or_b64 exec, exec, s[18:19]
	v_mov_b32_e32 v3, 0
	global_load_dwordx2 v[0:1], v3, s[44:45] offset:16
	s_mov_b64 s[18:19], exec
	v_mbcnt_lo_u32_b32 v2, s18, 0
	v_mbcnt_hi_u32_b32 v2, s19, v2
	v_cmp_eq_u32_e32 vcc, 0, v2
	s_and_saveexec_b64 s[20:21], vcc
	s_cbranch_execz .LBB6_980
; %bb.979:
	s_bcnt1_i32_b64 s15, s[18:19]
	v_mov_b32_e32 v2, s15
	s_waitcnt vmcnt(0)
	global_atomic_add_x2 v[0:1], v[2:3], off offset:8
.LBB6_980:
	s_or_b64 exec, exec, s[20:21]
	s_waitcnt vmcnt(0)
	global_load_dwordx2 v[2:3], v[0:1], off offset:16
	s_waitcnt vmcnt(0)
	v_cmp_eq_u64_e32 vcc, 0, v[2:3]
	s_cbranch_vccnz .LBB6_982
; %bb.981:
	global_load_dword v0, v[0:1], off offset:24
	v_mov_b32_e32 v1, 0
	s_waitcnt vmcnt(0)
	global_store_dwordx2 v[2:3], v[0:1], off
	v_and_b32_e32 v0, 0xffffff, v0
	v_readfirstlane_b32 m0, v0
	s_sendmsg sendmsg(MSG_INTERRUPT)
.LBB6_982:
	s_or_b64 exec, exec, s[16:17]
	s_branch .LBB6_986
.LBB6_983:                              ;   in Loop: Header=BB6_986 Depth=1
	s_or_b64 exec, exec, s[16:17]
	v_readfirstlane_b32 s15, v0
	s_cmp_eq_u32 s15, 0
	s_cbranch_scc1 .LBB6_985
; %bb.984:                              ;   in Loop: Header=BB6_986 Depth=1
	s_sleep 1
	s_cbranch_execnz .LBB6_986
	s_branch .LBB6_988
.LBB6_985:
	s_branch .LBB6_988
.LBB6_986:                              ; =>This Inner Loop Header: Depth=1
	v_mov_b32_e32 v0, 1
	s_and_saveexec_b64 s[16:17], s[4:5]
	s_cbranch_execz .LBB6_983
; %bb.987:                              ;   in Loop: Header=BB6_986 Depth=1
	global_load_dword v0, v[6:7], off offset:20 glc
	s_waitcnt vmcnt(0)
	buffer_wbinvl1_vol
	v_and_b32_e32 v0, 1, v0
	s_branch .LBB6_983
.LBB6_988:
	s_and_saveexec_b64 s[16:17], s[4:5]
	s_cbranch_execz .LBB6_991
; %bb.989:
	v_mov_b32_e32 v8, 0
	global_load_dwordx2 v[2:3], v8, s[44:45] offset:40
	global_load_dwordx2 v[9:10], v8, s[44:45] offset:24 glc
	global_load_dwordx2 v[6:7], v8, s[44:45]
	v_mov_b32_e32 v1, s11
	s_mov_b64 s[4:5], 0
	s_waitcnt vmcnt(2)
	v_add_co_u32_e32 v11, vcc, 1, v2
	v_addc_co_u32_e32 v12, vcc, 0, v3, vcc
	v_add_co_u32_e32 v0, vcc, s10, v11
	v_addc_co_u32_e32 v1, vcc, v12, v1, vcc
	v_cmp_eq_u64_e32 vcc, 0, v[0:1]
	v_cndmask_b32_e32 v1, v1, v12, vcc
	v_cndmask_b32_e32 v0, v0, v11, vcc
	v_and_b32_e32 v3, v1, v3
	v_and_b32_e32 v2, v0, v2
	v_mul_lo_u32 v3, v3, 24
	v_mul_hi_u32 v11, v2, 24
	v_mul_lo_u32 v12, v2, 24
	s_waitcnt vmcnt(1)
	v_mov_b32_e32 v2, v9
	v_add_u32_e32 v3, v11, v3
	s_waitcnt vmcnt(0)
	v_add_co_u32_e32 v6, vcc, v6, v12
	v_addc_co_u32_e32 v7, vcc, v7, v3, vcc
	global_store_dwordx2 v[6:7], v[9:10], off
	v_mov_b32_e32 v3, v10
	s_waitcnt vmcnt(0)
	global_atomic_cmpswap_x2 v[2:3], v8, v[0:3], s[44:45] offset:24 glc
	s_waitcnt vmcnt(0)
	v_cmp_ne_u64_e32 vcc, v[2:3], v[9:10]
	s_and_b64 exec, exec, vcc
	s_cbranch_execz .LBB6_991
.LBB6_990:                              ; =>This Inner Loop Header: Depth=1
	s_sleep 1
	global_store_dwordx2 v[6:7], v[2:3], off
	s_waitcnt vmcnt(0)
	global_atomic_cmpswap_x2 v[9:10], v8, v[0:3], s[44:45] offset:24 glc
	s_waitcnt vmcnt(0)
	v_cmp_eq_u64_e32 vcc, v[9:10], v[2:3]
	v_mov_b32_e32 v2, v9
	s_or_b64 s[4:5], vcc, s[4:5]
	v_mov_b32_e32 v3, v10
	s_andn2_b64 exec, exec, s[4:5]
	s_cbranch_execnz .LBB6_990
.LBB6_991:
	s_or_b64 exec, exec, s[16:17]
	v_readfirstlane_b32 s4, v51
	v_mov_b32_e32 v8, 0
	v_mov_b32_e32 v9, 0
	v_cmp_eq_u32_e64 s[4:5], s4, v51
	s_and_saveexec_b64 s[10:11], s[4:5]
	s_cbranch_execz .LBB6_997
; %bb.992:
	v_mov_b32_e32 v0, 0
	global_load_dwordx2 v[10:11], v0, s[44:45] offset:24 glc
	s_waitcnt vmcnt(0)
	buffer_wbinvl1_vol
	global_load_dwordx2 v[1:2], v0, s[44:45] offset:40
	global_load_dwordx2 v[6:7], v0, s[44:45]
	s_waitcnt vmcnt(1)
	v_and_b32_e32 v1, v1, v10
	v_and_b32_e32 v2, v2, v11
	v_mul_lo_u32 v2, v2, 24
	v_mul_hi_u32 v3, v1, 24
	v_mul_lo_u32 v1, v1, 24
	v_add_u32_e32 v2, v3, v2
	s_waitcnt vmcnt(0)
	v_add_co_u32_e32 v1, vcc, v6, v1
	v_addc_co_u32_e32 v2, vcc, v7, v2, vcc
	global_load_dwordx2 v[8:9], v[1:2], off glc
	s_waitcnt vmcnt(0)
	global_atomic_cmpswap_x2 v[8:9], v0, v[8:11], s[44:45] offset:24 glc
	s_waitcnt vmcnt(0)
	buffer_wbinvl1_vol
	v_cmp_ne_u64_e32 vcc, v[8:9], v[10:11]
	s_and_saveexec_b64 s[16:17], vcc
	s_cbranch_execz .LBB6_996
; %bb.993:
	s_mov_b64 s[18:19], 0
.LBB6_994:                              ; =>This Inner Loop Header: Depth=1
	s_sleep 1
	global_load_dwordx2 v[1:2], v0, s[44:45] offset:40
	global_load_dwordx2 v[6:7], v0, s[44:45]
	v_mov_b32_e32 v11, v9
	v_mov_b32_e32 v10, v8
	s_waitcnt vmcnt(1)
	v_and_b32_e32 v1, v1, v10
	s_waitcnt vmcnt(0)
	v_mad_u64_u32 v[6:7], s[20:21], v1, 24, v[6:7]
	v_and_b32_e32 v2, v2, v11
	v_mov_b32_e32 v1, v7
	v_mad_u64_u32 v[1:2], s[20:21], v2, 24, v[1:2]
	v_mov_b32_e32 v7, v1
	global_load_dwordx2 v[8:9], v[6:7], off glc
	s_waitcnt vmcnt(0)
	global_atomic_cmpswap_x2 v[8:9], v0, v[8:11], s[44:45] offset:24 glc
	s_waitcnt vmcnt(0)
	buffer_wbinvl1_vol
	v_cmp_eq_u64_e32 vcc, v[8:9], v[10:11]
	s_or_b64 s[18:19], vcc, s[18:19]
	s_andn2_b64 exec, exec, s[18:19]
	s_cbranch_execnz .LBB6_994
; %bb.995:
	s_or_b64 exec, exec, s[18:19]
.LBB6_996:
	s_or_b64 exec, exec, s[16:17]
.LBB6_997:
	s_or_b64 exec, exec, s[10:11]
	v_mov_b32_e32 v7, 0
	global_load_dwordx2 v[10:11], v7, s[44:45] offset:40
	global_load_dwordx4 v[0:3], v7, s[44:45]
	v_readfirstlane_b32 s10, v8
	v_readfirstlane_b32 s11, v9
	s_mov_b64 s[16:17], exec
	s_waitcnt vmcnt(1)
	v_readfirstlane_b32 s18, v10
	v_readfirstlane_b32 s19, v11
	s_and_b64 s[18:19], s[10:11], s[18:19]
	s_mul_i32 s15, s19, 24
	s_mul_hi_u32 s20, s18, 24
	s_mul_i32 s21, s18, 24
	s_add_i32 s15, s20, s15
	v_mov_b32_e32 v6, s15
	s_waitcnt vmcnt(0)
	v_add_co_u32_e32 v10, vcc, s21, v0
	v_addc_co_u32_e32 v11, vcc, v1, v6, vcc
	s_and_saveexec_b64 s[20:21], s[4:5]
	s_cbranch_execz .LBB6_999
; %bb.998:
	v_mov_b32_e32 v12, s16
	v_mov_b32_e32 v13, s17
	;; [unrolled: 1-line block ×4, first 2 shown]
	global_store_dwordx4 v[10:11], v[12:15], off offset:8
.LBB6_999:
	s_or_b64 exec, exec, s[20:21]
	s_lshl_b64 s[16:17], s[18:19], 12
	v_mov_b32_e32 v6, s17
	v_add_co_u32_e32 v2, vcc, s16, v2
	v_addc_co_u32_e32 v3, vcc, v3, v6, vcc
	s_mov_b32 s16, 0
	v_mov_b32_e32 v6, 33
	v_mov_b32_e32 v8, v7
	;; [unrolled: 1-line block ×3, first 2 shown]
	v_readfirstlane_b32 s20, v2
	v_readfirstlane_b32 s21, v3
	v_add_co_u32_e32 v12, vcc, v2, v50
	s_mov_b32 s17, s16
	s_mov_b32 s18, s16
	;; [unrolled: 1-line block ×3, first 2 shown]
	s_nop 0
	global_store_dwordx4 v50, v[6:9], s[20:21]
	v_addc_co_u32_e32 v13, vcc, 0, v3, vcc
	v_mov_b32_e32 v6, s16
	v_mov_b32_e32 v7, s17
	;; [unrolled: 1-line block ×4, first 2 shown]
	global_store_dwordx4 v50, v[6:9], s[20:21] offset:16
	global_store_dwordx4 v50, v[6:9], s[20:21] offset:32
	;; [unrolled: 1-line block ×3, first 2 shown]
	s_and_saveexec_b64 s[16:17], s[4:5]
	s_cbranch_execz .LBB6_1007
; %bb.1000:
	v_mov_b32_e32 v8, 0
	global_load_dwordx2 v[16:17], v8, s[44:45] offset:32 glc
	global_load_dwordx2 v[2:3], v8, s[44:45] offset:40
	v_mov_b32_e32 v14, s10
	v_mov_b32_e32 v15, s11
	s_waitcnt vmcnt(0)
	v_readfirstlane_b32 s18, v2
	v_readfirstlane_b32 s19, v3
	s_and_b64 s[18:19], s[18:19], s[10:11]
	s_mul_i32 s15, s19, 24
	s_mul_hi_u32 s19, s18, 24
	s_mul_i32 s18, s18, 24
	s_add_i32 s15, s19, s15
	v_mov_b32_e32 v2, s15
	v_add_co_u32_e32 v6, vcc, s18, v0
	v_addc_co_u32_e32 v7, vcc, v1, v2, vcc
	global_store_dwordx2 v[6:7], v[16:17], off
	s_waitcnt vmcnt(0)
	global_atomic_cmpswap_x2 v[2:3], v8, v[14:17], s[44:45] offset:32 glc
	s_waitcnt vmcnt(0)
	v_cmp_ne_u64_e32 vcc, v[2:3], v[16:17]
	s_and_saveexec_b64 s[18:19], vcc
	s_cbranch_execz .LBB6_1003
; %bb.1001:
	s_mov_b64 s[20:21], 0
.LBB6_1002:                             ; =>This Inner Loop Header: Depth=1
	s_sleep 1
	global_store_dwordx2 v[6:7], v[2:3], off
	v_mov_b32_e32 v0, s10
	v_mov_b32_e32 v1, s11
	s_waitcnt vmcnt(0)
	global_atomic_cmpswap_x2 v[0:1], v8, v[0:3], s[44:45] offset:32 glc
	s_waitcnt vmcnt(0)
	v_cmp_eq_u64_e32 vcc, v[0:1], v[2:3]
	v_mov_b32_e32 v3, v1
	s_or_b64 s[20:21], vcc, s[20:21]
	v_mov_b32_e32 v2, v0
	s_andn2_b64 exec, exec, s[20:21]
	s_cbranch_execnz .LBB6_1002
.LBB6_1003:
	s_or_b64 exec, exec, s[18:19]
	v_mov_b32_e32 v3, 0
	global_load_dwordx2 v[0:1], v3, s[44:45] offset:16
	s_mov_b64 s[18:19], exec
	v_mbcnt_lo_u32_b32 v2, s18, 0
	v_mbcnt_hi_u32_b32 v2, s19, v2
	v_cmp_eq_u32_e32 vcc, 0, v2
	s_and_saveexec_b64 s[20:21], vcc
	s_cbranch_execz .LBB6_1005
; %bb.1004:
	s_bcnt1_i32_b64 s15, s[18:19]
	v_mov_b32_e32 v2, s15
	s_waitcnt vmcnt(0)
	global_atomic_add_x2 v[0:1], v[2:3], off offset:8
.LBB6_1005:
	s_or_b64 exec, exec, s[20:21]
	s_waitcnt vmcnt(0)
	global_load_dwordx2 v[2:3], v[0:1], off offset:16
	s_waitcnt vmcnt(0)
	v_cmp_eq_u64_e32 vcc, 0, v[2:3]
	s_cbranch_vccnz .LBB6_1007
; %bb.1006:
	global_load_dword v0, v[0:1], off offset:24
	v_mov_b32_e32 v1, 0
	s_waitcnt vmcnt(0)
	global_store_dwordx2 v[2:3], v[0:1], off
	v_and_b32_e32 v0, 0xffffff, v0
	v_readfirstlane_b32 m0, v0
	s_sendmsg sendmsg(MSG_INTERRUPT)
.LBB6_1007:
	s_or_b64 exec, exec, s[16:17]
	s_branch .LBB6_1011
.LBB6_1008:                             ;   in Loop: Header=BB6_1011 Depth=1
	s_or_b64 exec, exec, s[16:17]
	v_readfirstlane_b32 s15, v0
	s_cmp_eq_u32 s15, 0
	s_cbranch_scc1 .LBB6_1010
; %bb.1009:                             ;   in Loop: Header=BB6_1011 Depth=1
	s_sleep 1
	s_cbranch_execnz .LBB6_1011
	s_branch .LBB6_1013
.LBB6_1010:
	s_branch .LBB6_1013
.LBB6_1011:                             ; =>This Inner Loop Header: Depth=1
	v_mov_b32_e32 v0, 1
	s_and_saveexec_b64 s[16:17], s[4:5]
	s_cbranch_execz .LBB6_1008
; %bb.1012:                             ;   in Loop: Header=BB6_1011 Depth=1
	global_load_dword v0, v[10:11], off offset:20 glc
	s_waitcnt vmcnt(0)
	buffer_wbinvl1_vol
	v_and_b32_e32 v0, 1, v0
	s_branch .LBB6_1008
.LBB6_1013:
	global_load_dwordx2 v[0:1], v[12:13], off
	s_and_saveexec_b64 s[16:17], s[4:5]
	s_cbranch_execz .LBB6_1016
; %bb.1014:
	v_mov_b32_e32 v10, 0
	global_load_dwordx2 v[2:3], v10, s[44:45] offset:40
	global_load_dwordx2 v[11:12], v10, s[44:45] offset:24 glc
	global_load_dwordx2 v[13:14], v10, s[44:45]
	v_mov_b32_e32 v7, s11
	s_mov_b64 s[4:5], 0
	s_waitcnt vmcnt(2)
	v_add_co_u32_e32 v8, vcc, 1, v2
	v_addc_co_u32_e32 v9, vcc, 0, v3, vcc
	v_add_co_u32_e32 v6, vcc, s10, v8
	v_addc_co_u32_e32 v7, vcc, v9, v7, vcc
	v_cmp_eq_u64_e32 vcc, 0, v[6:7]
	v_cndmask_b32_e32 v7, v7, v9, vcc
	v_cndmask_b32_e32 v6, v6, v8, vcc
	v_and_b32_e32 v3, v7, v3
	v_and_b32_e32 v2, v6, v2
	v_mul_lo_u32 v3, v3, 24
	v_mul_hi_u32 v9, v2, 24
	v_mul_lo_u32 v2, v2, 24
	s_waitcnt vmcnt(1)
	v_mov_b32_e32 v8, v11
	v_add_u32_e32 v3, v9, v3
	s_waitcnt vmcnt(0)
	v_add_co_u32_e32 v2, vcc, v13, v2
	v_addc_co_u32_e32 v3, vcc, v14, v3, vcc
	global_store_dwordx2 v[2:3], v[11:12], off
	v_mov_b32_e32 v9, v12
	s_waitcnt vmcnt(0)
	global_atomic_cmpswap_x2 v[8:9], v10, v[6:9], s[44:45] offset:24 glc
	s_waitcnt vmcnt(0)
	v_cmp_ne_u64_e32 vcc, v[8:9], v[11:12]
	s_and_b64 exec, exec, vcc
	s_cbranch_execz .LBB6_1016
.LBB6_1015:                             ; =>This Inner Loop Header: Depth=1
	s_sleep 1
	global_store_dwordx2 v[2:3], v[8:9], off
	s_waitcnt vmcnt(0)
	global_atomic_cmpswap_x2 v[11:12], v10, v[6:9], s[44:45] offset:24 glc
	s_waitcnt vmcnt(0)
	v_cmp_eq_u64_e32 vcc, v[11:12], v[8:9]
	v_mov_b32_e32 v8, v11
	s_or_b64 s[4:5], vcc, s[4:5]
	v_mov_b32_e32 v9, v12
	s_andn2_b64 exec, exec, s[4:5]
	s_cbranch_execnz .LBB6_1015
.LBB6_1016:
	s_or_b64 exec, exec, s[16:17]
	s_and_b64 vcc, exec, s[46:47]
	s_cbranch_vccz .LBB6_1101
; %bb.1017:
	s_waitcnt vmcnt(0)
	v_and_b32_e32 v34, 2, v0
	v_mov_b32_e32 v3, 0
	v_and_b32_e32 v6, -3, v0
	v_mov_b32_e32 v7, v1
	s_mov_b64 s[16:17], 3
	v_mov_b32_e32 v10, 2
	v_mov_b32_e32 v11, 1
	s_getpc_b64 s[10:11]
	s_add_u32 s10, s10, .str.8@rel32@lo+4
	s_addc_u32 s11, s11, .str.8@rel32@hi+12
	s_branch .LBB6_1019
.LBB6_1018:                             ;   in Loop: Header=BB6_1019 Depth=1
	s_or_b64 exec, exec, s[22:23]
	s_sub_u32 s16, s16, s18
	s_subb_u32 s17, s17, s19
	s_add_u32 s10, s10, s18
	s_addc_u32 s11, s11, s19
	s_cmp_lg_u64 s[16:17], 0
	s_cbranch_scc0 .LBB6_1100
.LBB6_1019:                             ; =>This Loop Header: Depth=1
                                        ;     Child Loop BB6_1022 Depth 2
                                        ;     Child Loop BB6_1029 Depth 2
                                        ;     Child Loop BB6_1037 Depth 2
                                        ;     Child Loop BB6_1045 Depth 2
                                        ;     Child Loop BB6_1053 Depth 2
                                        ;     Child Loop BB6_1061 Depth 2
                                        ;     Child Loop BB6_1069 Depth 2
                                        ;     Child Loop BB6_1077 Depth 2
                                        ;     Child Loop BB6_1085 Depth 2
                                        ;     Child Loop BB6_1094 Depth 2
                                        ;     Child Loop BB6_1099 Depth 2
	v_cmp_lt_u64_e64 s[4:5], s[16:17], 56
	v_cmp_gt_u64_e64 s[20:21], s[16:17], 7
	s_and_b64 s[4:5], s[4:5], exec
	s_cselect_b32 s19, s17, 0
	s_cselect_b32 s18, s16, 56
	s_and_b64 vcc, exec, s[20:21]
	s_cbranch_vccnz .LBB6_1024
; %bb.1020:                             ;   in Loop: Header=BB6_1019 Depth=1
	v_mov_b32_e32 v14, 0
	s_cmp_eq_u64 s[16:17], 0
	v_mov_b32_e32 v15, 0
	s_mov_b64 s[4:5], 0
	s_cbranch_scc1 .LBB6_1023
; %bb.1021:                             ;   in Loop: Header=BB6_1019 Depth=1
	v_mov_b32_e32 v14, 0
	s_lshl_b64 s[20:21], s[18:19], 3
	s_mov_b64 s[22:23], 0
	v_mov_b32_e32 v15, 0
	s_mov_b64 s[24:25], s[10:11]
.LBB6_1022:                             ;   Parent Loop BB6_1019 Depth=1
                                        ; =>  This Inner Loop Header: Depth=2
	global_load_ubyte v2, v3, s[24:25]
	s_waitcnt vmcnt(0)
	v_and_b32_e32 v2, 0xffff, v2
	v_lshlrev_b64 v[8:9], s22, v[2:3]
	s_add_u32 s22, s22, 8
	s_addc_u32 s23, s23, 0
	s_add_u32 s24, s24, 1
	s_addc_u32 s25, s25, 0
	v_or_b32_e32 v14, v8, v14
	s_cmp_lg_u32 s20, s22
	v_or_b32_e32 v15, v9, v15
	s_cbranch_scc1 .LBB6_1022
.LBB6_1023:                             ;   in Loop: Header=BB6_1019 Depth=1
	s_mov_b32 s15, 0
	s_andn2_b64 vcc, exec, s[4:5]
	s_mov_b64 s[4:5], s[10:11]
	s_cbranch_vccz .LBB6_1025
	s_branch .LBB6_1026
.LBB6_1024:                             ;   in Loop: Header=BB6_1019 Depth=1
                                        ; implicit-def: $vgpr14_vgpr15
                                        ; implicit-def: $sgpr15
	s_mov_b64 s[4:5], s[10:11]
.LBB6_1025:                             ;   in Loop: Header=BB6_1019 Depth=1
	global_load_dwordx2 v[14:15], v3, s[10:11]
	s_add_i32 s15, s18, -8
	s_add_u32 s4, s10, 8
	s_addc_u32 s5, s11, 0
.LBB6_1026:                             ;   in Loop: Header=BB6_1019 Depth=1
	s_cmp_gt_u32 s15, 7
	s_cbranch_scc1 .LBB6_1030
; %bb.1027:                             ;   in Loop: Header=BB6_1019 Depth=1
	s_cmp_eq_u32 s15, 0
	s_cbranch_scc1 .LBB6_1031
; %bb.1028:                             ;   in Loop: Header=BB6_1019 Depth=1
	v_mov_b32_e32 v16, 0
	s_mov_b64 s[20:21], 0
	v_mov_b32_e32 v17, 0
	s_mov_b64 s[22:23], 0
.LBB6_1029:                             ;   Parent Loop BB6_1019 Depth=1
                                        ; =>  This Inner Loop Header: Depth=2
	s_add_u32 s24, s4, s22
	s_addc_u32 s25, s5, s23
	global_load_ubyte v2, v3, s[24:25]
	s_add_u32 s22, s22, 1
	s_addc_u32 s23, s23, 0
	s_waitcnt vmcnt(0)
	v_and_b32_e32 v2, 0xffff, v2
	v_lshlrev_b64 v[8:9], s20, v[2:3]
	s_add_u32 s20, s20, 8
	s_addc_u32 s21, s21, 0
	v_or_b32_e32 v16, v8, v16
	s_cmp_lg_u32 s15, s22
	v_or_b32_e32 v17, v9, v17
	s_cbranch_scc1 .LBB6_1029
	s_branch .LBB6_1032
.LBB6_1030:                             ;   in Loop: Header=BB6_1019 Depth=1
                                        ; implicit-def: $vgpr16_vgpr17
                                        ; implicit-def: $sgpr24
	s_branch .LBB6_1033
.LBB6_1031:                             ;   in Loop: Header=BB6_1019 Depth=1
	v_mov_b32_e32 v16, 0
	v_mov_b32_e32 v17, 0
.LBB6_1032:                             ;   in Loop: Header=BB6_1019 Depth=1
	s_mov_b32 s24, 0
	s_cbranch_execnz .LBB6_1034
.LBB6_1033:                             ;   in Loop: Header=BB6_1019 Depth=1
	global_load_dwordx2 v[16:17], v3, s[4:5]
	s_add_i32 s24, s15, -8
	s_add_u32 s4, s4, 8
	s_addc_u32 s5, s5, 0
.LBB6_1034:                             ;   in Loop: Header=BB6_1019 Depth=1
	s_cmp_gt_u32 s24, 7
	s_cbranch_scc1 .LBB6_1038
; %bb.1035:                             ;   in Loop: Header=BB6_1019 Depth=1
	s_cmp_eq_u32 s24, 0
	s_cbranch_scc1 .LBB6_1039
; %bb.1036:                             ;   in Loop: Header=BB6_1019 Depth=1
	v_mov_b32_e32 v18, 0
	s_mov_b64 s[20:21], 0
	v_mov_b32_e32 v19, 0
	s_mov_b64 s[22:23], 0
.LBB6_1037:                             ;   Parent Loop BB6_1019 Depth=1
                                        ; =>  This Inner Loop Header: Depth=2
	s_add_u32 s26, s4, s22
	s_addc_u32 s27, s5, s23
	global_load_ubyte v2, v3, s[26:27]
	s_add_u32 s22, s22, 1
	s_addc_u32 s23, s23, 0
	s_waitcnt vmcnt(0)
	v_and_b32_e32 v2, 0xffff, v2
	v_lshlrev_b64 v[8:9], s20, v[2:3]
	s_add_u32 s20, s20, 8
	s_addc_u32 s21, s21, 0
	v_or_b32_e32 v18, v8, v18
	s_cmp_lg_u32 s24, s22
	v_or_b32_e32 v19, v9, v19
	s_cbranch_scc1 .LBB6_1037
	s_branch .LBB6_1040
.LBB6_1038:                             ;   in Loop: Header=BB6_1019 Depth=1
                                        ; implicit-def: $sgpr15
	s_branch .LBB6_1041
.LBB6_1039:                             ;   in Loop: Header=BB6_1019 Depth=1
	v_mov_b32_e32 v18, 0
	v_mov_b32_e32 v19, 0
.LBB6_1040:                             ;   in Loop: Header=BB6_1019 Depth=1
	s_mov_b32 s15, 0
	s_cbranch_execnz .LBB6_1042
.LBB6_1041:                             ;   in Loop: Header=BB6_1019 Depth=1
	global_load_dwordx2 v[18:19], v3, s[4:5]
	s_add_i32 s15, s24, -8
	s_add_u32 s4, s4, 8
	s_addc_u32 s5, s5, 0
.LBB6_1042:                             ;   in Loop: Header=BB6_1019 Depth=1
	s_cmp_gt_u32 s15, 7
	s_cbranch_scc1 .LBB6_1046
; %bb.1043:                             ;   in Loop: Header=BB6_1019 Depth=1
	s_cmp_eq_u32 s15, 0
	s_cbranch_scc1 .LBB6_1047
; %bb.1044:                             ;   in Loop: Header=BB6_1019 Depth=1
	v_mov_b32_e32 v20, 0
	s_mov_b64 s[20:21], 0
	v_mov_b32_e32 v21, 0
	s_mov_b64 s[22:23], 0
.LBB6_1045:                             ;   Parent Loop BB6_1019 Depth=1
                                        ; =>  This Inner Loop Header: Depth=2
	s_add_u32 s24, s4, s22
	s_addc_u32 s25, s5, s23
	global_load_ubyte v2, v3, s[24:25]
	s_add_u32 s22, s22, 1
	s_addc_u32 s23, s23, 0
	s_waitcnt vmcnt(0)
	v_and_b32_e32 v2, 0xffff, v2
	v_lshlrev_b64 v[8:9], s20, v[2:3]
	s_add_u32 s20, s20, 8
	s_addc_u32 s21, s21, 0
	v_or_b32_e32 v20, v8, v20
	s_cmp_lg_u32 s15, s22
	v_or_b32_e32 v21, v9, v21
	s_cbranch_scc1 .LBB6_1045
	s_branch .LBB6_1048
.LBB6_1046:                             ;   in Loop: Header=BB6_1019 Depth=1
                                        ; implicit-def: $vgpr20_vgpr21
                                        ; implicit-def: $sgpr24
	s_branch .LBB6_1049
.LBB6_1047:                             ;   in Loop: Header=BB6_1019 Depth=1
	v_mov_b32_e32 v20, 0
	v_mov_b32_e32 v21, 0
.LBB6_1048:                             ;   in Loop: Header=BB6_1019 Depth=1
	s_mov_b32 s24, 0
	s_cbranch_execnz .LBB6_1050
.LBB6_1049:                             ;   in Loop: Header=BB6_1019 Depth=1
	global_load_dwordx2 v[20:21], v3, s[4:5]
	s_add_i32 s24, s15, -8
	s_add_u32 s4, s4, 8
	s_addc_u32 s5, s5, 0
.LBB6_1050:                             ;   in Loop: Header=BB6_1019 Depth=1
	s_cmp_gt_u32 s24, 7
	s_cbranch_scc1 .LBB6_1054
; %bb.1051:                             ;   in Loop: Header=BB6_1019 Depth=1
	s_cmp_eq_u32 s24, 0
	s_cbranch_scc1 .LBB6_1055
; %bb.1052:                             ;   in Loop: Header=BB6_1019 Depth=1
	v_mov_b32_e32 v22, 0
	s_mov_b64 s[20:21], 0
	v_mov_b32_e32 v23, 0
	s_mov_b64 s[22:23], 0
.LBB6_1053:                             ;   Parent Loop BB6_1019 Depth=1
                                        ; =>  This Inner Loop Header: Depth=2
	s_add_u32 s26, s4, s22
	s_addc_u32 s27, s5, s23
	global_load_ubyte v2, v3, s[26:27]
	s_add_u32 s22, s22, 1
	s_addc_u32 s23, s23, 0
	s_waitcnt vmcnt(0)
	v_and_b32_e32 v2, 0xffff, v2
	v_lshlrev_b64 v[8:9], s20, v[2:3]
	s_add_u32 s20, s20, 8
	s_addc_u32 s21, s21, 0
	v_or_b32_e32 v22, v8, v22
	s_cmp_lg_u32 s24, s22
	v_or_b32_e32 v23, v9, v23
	s_cbranch_scc1 .LBB6_1053
	s_branch .LBB6_1056
.LBB6_1054:                             ;   in Loop: Header=BB6_1019 Depth=1
                                        ; implicit-def: $sgpr15
	s_branch .LBB6_1057
.LBB6_1055:                             ;   in Loop: Header=BB6_1019 Depth=1
	v_mov_b32_e32 v22, 0
	v_mov_b32_e32 v23, 0
.LBB6_1056:                             ;   in Loop: Header=BB6_1019 Depth=1
	s_mov_b32 s15, 0
	s_cbranch_execnz .LBB6_1058
.LBB6_1057:                             ;   in Loop: Header=BB6_1019 Depth=1
	global_load_dwordx2 v[22:23], v3, s[4:5]
	s_add_i32 s15, s24, -8
	s_add_u32 s4, s4, 8
	s_addc_u32 s5, s5, 0
.LBB6_1058:                             ;   in Loop: Header=BB6_1019 Depth=1
	s_cmp_gt_u32 s15, 7
	s_cbranch_scc1 .LBB6_1062
; %bb.1059:                             ;   in Loop: Header=BB6_1019 Depth=1
	s_cmp_eq_u32 s15, 0
	s_cbranch_scc1 .LBB6_1063
; %bb.1060:                             ;   in Loop: Header=BB6_1019 Depth=1
	v_mov_b32_e32 v24, 0
	s_mov_b64 s[20:21], 0
	v_mov_b32_e32 v25, 0
	s_mov_b64 s[22:23], 0
.LBB6_1061:                             ;   Parent Loop BB6_1019 Depth=1
                                        ; =>  This Inner Loop Header: Depth=2
	s_add_u32 s24, s4, s22
	s_addc_u32 s25, s5, s23
	global_load_ubyte v2, v3, s[24:25]
	s_add_u32 s22, s22, 1
	s_addc_u32 s23, s23, 0
	s_waitcnt vmcnt(0)
	v_and_b32_e32 v2, 0xffff, v2
	v_lshlrev_b64 v[8:9], s20, v[2:3]
	s_add_u32 s20, s20, 8
	s_addc_u32 s21, s21, 0
	v_or_b32_e32 v24, v8, v24
	s_cmp_lg_u32 s15, s22
	v_or_b32_e32 v25, v9, v25
	s_cbranch_scc1 .LBB6_1061
	s_branch .LBB6_1064
.LBB6_1062:                             ;   in Loop: Header=BB6_1019 Depth=1
                                        ; implicit-def: $vgpr24_vgpr25
                                        ; implicit-def: $sgpr24
	s_branch .LBB6_1065
.LBB6_1063:                             ;   in Loop: Header=BB6_1019 Depth=1
	v_mov_b32_e32 v24, 0
	v_mov_b32_e32 v25, 0
.LBB6_1064:                             ;   in Loop: Header=BB6_1019 Depth=1
	s_mov_b32 s24, 0
	s_cbranch_execnz .LBB6_1066
.LBB6_1065:                             ;   in Loop: Header=BB6_1019 Depth=1
	global_load_dwordx2 v[24:25], v3, s[4:5]
	s_add_i32 s24, s15, -8
	s_add_u32 s4, s4, 8
	s_addc_u32 s5, s5, 0
.LBB6_1066:                             ;   in Loop: Header=BB6_1019 Depth=1
	s_cmp_gt_u32 s24, 7
	s_cbranch_scc1 .LBB6_1070
; %bb.1067:                             ;   in Loop: Header=BB6_1019 Depth=1
	s_cmp_eq_u32 s24, 0
	s_cbranch_scc1 .LBB6_1071
; %bb.1068:                             ;   in Loop: Header=BB6_1019 Depth=1
	v_mov_b32_e32 v26, 0
	s_mov_b64 s[20:21], 0
	v_mov_b32_e32 v27, 0
	s_mov_b64 s[22:23], s[4:5]
.LBB6_1069:                             ;   Parent Loop BB6_1019 Depth=1
                                        ; =>  This Inner Loop Header: Depth=2
	global_load_ubyte v2, v3, s[22:23]
	s_add_i32 s24, s24, -1
	s_waitcnt vmcnt(0)
	v_and_b32_e32 v2, 0xffff, v2
	v_lshlrev_b64 v[8:9], s20, v[2:3]
	s_add_u32 s20, s20, 8
	s_addc_u32 s21, s21, 0
	s_add_u32 s22, s22, 1
	s_addc_u32 s23, s23, 0
	v_or_b32_e32 v26, v8, v26
	s_cmp_lg_u32 s24, 0
	v_or_b32_e32 v27, v9, v27
	s_cbranch_scc1 .LBB6_1069
	s_branch .LBB6_1072
.LBB6_1070:                             ;   in Loop: Header=BB6_1019 Depth=1
	s_branch .LBB6_1073
.LBB6_1071:                             ;   in Loop: Header=BB6_1019 Depth=1
	v_mov_b32_e32 v26, 0
	v_mov_b32_e32 v27, 0
.LBB6_1072:                             ;   in Loop: Header=BB6_1019 Depth=1
	s_cbranch_execnz .LBB6_1074
.LBB6_1073:                             ;   in Loop: Header=BB6_1019 Depth=1
	global_load_dwordx2 v[26:27], v3, s[4:5]
.LBB6_1074:                             ;   in Loop: Header=BB6_1019 Depth=1
	v_readfirstlane_b32 s4, v51
	s_waitcnt vmcnt(0)
	v_mov_b32_e32 v8, 0
	v_mov_b32_e32 v9, 0
	v_cmp_eq_u32_e64 s[4:5], s4, v51
	s_and_saveexec_b64 s[20:21], s[4:5]
	s_cbranch_execz .LBB6_1080
; %bb.1075:                             ;   in Loop: Header=BB6_1019 Depth=1
	global_load_dwordx2 v[30:31], v3, s[44:45] offset:24 glc
	s_waitcnt vmcnt(0)
	buffer_wbinvl1_vol
	global_load_dwordx2 v[8:9], v3, s[44:45] offset:40
	global_load_dwordx2 v[12:13], v3, s[44:45]
	s_waitcnt vmcnt(1)
	v_and_b32_e32 v2, v8, v30
	v_and_b32_e32 v8, v9, v31
	v_mul_lo_u32 v8, v8, 24
	v_mul_hi_u32 v9, v2, 24
	v_mul_lo_u32 v2, v2, 24
	v_add_u32_e32 v9, v9, v8
	s_waitcnt vmcnt(0)
	v_add_co_u32_e32 v8, vcc, v12, v2
	v_addc_co_u32_e32 v9, vcc, v13, v9, vcc
	global_load_dwordx2 v[28:29], v[8:9], off glc
	s_waitcnt vmcnt(0)
	global_atomic_cmpswap_x2 v[8:9], v3, v[28:31], s[44:45] offset:24 glc
	s_waitcnt vmcnt(0)
	buffer_wbinvl1_vol
	v_cmp_ne_u64_e32 vcc, v[8:9], v[30:31]
	s_and_saveexec_b64 s[22:23], vcc
	s_cbranch_execz .LBB6_1079
; %bb.1076:                             ;   in Loop: Header=BB6_1019 Depth=1
	s_mov_b64 s[24:25], 0
.LBB6_1077:                             ;   Parent Loop BB6_1019 Depth=1
                                        ; =>  This Inner Loop Header: Depth=2
	s_sleep 1
	global_load_dwordx2 v[12:13], v3, s[44:45] offset:40
	global_load_dwordx2 v[28:29], v3, s[44:45]
	v_mov_b32_e32 v31, v9
	v_mov_b32_e32 v30, v8
	s_waitcnt vmcnt(1)
	v_and_b32_e32 v2, v12, v30
	s_waitcnt vmcnt(0)
	v_mad_u64_u32 v[8:9], s[26:27], v2, 24, v[28:29]
	v_and_b32_e32 v12, v13, v31
	v_mov_b32_e32 v2, v9
	v_mad_u64_u32 v[12:13], s[26:27], v12, 24, v[2:3]
	v_mov_b32_e32 v9, v12
	global_load_dwordx2 v[28:29], v[8:9], off glc
	s_waitcnt vmcnt(0)
	global_atomic_cmpswap_x2 v[8:9], v3, v[28:31], s[44:45] offset:24 glc
	s_waitcnt vmcnt(0)
	buffer_wbinvl1_vol
	v_cmp_eq_u64_e32 vcc, v[8:9], v[30:31]
	s_or_b64 s[24:25], vcc, s[24:25]
	s_andn2_b64 exec, exec, s[24:25]
	s_cbranch_execnz .LBB6_1077
; %bb.1078:                             ;   in Loop: Header=BB6_1019 Depth=1
	s_or_b64 exec, exec, s[24:25]
.LBB6_1079:                             ;   in Loop: Header=BB6_1019 Depth=1
	s_or_b64 exec, exec, s[22:23]
.LBB6_1080:                             ;   in Loop: Header=BB6_1019 Depth=1
	s_or_b64 exec, exec, s[20:21]
	global_load_dwordx2 v[12:13], v3, s[44:45] offset:40
	global_load_dwordx4 v[28:31], v3, s[44:45]
	v_readfirstlane_b32 s20, v8
	v_readfirstlane_b32 s21, v9
	s_mov_b64 s[22:23], exec
	s_waitcnt vmcnt(1)
	v_readfirstlane_b32 s24, v12
	v_readfirstlane_b32 s25, v13
	s_and_b64 s[24:25], s[20:21], s[24:25]
	s_mul_i32 s15, s25, 24
	s_mul_hi_u32 s26, s24, 24
	s_mul_i32 s27, s24, 24
	s_add_i32 s15, s26, s15
	v_mov_b32_e32 v2, s15
	s_waitcnt vmcnt(0)
	v_add_co_u32_e32 v32, vcc, s27, v28
	v_addc_co_u32_e32 v33, vcc, v29, v2, vcc
	s_and_saveexec_b64 s[26:27], s[4:5]
	s_cbranch_execz .LBB6_1082
; %bb.1081:                             ;   in Loop: Header=BB6_1019 Depth=1
	v_mov_b32_e32 v8, s22
	v_mov_b32_e32 v9, s23
	global_store_dwordx4 v[32:33], v[8:11], off offset:8
.LBB6_1082:                             ;   in Loop: Header=BB6_1019 Depth=1
	s_or_b64 exec, exec, s[26:27]
	s_lshl_b64 s[22:23], s[24:25], 12
	v_mov_b32_e32 v2, s23
	v_add_co_u32_e32 v30, vcc, s22, v30
	v_addc_co_u32_e32 v31, vcc, v31, v2, vcc
	v_cmp_gt_u64_e64 vcc, s[16:17], 56
	v_or_b32_e32 v2, 0, v7
	v_or_b32_e32 v8, v6, v34
	s_lshl_b32 s15, s18, 2
	v_cndmask_b32_e32 v13, v2, v7, vcc
	v_cndmask_b32_e32 v2, v8, v6, vcc
	s_add_i32 s15, s15, 28
	s_and_b32 s15, s15, 0x1e0
	v_and_b32_e32 v2, 0xffffff1f, v2
	v_or_b32_e32 v12, s15, v2
	v_readfirstlane_b32 s22, v30
	v_readfirstlane_b32 s23, v31
	s_nop 4
	global_store_dwordx4 v50, v[12:15], s[22:23]
	global_store_dwordx4 v50, v[16:19], s[22:23] offset:16
	global_store_dwordx4 v50, v[20:23], s[22:23] offset:32
	;; [unrolled: 1-line block ×3, first 2 shown]
	s_and_saveexec_b64 s[22:23], s[4:5]
	s_cbranch_execz .LBB6_1090
; %bb.1083:                             ;   in Loop: Header=BB6_1019 Depth=1
	global_load_dwordx2 v[16:17], v3, s[44:45] offset:32 glc
	global_load_dwordx2 v[6:7], v3, s[44:45] offset:40
	v_mov_b32_e32 v14, s20
	v_mov_b32_e32 v15, s21
	s_waitcnt vmcnt(0)
	v_readfirstlane_b32 s24, v6
	v_readfirstlane_b32 s25, v7
	s_and_b64 s[24:25], s[24:25], s[20:21]
	s_mul_i32 s15, s25, 24
	s_mul_hi_u32 s25, s24, 24
	s_mul_i32 s24, s24, 24
	s_add_i32 s15, s25, s15
	v_mov_b32_e32 v2, s15
	v_add_co_u32_e32 v12, vcc, s24, v28
	v_addc_co_u32_e32 v13, vcc, v29, v2, vcc
	global_store_dwordx2 v[12:13], v[16:17], off
	s_waitcnt vmcnt(0)
	global_atomic_cmpswap_x2 v[8:9], v3, v[14:17], s[44:45] offset:32 glc
	s_waitcnt vmcnt(0)
	v_cmp_ne_u64_e32 vcc, v[8:9], v[16:17]
	s_and_saveexec_b64 s[24:25], vcc
	s_cbranch_execz .LBB6_1086
; %bb.1084:                             ;   in Loop: Header=BB6_1019 Depth=1
	s_mov_b64 s[26:27], 0
.LBB6_1085:                             ;   Parent Loop BB6_1019 Depth=1
                                        ; =>  This Inner Loop Header: Depth=2
	s_sleep 1
	global_store_dwordx2 v[12:13], v[8:9], off
	v_mov_b32_e32 v6, s20
	v_mov_b32_e32 v7, s21
	s_waitcnt vmcnt(0)
	global_atomic_cmpswap_x2 v[6:7], v3, v[6:9], s[44:45] offset:32 glc
	s_waitcnt vmcnt(0)
	v_cmp_eq_u64_e32 vcc, v[6:7], v[8:9]
	v_mov_b32_e32 v9, v7
	s_or_b64 s[26:27], vcc, s[26:27]
	v_mov_b32_e32 v8, v6
	s_andn2_b64 exec, exec, s[26:27]
	s_cbranch_execnz .LBB6_1085
.LBB6_1086:                             ;   in Loop: Header=BB6_1019 Depth=1
	s_or_b64 exec, exec, s[24:25]
	global_load_dwordx2 v[6:7], v3, s[44:45] offset:16
	s_mov_b64 s[26:27], exec
	v_mbcnt_lo_u32_b32 v2, s26, 0
	v_mbcnt_hi_u32_b32 v2, s27, v2
	v_cmp_eq_u32_e32 vcc, 0, v2
	s_and_saveexec_b64 s[24:25], vcc
	s_cbranch_execz .LBB6_1088
; %bb.1087:                             ;   in Loop: Header=BB6_1019 Depth=1
	s_bcnt1_i32_b64 s15, s[26:27]
	v_mov_b32_e32 v2, s15
	s_waitcnt vmcnt(0)
	global_atomic_add_x2 v[6:7], v[2:3], off offset:8
.LBB6_1088:                             ;   in Loop: Header=BB6_1019 Depth=1
	s_or_b64 exec, exec, s[24:25]
	s_waitcnt vmcnt(0)
	global_load_dwordx2 v[8:9], v[6:7], off offset:16
	s_waitcnt vmcnt(0)
	v_cmp_eq_u64_e32 vcc, 0, v[8:9]
	s_cbranch_vccnz .LBB6_1090
; %bb.1089:                             ;   in Loop: Header=BB6_1019 Depth=1
	global_load_dword v2, v[6:7], off offset:24
	s_waitcnt vmcnt(0)
	global_store_dwordx2 v[8:9], v[2:3], off
	v_and_b32_e32 v2, 0xffffff, v2
	v_readfirstlane_b32 m0, v2
	s_sendmsg sendmsg(MSG_INTERRUPT)
.LBB6_1090:                             ;   in Loop: Header=BB6_1019 Depth=1
	s_or_b64 exec, exec, s[22:23]
	v_add_co_u32_e32 v6, vcc, v30, v50
	v_addc_co_u32_e32 v7, vcc, 0, v31, vcc
	s_branch .LBB6_1094
.LBB6_1091:                             ;   in Loop: Header=BB6_1094 Depth=2
	s_or_b64 exec, exec, s[22:23]
	v_readfirstlane_b32 s15, v2
	s_cmp_eq_u32 s15, 0
	s_cbranch_scc1 .LBB6_1093
; %bb.1092:                             ;   in Loop: Header=BB6_1094 Depth=2
	s_sleep 1
	s_cbranch_execnz .LBB6_1094
	s_branch .LBB6_1096
.LBB6_1093:                             ;   in Loop: Header=BB6_1019 Depth=1
	s_branch .LBB6_1096
.LBB6_1094:                             ;   Parent Loop BB6_1019 Depth=1
                                        ; =>  This Inner Loop Header: Depth=2
	v_mov_b32_e32 v2, 1
	s_and_saveexec_b64 s[22:23], s[4:5]
	s_cbranch_execz .LBB6_1091
; %bb.1095:                             ;   in Loop: Header=BB6_1094 Depth=2
	global_load_dword v2, v[32:33], off offset:20 glc
	s_waitcnt vmcnt(0)
	buffer_wbinvl1_vol
	v_and_b32_e32 v2, 1, v2
	s_branch .LBB6_1091
.LBB6_1096:                             ;   in Loop: Header=BB6_1019 Depth=1
	global_load_dwordx4 v[6:9], v[6:7], off
	s_and_saveexec_b64 s[22:23], s[4:5]
	s_cbranch_execz .LBB6_1018
; %bb.1097:                             ;   in Loop: Header=BB6_1019 Depth=1
	global_load_dwordx2 v[8:9], v3, s[44:45] offset:40
	global_load_dwordx2 v[16:17], v3, s[44:45] offset:24 glc
	global_load_dwordx2 v[18:19], v3, s[44:45]
	v_mov_b32_e32 v2, s21
	s_waitcnt vmcnt(2)
	v_add_co_u32_e32 v14, vcc, 1, v8
	v_addc_co_u32_e32 v15, vcc, 0, v9, vcc
	v_add_co_u32_e32 v12, vcc, s20, v14
	v_addc_co_u32_e32 v13, vcc, v15, v2, vcc
	v_cmp_eq_u64_e32 vcc, 0, v[12:13]
	v_cndmask_b32_e32 v13, v13, v15, vcc
	v_cndmask_b32_e32 v12, v12, v14, vcc
	v_and_b32_e32 v2, v13, v9
	v_and_b32_e32 v8, v12, v8
	v_mul_lo_u32 v2, v2, 24
	v_mul_hi_u32 v9, v8, 24
	v_mul_lo_u32 v8, v8, 24
	s_waitcnt vmcnt(1)
	v_mov_b32_e32 v14, v16
	v_mov_b32_e32 v15, v17
	v_add_u32_e32 v2, v9, v2
	s_waitcnt vmcnt(0)
	v_add_co_u32_e32 v8, vcc, v18, v8
	v_addc_co_u32_e32 v9, vcc, v19, v2, vcc
	global_store_dwordx2 v[8:9], v[16:17], off
	s_waitcnt vmcnt(0)
	global_atomic_cmpswap_x2 v[14:15], v3, v[12:15], s[44:45] offset:24 glc
	s_waitcnt vmcnt(0)
	v_cmp_ne_u64_e32 vcc, v[14:15], v[16:17]
	s_and_b64 exec, exec, vcc
	s_cbranch_execz .LBB6_1018
; %bb.1098:                             ;   in Loop: Header=BB6_1019 Depth=1
	s_mov_b64 s[4:5], 0
.LBB6_1099:                             ;   Parent Loop BB6_1019 Depth=1
                                        ; =>  This Inner Loop Header: Depth=2
	s_sleep 1
	global_store_dwordx2 v[8:9], v[14:15], off
	s_waitcnt vmcnt(0)
	global_atomic_cmpswap_x2 v[16:17], v3, v[12:15], s[44:45] offset:24 glc
	s_waitcnt vmcnt(0)
	v_cmp_eq_u64_e32 vcc, v[16:17], v[14:15]
	v_mov_b32_e32 v14, v16
	s_or_b64 s[4:5], vcc, s[4:5]
	v_mov_b32_e32 v15, v17
	s_andn2_b64 exec, exec, s[4:5]
	s_cbranch_execnz .LBB6_1099
	s_branch .LBB6_1018
.LBB6_1100:
	s_branch .LBB6_1128
.LBB6_1101:
                                        ; implicit-def: $vgpr6_vgpr7
	s_cbranch_execz .LBB6_1128
; %bb.1102:
	v_readfirstlane_b32 s4, v51
	v_mov_b32_e32 v10, 0
	v_mov_b32_e32 v11, 0
	v_cmp_eq_u32_e64 s[4:5], s4, v51
	s_and_saveexec_b64 s[10:11], s[4:5]
	s_cbranch_execz .LBB6_1108
; %bb.1103:
	v_mov_b32_e32 v2, 0
	global_load_dwordx2 v[8:9], v2, s[44:45] offset:24 glc
	s_waitcnt vmcnt(0)
	buffer_wbinvl1_vol
	global_load_dwordx2 v[6:7], v2, s[44:45] offset:40
	global_load_dwordx2 v[10:11], v2, s[44:45]
	s_waitcnt vmcnt(1)
	v_and_b32_e32 v3, v6, v8
	v_and_b32_e32 v6, v7, v9
	v_mul_lo_u32 v6, v6, 24
	v_mul_hi_u32 v7, v3, 24
	v_mul_lo_u32 v3, v3, 24
	v_add_u32_e32 v7, v7, v6
	s_waitcnt vmcnt(0)
	v_add_co_u32_e32 v6, vcc, v10, v3
	v_addc_co_u32_e32 v7, vcc, v11, v7, vcc
	global_load_dwordx2 v[6:7], v[6:7], off glc
	s_waitcnt vmcnt(0)
	global_atomic_cmpswap_x2 v[10:11], v2, v[6:9], s[44:45] offset:24 glc
	s_waitcnt vmcnt(0)
	buffer_wbinvl1_vol
	v_cmp_ne_u64_e32 vcc, v[10:11], v[8:9]
	s_and_saveexec_b64 s[16:17], vcc
	s_cbranch_execz .LBB6_1107
; %bb.1104:
	s_mov_b64 s[18:19], 0
.LBB6_1105:                             ; =>This Inner Loop Header: Depth=1
	s_sleep 1
	global_load_dwordx2 v[6:7], v2, s[44:45] offset:40
	global_load_dwordx2 v[12:13], v2, s[44:45]
	v_mov_b32_e32 v8, v10
	v_mov_b32_e32 v9, v11
	s_waitcnt vmcnt(1)
	v_and_b32_e32 v3, v6, v8
	s_waitcnt vmcnt(0)
	v_mad_u64_u32 v[10:11], s[20:21], v3, 24, v[12:13]
	v_and_b32_e32 v6, v7, v9
	v_mov_b32_e32 v3, v11
	v_mad_u64_u32 v[6:7], s[20:21], v6, 24, v[3:4]
	v_mov_b32_e32 v11, v6
	global_load_dwordx2 v[6:7], v[10:11], off glc
	s_waitcnt vmcnt(0)
	global_atomic_cmpswap_x2 v[10:11], v2, v[6:9], s[44:45] offset:24 glc
	s_waitcnt vmcnt(0)
	buffer_wbinvl1_vol
	v_cmp_eq_u64_e32 vcc, v[10:11], v[8:9]
	s_or_b64 s[18:19], vcc, s[18:19]
	s_andn2_b64 exec, exec, s[18:19]
	s_cbranch_execnz .LBB6_1105
; %bb.1106:
	s_or_b64 exec, exec, s[18:19]
.LBB6_1107:
	s_or_b64 exec, exec, s[16:17]
.LBB6_1108:
	s_or_b64 exec, exec, s[10:11]
	v_mov_b32_e32 v2, 0
	global_load_dwordx2 v[12:13], v2, s[44:45] offset:40
	global_load_dwordx4 v[6:9], v2, s[44:45]
	v_readfirstlane_b32 s10, v10
	v_readfirstlane_b32 s11, v11
	s_mov_b64 s[16:17], exec
	s_waitcnt vmcnt(1)
	v_readfirstlane_b32 s18, v12
	v_readfirstlane_b32 s19, v13
	s_and_b64 s[18:19], s[10:11], s[18:19]
	s_mul_i32 s15, s19, 24
	s_mul_hi_u32 s20, s18, 24
	s_mul_i32 s21, s18, 24
	s_add_i32 s15, s20, s15
	v_mov_b32_e32 v3, s15
	s_waitcnt vmcnt(0)
	v_add_co_u32_e32 v10, vcc, s21, v6
	v_addc_co_u32_e32 v11, vcc, v7, v3, vcc
	s_and_saveexec_b64 s[20:21], s[4:5]
	s_cbranch_execz .LBB6_1110
; %bb.1109:
	v_mov_b32_e32 v12, s16
	v_mov_b32_e32 v13, s17
	;; [unrolled: 1-line block ×4, first 2 shown]
	global_store_dwordx4 v[10:11], v[12:15], off offset:8
.LBB6_1110:
	s_or_b64 exec, exec, s[20:21]
	s_lshl_b64 s[16:17], s[18:19], 12
	v_mov_b32_e32 v3, s17
	v_add_co_u32_e32 v12, vcc, s16, v8
	v_addc_co_u32_e32 v13, vcc, v9, v3, vcc
	s_movk_i32 s15, 0xff1f
	v_and_or_b32 v0, v0, s15, 32
	s_mov_b32 s16, 0
	v_mov_b32_e32 v3, v2
	v_readfirstlane_b32 s20, v12
	v_readfirstlane_b32 s21, v13
	v_add_co_u32_e32 v8, vcc, v12, v50
	s_mov_b32 s17, s16
	s_mov_b32 s18, s16
	;; [unrolled: 1-line block ×3, first 2 shown]
	s_nop 0
	global_store_dwordx4 v50, v[0:3], s[20:21]
	v_addc_co_u32_e32 v9, vcc, 0, v13, vcc
	v_mov_b32_e32 v0, s16
	v_mov_b32_e32 v1, s17
	;; [unrolled: 1-line block ×4, first 2 shown]
	global_store_dwordx4 v50, v[0:3], s[20:21] offset:16
	global_store_dwordx4 v50, v[0:3], s[20:21] offset:32
	;; [unrolled: 1-line block ×3, first 2 shown]
	s_and_saveexec_b64 s[16:17], s[4:5]
	s_cbranch_execz .LBB6_1118
; %bb.1111:
	v_mov_b32_e32 v12, 0
	global_load_dwordx2 v[15:16], v12, s[44:45] offset:32 glc
	global_load_dwordx2 v[0:1], v12, s[44:45] offset:40
	v_mov_b32_e32 v13, s10
	v_mov_b32_e32 v14, s11
	s_waitcnt vmcnt(0)
	v_readfirstlane_b32 s18, v0
	v_readfirstlane_b32 s19, v1
	s_and_b64 s[18:19], s[18:19], s[10:11]
	s_mul_i32 s15, s19, 24
	s_mul_hi_u32 s19, s18, 24
	s_mul_i32 s18, s18, 24
	s_add_i32 s15, s19, s15
	v_mov_b32_e32 v0, s15
	v_add_co_u32_e32 v6, vcc, s18, v6
	v_addc_co_u32_e32 v7, vcc, v7, v0, vcc
	global_store_dwordx2 v[6:7], v[15:16], off
	s_waitcnt vmcnt(0)
	global_atomic_cmpswap_x2 v[2:3], v12, v[13:16], s[44:45] offset:32 glc
	s_waitcnt vmcnt(0)
	v_cmp_ne_u64_e32 vcc, v[2:3], v[15:16]
	s_and_saveexec_b64 s[18:19], vcc
	s_cbranch_execz .LBB6_1114
; %bb.1112:
	s_mov_b64 s[20:21], 0
.LBB6_1113:                             ; =>This Inner Loop Header: Depth=1
	s_sleep 1
	global_store_dwordx2 v[6:7], v[2:3], off
	v_mov_b32_e32 v0, s10
	v_mov_b32_e32 v1, s11
	s_waitcnt vmcnt(0)
	global_atomic_cmpswap_x2 v[0:1], v12, v[0:3], s[44:45] offset:32 glc
	s_waitcnt vmcnt(0)
	v_cmp_eq_u64_e32 vcc, v[0:1], v[2:3]
	v_mov_b32_e32 v3, v1
	s_or_b64 s[20:21], vcc, s[20:21]
	v_mov_b32_e32 v2, v0
	s_andn2_b64 exec, exec, s[20:21]
	s_cbranch_execnz .LBB6_1113
.LBB6_1114:
	s_or_b64 exec, exec, s[18:19]
	v_mov_b32_e32 v3, 0
	global_load_dwordx2 v[0:1], v3, s[44:45] offset:16
	s_mov_b64 s[18:19], exec
	v_mbcnt_lo_u32_b32 v2, s18, 0
	v_mbcnt_hi_u32_b32 v2, s19, v2
	v_cmp_eq_u32_e32 vcc, 0, v2
	s_and_saveexec_b64 s[20:21], vcc
	s_cbranch_execz .LBB6_1116
; %bb.1115:
	s_bcnt1_i32_b64 s15, s[18:19]
	v_mov_b32_e32 v2, s15
	s_waitcnt vmcnt(0)
	global_atomic_add_x2 v[0:1], v[2:3], off offset:8
.LBB6_1116:
	s_or_b64 exec, exec, s[20:21]
	s_waitcnt vmcnt(0)
	global_load_dwordx2 v[2:3], v[0:1], off offset:16
	s_waitcnt vmcnt(0)
	v_cmp_eq_u64_e32 vcc, 0, v[2:3]
	s_cbranch_vccnz .LBB6_1118
; %bb.1117:
	global_load_dword v0, v[0:1], off offset:24
	v_mov_b32_e32 v1, 0
	s_waitcnt vmcnt(0)
	global_store_dwordx2 v[2:3], v[0:1], off
	v_and_b32_e32 v0, 0xffffff, v0
	v_readfirstlane_b32 m0, v0
	s_sendmsg sendmsg(MSG_INTERRUPT)
.LBB6_1118:
	s_or_b64 exec, exec, s[16:17]
	s_branch .LBB6_1122
.LBB6_1119:                             ;   in Loop: Header=BB6_1122 Depth=1
	s_or_b64 exec, exec, s[16:17]
	v_readfirstlane_b32 s15, v0
	s_cmp_eq_u32 s15, 0
	s_cbranch_scc1 .LBB6_1121
; %bb.1120:                             ;   in Loop: Header=BB6_1122 Depth=1
	s_sleep 1
	s_cbranch_execnz .LBB6_1122
	s_branch .LBB6_1124
.LBB6_1121:
	s_branch .LBB6_1124
.LBB6_1122:                             ; =>This Inner Loop Header: Depth=1
	v_mov_b32_e32 v0, 1
	s_and_saveexec_b64 s[16:17], s[4:5]
	s_cbranch_execz .LBB6_1119
; %bb.1123:                             ;   in Loop: Header=BB6_1122 Depth=1
	global_load_dword v0, v[10:11], off offset:20 glc
	s_waitcnt vmcnt(0)
	buffer_wbinvl1_vol
	v_and_b32_e32 v0, 1, v0
	s_branch .LBB6_1119
.LBB6_1124:
	global_load_dwordx2 v[6:7], v[8:9], off
	s_and_saveexec_b64 s[16:17], s[4:5]
	s_cbranch_execz .LBB6_1127
; %bb.1125:
	v_mov_b32_e32 v10, 0
	global_load_dwordx2 v[2:3], v10, s[44:45] offset:40
	global_load_dwordx2 v[11:12], v10, s[44:45] offset:24 glc
	global_load_dwordx2 v[8:9], v10, s[44:45]
	v_mov_b32_e32 v1, s11
	s_mov_b64 s[4:5], 0
	s_waitcnt vmcnt(2)
	v_add_co_u32_e32 v13, vcc, 1, v2
	v_addc_co_u32_e32 v14, vcc, 0, v3, vcc
	v_add_co_u32_e32 v0, vcc, s10, v13
	v_addc_co_u32_e32 v1, vcc, v14, v1, vcc
	v_cmp_eq_u64_e32 vcc, 0, v[0:1]
	v_cndmask_b32_e32 v1, v1, v14, vcc
	v_cndmask_b32_e32 v0, v0, v13, vcc
	v_and_b32_e32 v3, v1, v3
	v_and_b32_e32 v2, v0, v2
	v_mul_lo_u32 v3, v3, 24
	v_mul_hi_u32 v13, v2, 24
	v_mul_lo_u32 v14, v2, 24
	s_waitcnt vmcnt(1)
	v_mov_b32_e32 v2, v11
	v_add_u32_e32 v3, v13, v3
	s_waitcnt vmcnt(0)
	v_add_co_u32_e32 v8, vcc, v8, v14
	v_addc_co_u32_e32 v9, vcc, v9, v3, vcc
	global_store_dwordx2 v[8:9], v[11:12], off
	v_mov_b32_e32 v3, v12
	s_waitcnt vmcnt(0)
	global_atomic_cmpswap_x2 v[2:3], v10, v[0:3], s[44:45] offset:24 glc
	s_waitcnt vmcnt(0)
	v_cmp_ne_u64_e32 vcc, v[2:3], v[11:12]
	s_and_b64 exec, exec, vcc
	s_cbranch_execz .LBB6_1127
.LBB6_1126:                             ; =>This Inner Loop Header: Depth=1
	s_sleep 1
	global_store_dwordx2 v[8:9], v[2:3], off
	s_waitcnt vmcnt(0)
	global_atomic_cmpswap_x2 v[11:12], v10, v[0:3], s[44:45] offset:24 glc
	s_waitcnt vmcnt(0)
	v_cmp_eq_u64_e32 vcc, v[11:12], v[2:3]
	v_mov_b32_e32 v2, v11
	s_or_b64 s[4:5], vcc, s[4:5]
	v_mov_b32_e32 v3, v12
	s_andn2_b64 exec, exec, s[4:5]
	s_cbranch_execnz .LBB6_1126
.LBB6_1127:
	s_or_b64 exec, exec, s[16:17]
.LBB6_1128:
	v_readfirstlane_b32 s4, v51
	v_mov_b32_e32 v10, 0
	v_mov_b32_e32 v11, 0
	v_cmp_eq_u32_e64 s[4:5], s4, v51
	s_and_saveexec_b64 s[10:11], s[4:5]
	s_cbranch_execz .LBB6_1134
; %bb.1129:
	s_waitcnt vmcnt(0)
	v_mov_b32_e32 v0, 0
	global_load_dwordx2 v[12:13], v0, s[44:45] offset:24 glc
	s_waitcnt vmcnt(0)
	buffer_wbinvl1_vol
	global_load_dwordx2 v[1:2], v0, s[44:45] offset:40
	global_load_dwordx2 v[8:9], v0, s[44:45]
	s_waitcnt vmcnt(1)
	v_and_b32_e32 v1, v1, v12
	v_and_b32_e32 v2, v2, v13
	v_mul_lo_u32 v2, v2, 24
	v_mul_hi_u32 v3, v1, 24
	v_mul_lo_u32 v1, v1, 24
	v_add_u32_e32 v2, v3, v2
	s_waitcnt vmcnt(0)
	v_add_co_u32_e32 v1, vcc, v8, v1
	v_addc_co_u32_e32 v2, vcc, v9, v2, vcc
	global_load_dwordx2 v[10:11], v[1:2], off glc
	s_waitcnt vmcnt(0)
	global_atomic_cmpswap_x2 v[10:11], v0, v[10:13], s[44:45] offset:24 glc
	s_waitcnt vmcnt(0)
	buffer_wbinvl1_vol
	v_cmp_ne_u64_e32 vcc, v[10:11], v[12:13]
	s_and_saveexec_b64 s[16:17], vcc
	s_cbranch_execz .LBB6_1133
; %bb.1130:
	s_mov_b64 s[18:19], 0
.LBB6_1131:                             ; =>This Inner Loop Header: Depth=1
	s_sleep 1
	global_load_dwordx2 v[1:2], v0, s[44:45] offset:40
	global_load_dwordx2 v[8:9], v0, s[44:45]
	v_mov_b32_e32 v13, v11
	v_mov_b32_e32 v12, v10
	s_waitcnt vmcnt(1)
	v_and_b32_e32 v1, v1, v12
	s_waitcnt vmcnt(0)
	v_mad_u64_u32 v[8:9], s[20:21], v1, 24, v[8:9]
	v_and_b32_e32 v2, v2, v13
	v_mov_b32_e32 v1, v9
	v_mad_u64_u32 v[1:2], s[20:21], v2, 24, v[1:2]
	v_mov_b32_e32 v9, v1
	global_load_dwordx2 v[10:11], v[8:9], off glc
	s_waitcnt vmcnt(0)
	global_atomic_cmpswap_x2 v[10:11], v0, v[10:13], s[44:45] offset:24 glc
	s_waitcnt vmcnt(0)
	buffer_wbinvl1_vol
	v_cmp_eq_u64_e32 vcc, v[10:11], v[12:13]
	s_or_b64 s[18:19], vcc, s[18:19]
	s_andn2_b64 exec, exec, s[18:19]
	s_cbranch_execnz .LBB6_1131
; %bb.1132:
	s_or_b64 exec, exec, s[18:19]
.LBB6_1133:
	s_or_b64 exec, exec, s[16:17]
.LBB6_1134:
	s_or_b64 exec, exec, s[10:11]
	s_waitcnt vmcnt(0)
	v_mov_b32_e32 v9, 0
	global_load_dwordx2 v[12:13], v9, s[44:45] offset:40
	global_load_dwordx4 v[0:3], v9, s[44:45]
	v_readfirstlane_b32 s10, v10
	v_readfirstlane_b32 s11, v11
	s_mov_b64 s[16:17], exec
	s_waitcnt vmcnt(1)
	v_readfirstlane_b32 s18, v12
	v_readfirstlane_b32 s19, v13
	s_and_b64 s[18:19], s[10:11], s[18:19]
	s_mul_i32 s15, s19, 24
	s_mul_hi_u32 s20, s18, 24
	s_mul_i32 s21, s18, 24
	s_add_i32 s15, s20, s15
	v_mov_b32_e32 v8, s15
	s_waitcnt vmcnt(0)
	v_add_co_u32_e32 v10, vcc, s21, v0
	v_addc_co_u32_e32 v11, vcc, v1, v8, vcc
	s_and_saveexec_b64 s[20:21], s[4:5]
	s_cbranch_execz .LBB6_1136
; %bb.1135:
	v_mov_b32_e32 v12, s16
	v_mov_b32_e32 v13, s17
	;; [unrolled: 1-line block ×4, first 2 shown]
	global_store_dwordx4 v[10:11], v[12:15], off offset:8
.LBB6_1136:
	s_or_b64 exec, exec, s[20:21]
	s_lshl_b64 s[16:17], s[18:19], 12
	v_mov_b32_e32 v8, s17
	v_add_co_u32_e32 v2, vcc, s16, v2
	v_addc_co_u32_e32 v3, vcc, v3, v8, vcc
	s_movk_i32 s15, 0xff1d
	v_and_or_b32 v6, v6, s15, 34
	s_mov_b32 s16, 0
	v_mov_b32_e32 v8, 58
	v_readfirstlane_b32 s20, v2
	v_readfirstlane_b32 s21, v3
	s_mov_b32 s17, s16
	s_mov_b32 s18, s16
	;; [unrolled: 1-line block ×3, first 2 shown]
	s_nop 1
	global_store_dwordx4 v50, v[6:9], s[20:21]
	s_nop 0
	v_mov_b32_e32 v6, s16
	v_mov_b32_e32 v7, s17
	;; [unrolled: 1-line block ×4, first 2 shown]
	global_store_dwordx4 v50, v[6:9], s[20:21] offset:16
	global_store_dwordx4 v50, v[6:9], s[20:21] offset:32
	;; [unrolled: 1-line block ×3, first 2 shown]
	s_and_saveexec_b64 s[16:17], s[4:5]
	s_cbranch_execz .LBB6_1144
; %bb.1137:
	v_mov_b32_e32 v8, 0
	global_load_dwordx2 v[14:15], v8, s[44:45] offset:32 glc
	global_load_dwordx2 v[2:3], v8, s[44:45] offset:40
	v_mov_b32_e32 v12, s10
	v_mov_b32_e32 v13, s11
	s_waitcnt vmcnt(0)
	v_readfirstlane_b32 s18, v2
	v_readfirstlane_b32 s19, v3
	s_and_b64 s[18:19], s[18:19], s[10:11]
	s_mul_i32 s15, s19, 24
	s_mul_hi_u32 s19, s18, 24
	s_mul_i32 s18, s18, 24
	s_add_i32 s15, s19, s15
	v_mov_b32_e32 v2, s15
	v_add_co_u32_e32 v6, vcc, s18, v0
	v_addc_co_u32_e32 v7, vcc, v1, v2, vcc
	global_store_dwordx2 v[6:7], v[14:15], off
	s_waitcnt vmcnt(0)
	global_atomic_cmpswap_x2 v[2:3], v8, v[12:15], s[44:45] offset:32 glc
	s_waitcnt vmcnt(0)
	v_cmp_ne_u64_e32 vcc, v[2:3], v[14:15]
	s_and_saveexec_b64 s[18:19], vcc
	s_cbranch_execz .LBB6_1140
; %bb.1138:
	s_mov_b64 s[20:21], 0
.LBB6_1139:                             ; =>This Inner Loop Header: Depth=1
	s_sleep 1
	global_store_dwordx2 v[6:7], v[2:3], off
	v_mov_b32_e32 v0, s10
	v_mov_b32_e32 v1, s11
	s_waitcnt vmcnt(0)
	global_atomic_cmpswap_x2 v[0:1], v8, v[0:3], s[44:45] offset:32 glc
	s_waitcnt vmcnt(0)
	v_cmp_eq_u64_e32 vcc, v[0:1], v[2:3]
	v_mov_b32_e32 v3, v1
	s_or_b64 s[20:21], vcc, s[20:21]
	v_mov_b32_e32 v2, v0
	s_andn2_b64 exec, exec, s[20:21]
	s_cbranch_execnz .LBB6_1139
.LBB6_1140:
	s_or_b64 exec, exec, s[18:19]
	v_mov_b32_e32 v3, 0
	global_load_dwordx2 v[0:1], v3, s[44:45] offset:16
	s_mov_b64 s[18:19], exec
	v_mbcnt_lo_u32_b32 v2, s18, 0
	v_mbcnt_hi_u32_b32 v2, s19, v2
	v_cmp_eq_u32_e32 vcc, 0, v2
	s_and_saveexec_b64 s[20:21], vcc
	s_cbranch_execz .LBB6_1142
; %bb.1141:
	s_bcnt1_i32_b64 s15, s[18:19]
	v_mov_b32_e32 v2, s15
	s_waitcnt vmcnt(0)
	global_atomic_add_x2 v[0:1], v[2:3], off offset:8
.LBB6_1142:
	s_or_b64 exec, exec, s[20:21]
	s_waitcnt vmcnt(0)
	global_load_dwordx2 v[2:3], v[0:1], off offset:16
	s_waitcnt vmcnt(0)
	v_cmp_eq_u64_e32 vcc, 0, v[2:3]
	s_cbranch_vccnz .LBB6_1144
; %bb.1143:
	global_load_dword v0, v[0:1], off offset:24
	v_mov_b32_e32 v1, 0
	s_waitcnt vmcnt(0)
	global_store_dwordx2 v[2:3], v[0:1], off
	v_and_b32_e32 v0, 0xffffff, v0
	v_readfirstlane_b32 m0, v0
	s_sendmsg sendmsg(MSG_INTERRUPT)
.LBB6_1144:
	s_or_b64 exec, exec, s[16:17]
	s_branch .LBB6_1148
.LBB6_1145:                             ;   in Loop: Header=BB6_1148 Depth=1
	s_or_b64 exec, exec, s[16:17]
	v_readfirstlane_b32 s15, v0
	s_cmp_eq_u32 s15, 0
	s_cbranch_scc1 .LBB6_1147
; %bb.1146:                             ;   in Loop: Header=BB6_1148 Depth=1
	s_sleep 1
	s_cbranch_execnz .LBB6_1148
	s_branch .LBB6_1150
.LBB6_1147:
	s_branch .LBB6_1150
.LBB6_1148:                             ; =>This Inner Loop Header: Depth=1
	v_mov_b32_e32 v0, 1
	s_and_saveexec_b64 s[16:17], s[4:5]
	s_cbranch_execz .LBB6_1145
; %bb.1149:                             ;   in Loop: Header=BB6_1148 Depth=1
	global_load_dword v0, v[10:11], off offset:20 glc
	s_waitcnt vmcnt(0)
	buffer_wbinvl1_vol
	v_and_b32_e32 v0, 1, v0
	s_branch .LBB6_1145
.LBB6_1150:
	s_and_saveexec_b64 s[16:17], s[4:5]
	s_cbranch_execz .LBB6_1153
; %bb.1151:
	v_mov_b32_e32 v8, 0
	global_load_dwordx2 v[2:3], v8, s[44:45] offset:40
	global_load_dwordx2 v[9:10], v8, s[44:45] offset:24 glc
	global_load_dwordx2 v[6:7], v8, s[44:45]
	v_mov_b32_e32 v1, s11
	s_mov_b64 s[4:5], 0
	s_waitcnt vmcnt(2)
	v_add_co_u32_e32 v11, vcc, 1, v2
	v_addc_co_u32_e32 v12, vcc, 0, v3, vcc
	v_add_co_u32_e32 v0, vcc, s10, v11
	v_addc_co_u32_e32 v1, vcc, v12, v1, vcc
	v_cmp_eq_u64_e32 vcc, 0, v[0:1]
	v_cndmask_b32_e32 v1, v1, v12, vcc
	v_cndmask_b32_e32 v0, v0, v11, vcc
	v_and_b32_e32 v3, v1, v3
	v_and_b32_e32 v2, v0, v2
	v_mul_lo_u32 v3, v3, 24
	v_mul_hi_u32 v11, v2, 24
	v_mul_lo_u32 v12, v2, 24
	s_waitcnt vmcnt(1)
	v_mov_b32_e32 v2, v9
	v_add_u32_e32 v3, v11, v3
	s_waitcnt vmcnt(0)
	v_add_co_u32_e32 v6, vcc, v6, v12
	v_addc_co_u32_e32 v7, vcc, v7, v3, vcc
	global_store_dwordx2 v[6:7], v[9:10], off
	v_mov_b32_e32 v3, v10
	s_waitcnt vmcnt(0)
	global_atomic_cmpswap_x2 v[2:3], v8, v[0:3], s[44:45] offset:24 glc
	s_waitcnt vmcnt(0)
	v_cmp_ne_u64_e32 vcc, v[2:3], v[9:10]
	s_and_b64 exec, exec, vcc
	s_cbranch_execz .LBB6_1153
.LBB6_1152:                             ; =>This Inner Loop Header: Depth=1
	s_sleep 1
	global_store_dwordx2 v[6:7], v[2:3], off
	s_waitcnt vmcnt(0)
	global_atomic_cmpswap_x2 v[9:10], v8, v[0:3], s[44:45] offset:24 glc
	s_waitcnt vmcnt(0)
	v_cmp_eq_u64_e32 vcc, v[9:10], v[2:3]
	v_mov_b32_e32 v2, v9
	s_or_b64 s[4:5], vcc, s[4:5]
	v_mov_b32_e32 v3, v10
	s_andn2_b64 exec, exec, s[4:5]
	s_cbranch_execnz .LBB6_1152
.LBB6_1153:
	s_or_b64 exec, exec, s[16:17]
	v_readfirstlane_b32 s4, v51
	v_mov_b32_e32 v8, 0
	v_mov_b32_e32 v9, 0
	v_cmp_eq_u32_e64 s[4:5], s4, v51
	s_and_saveexec_b64 s[10:11], s[4:5]
	s_cbranch_execz .LBB6_1159
; %bb.1154:
	v_mov_b32_e32 v0, 0
	global_load_dwordx2 v[10:11], v0, s[44:45] offset:24 glc
	s_waitcnt vmcnt(0)
	buffer_wbinvl1_vol
	global_load_dwordx2 v[1:2], v0, s[44:45] offset:40
	global_load_dwordx2 v[6:7], v0, s[44:45]
	s_waitcnt vmcnt(1)
	v_and_b32_e32 v1, v1, v10
	v_and_b32_e32 v2, v2, v11
	v_mul_lo_u32 v2, v2, 24
	v_mul_hi_u32 v3, v1, 24
	v_mul_lo_u32 v1, v1, 24
	v_add_u32_e32 v2, v3, v2
	s_waitcnt vmcnt(0)
	v_add_co_u32_e32 v1, vcc, v6, v1
	v_addc_co_u32_e32 v2, vcc, v7, v2, vcc
	global_load_dwordx2 v[8:9], v[1:2], off glc
	s_waitcnt vmcnt(0)
	global_atomic_cmpswap_x2 v[8:9], v0, v[8:11], s[44:45] offset:24 glc
	s_waitcnt vmcnt(0)
	buffer_wbinvl1_vol
	v_cmp_ne_u64_e32 vcc, v[8:9], v[10:11]
	s_and_saveexec_b64 s[16:17], vcc
	s_cbranch_execz .LBB6_1158
; %bb.1155:
	s_mov_b64 s[18:19], 0
.LBB6_1156:                             ; =>This Inner Loop Header: Depth=1
	s_sleep 1
	global_load_dwordx2 v[1:2], v0, s[44:45] offset:40
	global_load_dwordx2 v[6:7], v0, s[44:45]
	v_mov_b32_e32 v11, v9
	v_mov_b32_e32 v10, v8
	s_waitcnt vmcnt(1)
	v_and_b32_e32 v1, v1, v10
	s_waitcnt vmcnt(0)
	v_mad_u64_u32 v[6:7], s[20:21], v1, 24, v[6:7]
	v_and_b32_e32 v2, v2, v11
	v_mov_b32_e32 v1, v7
	v_mad_u64_u32 v[1:2], s[20:21], v2, 24, v[1:2]
	v_mov_b32_e32 v7, v1
	global_load_dwordx2 v[8:9], v[6:7], off glc
	s_waitcnt vmcnt(0)
	global_atomic_cmpswap_x2 v[8:9], v0, v[8:11], s[44:45] offset:24 glc
	s_waitcnt vmcnt(0)
	buffer_wbinvl1_vol
	v_cmp_eq_u64_e32 vcc, v[8:9], v[10:11]
	s_or_b64 s[18:19], vcc, s[18:19]
	s_andn2_b64 exec, exec, s[18:19]
	s_cbranch_execnz .LBB6_1156
; %bb.1157:
	s_or_b64 exec, exec, s[18:19]
.LBB6_1158:
	s_or_b64 exec, exec, s[16:17]
.LBB6_1159:
	s_or_b64 exec, exec, s[10:11]
	v_mov_b32_e32 v7, 0
	global_load_dwordx2 v[10:11], v7, s[44:45] offset:40
	global_load_dwordx4 v[0:3], v7, s[44:45]
	v_readfirstlane_b32 s10, v8
	v_readfirstlane_b32 s11, v9
	s_mov_b64 s[16:17], exec
	s_waitcnt vmcnt(1)
	v_readfirstlane_b32 s18, v10
	v_readfirstlane_b32 s19, v11
	s_and_b64 s[18:19], s[10:11], s[18:19]
	s_mul_i32 s15, s19, 24
	s_mul_hi_u32 s20, s18, 24
	s_mul_i32 s21, s18, 24
	s_add_i32 s15, s20, s15
	v_mov_b32_e32 v6, s15
	s_waitcnt vmcnt(0)
	v_add_co_u32_e32 v10, vcc, s21, v0
	v_addc_co_u32_e32 v11, vcc, v1, v6, vcc
	s_and_saveexec_b64 s[20:21], s[4:5]
	s_cbranch_execz .LBB6_1161
; %bb.1160:
	v_mov_b32_e32 v12, s16
	v_mov_b32_e32 v13, s17
	;; [unrolled: 1-line block ×4, first 2 shown]
	global_store_dwordx4 v[10:11], v[12:15], off offset:8
.LBB6_1161:
	s_or_b64 exec, exec, s[20:21]
	s_lshl_b64 s[16:17], s[18:19], 12
	v_mov_b32_e32 v6, s17
	v_add_co_u32_e32 v2, vcc, s16, v2
	v_addc_co_u32_e32 v3, vcc, v3, v6, vcc
	s_mov_b32 s16, 0
	v_mov_b32_e32 v6, 33
	v_mov_b32_e32 v8, v7
	;; [unrolled: 1-line block ×3, first 2 shown]
	v_readfirstlane_b32 s20, v2
	v_readfirstlane_b32 s21, v3
	v_add_co_u32_e32 v12, vcc, v2, v50
	s_mov_b32 s17, s16
	s_mov_b32 s18, s16
	;; [unrolled: 1-line block ×3, first 2 shown]
	s_nop 0
	global_store_dwordx4 v50, v[6:9], s[20:21]
	v_addc_co_u32_e32 v13, vcc, 0, v3, vcc
	v_mov_b32_e32 v6, s16
	v_mov_b32_e32 v7, s17
	;; [unrolled: 1-line block ×4, first 2 shown]
	global_store_dwordx4 v50, v[6:9], s[20:21] offset:16
	global_store_dwordx4 v50, v[6:9], s[20:21] offset:32
	;; [unrolled: 1-line block ×3, first 2 shown]
	s_and_saveexec_b64 s[16:17], s[4:5]
	s_cbranch_execz .LBB6_1169
; %bb.1162:
	v_mov_b32_e32 v8, 0
	global_load_dwordx2 v[16:17], v8, s[44:45] offset:32 glc
	global_load_dwordx2 v[2:3], v8, s[44:45] offset:40
	v_mov_b32_e32 v14, s10
	v_mov_b32_e32 v15, s11
	s_waitcnt vmcnt(0)
	v_readfirstlane_b32 s18, v2
	v_readfirstlane_b32 s19, v3
	s_and_b64 s[18:19], s[18:19], s[10:11]
	s_mul_i32 s15, s19, 24
	s_mul_hi_u32 s19, s18, 24
	s_mul_i32 s18, s18, 24
	s_add_i32 s15, s19, s15
	v_mov_b32_e32 v2, s15
	v_add_co_u32_e32 v6, vcc, s18, v0
	v_addc_co_u32_e32 v7, vcc, v1, v2, vcc
	global_store_dwordx2 v[6:7], v[16:17], off
	s_waitcnt vmcnt(0)
	global_atomic_cmpswap_x2 v[2:3], v8, v[14:17], s[44:45] offset:32 glc
	s_waitcnt vmcnt(0)
	v_cmp_ne_u64_e32 vcc, v[2:3], v[16:17]
	s_and_saveexec_b64 s[18:19], vcc
	s_cbranch_execz .LBB6_1165
; %bb.1163:
	s_mov_b64 s[20:21], 0
.LBB6_1164:                             ; =>This Inner Loop Header: Depth=1
	s_sleep 1
	global_store_dwordx2 v[6:7], v[2:3], off
	v_mov_b32_e32 v0, s10
	v_mov_b32_e32 v1, s11
	s_waitcnt vmcnt(0)
	global_atomic_cmpswap_x2 v[0:1], v8, v[0:3], s[44:45] offset:32 glc
	s_waitcnt vmcnt(0)
	v_cmp_eq_u64_e32 vcc, v[0:1], v[2:3]
	v_mov_b32_e32 v3, v1
	s_or_b64 s[20:21], vcc, s[20:21]
	v_mov_b32_e32 v2, v0
	s_andn2_b64 exec, exec, s[20:21]
	s_cbranch_execnz .LBB6_1164
.LBB6_1165:
	s_or_b64 exec, exec, s[18:19]
	v_mov_b32_e32 v3, 0
	global_load_dwordx2 v[0:1], v3, s[44:45] offset:16
	s_mov_b64 s[18:19], exec
	v_mbcnt_lo_u32_b32 v2, s18, 0
	v_mbcnt_hi_u32_b32 v2, s19, v2
	v_cmp_eq_u32_e32 vcc, 0, v2
	s_and_saveexec_b64 s[20:21], vcc
	s_cbranch_execz .LBB6_1167
; %bb.1166:
	s_bcnt1_i32_b64 s15, s[18:19]
	v_mov_b32_e32 v2, s15
	s_waitcnt vmcnt(0)
	global_atomic_add_x2 v[0:1], v[2:3], off offset:8
.LBB6_1167:
	s_or_b64 exec, exec, s[20:21]
	s_waitcnt vmcnt(0)
	global_load_dwordx2 v[2:3], v[0:1], off offset:16
	s_waitcnt vmcnt(0)
	v_cmp_eq_u64_e32 vcc, 0, v[2:3]
	s_cbranch_vccnz .LBB6_1169
; %bb.1168:
	global_load_dword v0, v[0:1], off offset:24
	v_mov_b32_e32 v1, 0
	s_waitcnt vmcnt(0)
	global_store_dwordx2 v[2:3], v[0:1], off
	v_and_b32_e32 v0, 0xffffff, v0
	v_readfirstlane_b32 m0, v0
	s_sendmsg sendmsg(MSG_INTERRUPT)
.LBB6_1169:
	s_or_b64 exec, exec, s[16:17]
	s_branch .LBB6_1173
.LBB6_1170:                             ;   in Loop: Header=BB6_1173 Depth=1
	s_or_b64 exec, exec, s[16:17]
	v_readfirstlane_b32 s15, v0
	s_cmp_eq_u32 s15, 0
	s_cbranch_scc1 .LBB6_1172
; %bb.1171:                             ;   in Loop: Header=BB6_1173 Depth=1
	s_sleep 1
	s_cbranch_execnz .LBB6_1173
	s_branch .LBB6_1175
.LBB6_1172:
	s_branch .LBB6_1175
.LBB6_1173:                             ; =>This Inner Loop Header: Depth=1
	v_mov_b32_e32 v0, 1
	s_and_saveexec_b64 s[16:17], s[4:5]
	s_cbranch_execz .LBB6_1170
; %bb.1174:                             ;   in Loop: Header=BB6_1173 Depth=1
	global_load_dword v0, v[10:11], off offset:20 glc
	s_waitcnt vmcnt(0)
	buffer_wbinvl1_vol
	v_and_b32_e32 v0, 1, v0
	s_branch .LBB6_1170
.LBB6_1175:
	global_load_dwordx2 v[0:1], v[12:13], off
	s_and_saveexec_b64 s[16:17], s[4:5]
	s_cbranch_execz .LBB6_1178
; %bb.1176:
	v_mov_b32_e32 v10, 0
	global_load_dwordx2 v[2:3], v10, s[44:45] offset:40
	global_load_dwordx2 v[11:12], v10, s[44:45] offset:24 glc
	global_load_dwordx2 v[13:14], v10, s[44:45]
	v_mov_b32_e32 v7, s11
	s_mov_b64 s[4:5], 0
	s_waitcnt vmcnt(2)
	v_add_co_u32_e32 v8, vcc, 1, v2
	v_addc_co_u32_e32 v9, vcc, 0, v3, vcc
	v_add_co_u32_e32 v6, vcc, s10, v8
	v_addc_co_u32_e32 v7, vcc, v9, v7, vcc
	v_cmp_eq_u64_e32 vcc, 0, v[6:7]
	v_cndmask_b32_e32 v7, v7, v9, vcc
	v_cndmask_b32_e32 v6, v6, v8, vcc
	v_and_b32_e32 v3, v7, v3
	v_and_b32_e32 v2, v6, v2
	v_mul_lo_u32 v3, v3, 24
	v_mul_hi_u32 v9, v2, 24
	v_mul_lo_u32 v2, v2, 24
	s_waitcnt vmcnt(1)
	v_mov_b32_e32 v8, v11
	v_add_u32_e32 v3, v9, v3
	s_waitcnt vmcnt(0)
	v_add_co_u32_e32 v2, vcc, v13, v2
	v_addc_co_u32_e32 v3, vcc, v14, v3, vcc
	global_store_dwordx2 v[2:3], v[11:12], off
	v_mov_b32_e32 v9, v12
	s_waitcnt vmcnt(0)
	global_atomic_cmpswap_x2 v[8:9], v10, v[6:9], s[44:45] offset:24 glc
	s_waitcnt vmcnt(0)
	v_cmp_ne_u64_e32 vcc, v[8:9], v[11:12]
	s_and_b64 exec, exec, vcc
	s_cbranch_execz .LBB6_1178
.LBB6_1177:                             ; =>This Inner Loop Header: Depth=1
	s_sleep 1
	global_store_dwordx2 v[2:3], v[8:9], off
	s_waitcnt vmcnt(0)
	global_atomic_cmpswap_x2 v[11:12], v10, v[6:9], s[44:45] offset:24 glc
	s_waitcnt vmcnt(0)
	v_cmp_eq_u64_e32 vcc, v[11:12], v[8:9]
	v_mov_b32_e32 v8, v11
	s_or_b64 s[4:5], vcc, s[4:5]
	v_mov_b32_e32 v9, v12
	s_andn2_b64 exec, exec, s[4:5]
	s_cbranch_execnz .LBB6_1177
.LBB6_1178:
	s_or_b64 exec, exec, s[16:17]
	s_and_b64 vcc, exec, s[46:47]
	s_cbranch_vccz .LBB6_1263
; %bb.1179:
	s_waitcnt vmcnt(0)
	v_and_b32_e32 v34, 2, v0
	v_mov_b32_e32 v3, 0
	v_and_b32_e32 v6, -3, v0
	v_mov_b32_e32 v7, v1
	s_mov_b64 s[16:17], 3
	v_mov_b32_e32 v10, 2
	v_mov_b32_e32 v11, 1
	s_getpc_b64 s[10:11]
	s_add_u32 s10, s10, .str.8@rel32@lo+4
	s_addc_u32 s11, s11, .str.8@rel32@hi+12
	s_branch .LBB6_1181
.LBB6_1180:                             ;   in Loop: Header=BB6_1181 Depth=1
	s_or_b64 exec, exec, s[22:23]
	s_sub_u32 s16, s16, s18
	s_subb_u32 s17, s17, s19
	s_add_u32 s10, s10, s18
	s_addc_u32 s11, s11, s19
	s_cmp_lg_u64 s[16:17], 0
	s_cbranch_scc0 .LBB6_1262
.LBB6_1181:                             ; =>This Loop Header: Depth=1
                                        ;     Child Loop BB6_1184 Depth 2
                                        ;     Child Loop BB6_1191 Depth 2
	;; [unrolled: 1-line block ×11, first 2 shown]
	v_cmp_lt_u64_e64 s[4:5], s[16:17], 56
	v_cmp_gt_u64_e64 s[20:21], s[16:17], 7
	s_and_b64 s[4:5], s[4:5], exec
	s_cselect_b32 s19, s17, 0
	s_cselect_b32 s18, s16, 56
	s_and_b64 vcc, exec, s[20:21]
	s_cbranch_vccnz .LBB6_1186
; %bb.1182:                             ;   in Loop: Header=BB6_1181 Depth=1
	v_mov_b32_e32 v14, 0
	s_cmp_eq_u64 s[16:17], 0
	v_mov_b32_e32 v15, 0
	s_mov_b64 s[4:5], 0
	s_cbranch_scc1 .LBB6_1185
; %bb.1183:                             ;   in Loop: Header=BB6_1181 Depth=1
	v_mov_b32_e32 v14, 0
	s_lshl_b64 s[20:21], s[18:19], 3
	s_mov_b64 s[22:23], 0
	v_mov_b32_e32 v15, 0
	s_mov_b64 s[24:25], s[10:11]
.LBB6_1184:                             ;   Parent Loop BB6_1181 Depth=1
                                        ; =>  This Inner Loop Header: Depth=2
	global_load_ubyte v2, v3, s[24:25]
	s_waitcnt vmcnt(0)
	v_and_b32_e32 v2, 0xffff, v2
	v_lshlrev_b64 v[8:9], s22, v[2:3]
	s_add_u32 s22, s22, 8
	s_addc_u32 s23, s23, 0
	s_add_u32 s24, s24, 1
	s_addc_u32 s25, s25, 0
	v_or_b32_e32 v14, v8, v14
	s_cmp_lg_u32 s20, s22
	v_or_b32_e32 v15, v9, v15
	s_cbranch_scc1 .LBB6_1184
.LBB6_1185:                             ;   in Loop: Header=BB6_1181 Depth=1
	s_mov_b32 s15, 0
	s_andn2_b64 vcc, exec, s[4:5]
	s_mov_b64 s[4:5], s[10:11]
	s_cbranch_vccz .LBB6_1187
	s_branch .LBB6_1188
.LBB6_1186:                             ;   in Loop: Header=BB6_1181 Depth=1
                                        ; implicit-def: $vgpr14_vgpr15
                                        ; implicit-def: $sgpr15
	s_mov_b64 s[4:5], s[10:11]
.LBB6_1187:                             ;   in Loop: Header=BB6_1181 Depth=1
	global_load_dwordx2 v[14:15], v3, s[10:11]
	s_add_i32 s15, s18, -8
	s_add_u32 s4, s10, 8
	s_addc_u32 s5, s11, 0
.LBB6_1188:                             ;   in Loop: Header=BB6_1181 Depth=1
	s_cmp_gt_u32 s15, 7
	s_cbranch_scc1 .LBB6_1192
; %bb.1189:                             ;   in Loop: Header=BB6_1181 Depth=1
	s_cmp_eq_u32 s15, 0
	s_cbranch_scc1 .LBB6_1193
; %bb.1190:                             ;   in Loop: Header=BB6_1181 Depth=1
	v_mov_b32_e32 v16, 0
	s_mov_b64 s[20:21], 0
	v_mov_b32_e32 v17, 0
	s_mov_b64 s[22:23], 0
.LBB6_1191:                             ;   Parent Loop BB6_1181 Depth=1
                                        ; =>  This Inner Loop Header: Depth=2
	s_add_u32 s24, s4, s22
	s_addc_u32 s25, s5, s23
	global_load_ubyte v2, v3, s[24:25]
	s_add_u32 s22, s22, 1
	s_addc_u32 s23, s23, 0
	s_waitcnt vmcnt(0)
	v_and_b32_e32 v2, 0xffff, v2
	v_lshlrev_b64 v[8:9], s20, v[2:3]
	s_add_u32 s20, s20, 8
	s_addc_u32 s21, s21, 0
	v_or_b32_e32 v16, v8, v16
	s_cmp_lg_u32 s15, s22
	v_or_b32_e32 v17, v9, v17
	s_cbranch_scc1 .LBB6_1191
	s_branch .LBB6_1194
.LBB6_1192:                             ;   in Loop: Header=BB6_1181 Depth=1
                                        ; implicit-def: $vgpr16_vgpr17
                                        ; implicit-def: $sgpr24
	s_branch .LBB6_1195
.LBB6_1193:                             ;   in Loop: Header=BB6_1181 Depth=1
	v_mov_b32_e32 v16, 0
	v_mov_b32_e32 v17, 0
.LBB6_1194:                             ;   in Loop: Header=BB6_1181 Depth=1
	s_mov_b32 s24, 0
	s_cbranch_execnz .LBB6_1196
.LBB6_1195:                             ;   in Loop: Header=BB6_1181 Depth=1
	global_load_dwordx2 v[16:17], v3, s[4:5]
	s_add_i32 s24, s15, -8
	s_add_u32 s4, s4, 8
	s_addc_u32 s5, s5, 0
.LBB6_1196:                             ;   in Loop: Header=BB6_1181 Depth=1
	s_cmp_gt_u32 s24, 7
	s_cbranch_scc1 .LBB6_1200
; %bb.1197:                             ;   in Loop: Header=BB6_1181 Depth=1
	s_cmp_eq_u32 s24, 0
	s_cbranch_scc1 .LBB6_1201
; %bb.1198:                             ;   in Loop: Header=BB6_1181 Depth=1
	v_mov_b32_e32 v18, 0
	s_mov_b64 s[20:21], 0
	v_mov_b32_e32 v19, 0
	s_mov_b64 s[22:23], 0
.LBB6_1199:                             ;   Parent Loop BB6_1181 Depth=1
                                        ; =>  This Inner Loop Header: Depth=2
	s_add_u32 s26, s4, s22
	s_addc_u32 s27, s5, s23
	global_load_ubyte v2, v3, s[26:27]
	s_add_u32 s22, s22, 1
	s_addc_u32 s23, s23, 0
	s_waitcnt vmcnt(0)
	v_and_b32_e32 v2, 0xffff, v2
	v_lshlrev_b64 v[8:9], s20, v[2:3]
	s_add_u32 s20, s20, 8
	s_addc_u32 s21, s21, 0
	v_or_b32_e32 v18, v8, v18
	s_cmp_lg_u32 s24, s22
	v_or_b32_e32 v19, v9, v19
	s_cbranch_scc1 .LBB6_1199
	s_branch .LBB6_1202
.LBB6_1200:                             ;   in Loop: Header=BB6_1181 Depth=1
                                        ; implicit-def: $sgpr15
	s_branch .LBB6_1203
.LBB6_1201:                             ;   in Loop: Header=BB6_1181 Depth=1
	v_mov_b32_e32 v18, 0
	v_mov_b32_e32 v19, 0
.LBB6_1202:                             ;   in Loop: Header=BB6_1181 Depth=1
	s_mov_b32 s15, 0
	s_cbranch_execnz .LBB6_1204
.LBB6_1203:                             ;   in Loop: Header=BB6_1181 Depth=1
	global_load_dwordx2 v[18:19], v3, s[4:5]
	s_add_i32 s15, s24, -8
	s_add_u32 s4, s4, 8
	s_addc_u32 s5, s5, 0
.LBB6_1204:                             ;   in Loop: Header=BB6_1181 Depth=1
	s_cmp_gt_u32 s15, 7
	s_cbranch_scc1 .LBB6_1208
; %bb.1205:                             ;   in Loop: Header=BB6_1181 Depth=1
	s_cmp_eq_u32 s15, 0
	s_cbranch_scc1 .LBB6_1209
; %bb.1206:                             ;   in Loop: Header=BB6_1181 Depth=1
	v_mov_b32_e32 v20, 0
	s_mov_b64 s[20:21], 0
	v_mov_b32_e32 v21, 0
	s_mov_b64 s[22:23], 0
.LBB6_1207:                             ;   Parent Loop BB6_1181 Depth=1
                                        ; =>  This Inner Loop Header: Depth=2
	s_add_u32 s24, s4, s22
	s_addc_u32 s25, s5, s23
	global_load_ubyte v2, v3, s[24:25]
	s_add_u32 s22, s22, 1
	s_addc_u32 s23, s23, 0
	s_waitcnt vmcnt(0)
	v_and_b32_e32 v2, 0xffff, v2
	v_lshlrev_b64 v[8:9], s20, v[2:3]
	s_add_u32 s20, s20, 8
	s_addc_u32 s21, s21, 0
	v_or_b32_e32 v20, v8, v20
	s_cmp_lg_u32 s15, s22
	v_or_b32_e32 v21, v9, v21
	s_cbranch_scc1 .LBB6_1207
	s_branch .LBB6_1210
.LBB6_1208:                             ;   in Loop: Header=BB6_1181 Depth=1
                                        ; implicit-def: $vgpr20_vgpr21
                                        ; implicit-def: $sgpr24
	s_branch .LBB6_1211
.LBB6_1209:                             ;   in Loop: Header=BB6_1181 Depth=1
	v_mov_b32_e32 v20, 0
	v_mov_b32_e32 v21, 0
.LBB6_1210:                             ;   in Loop: Header=BB6_1181 Depth=1
	s_mov_b32 s24, 0
	s_cbranch_execnz .LBB6_1212
.LBB6_1211:                             ;   in Loop: Header=BB6_1181 Depth=1
	global_load_dwordx2 v[20:21], v3, s[4:5]
	s_add_i32 s24, s15, -8
	s_add_u32 s4, s4, 8
	s_addc_u32 s5, s5, 0
.LBB6_1212:                             ;   in Loop: Header=BB6_1181 Depth=1
	s_cmp_gt_u32 s24, 7
	s_cbranch_scc1 .LBB6_1216
; %bb.1213:                             ;   in Loop: Header=BB6_1181 Depth=1
	s_cmp_eq_u32 s24, 0
	s_cbranch_scc1 .LBB6_1217
; %bb.1214:                             ;   in Loop: Header=BB6_1181 Depth=1
	v_mov_b32_e32 v22, 0
	s_mov_b64 s[20:21], 0
	v_mov_b32_e32 v23, 0
	s_mov_b64 s[22:23], 0
.LBB6_1215:                             ;   Parent Loop BB6_1181 Depth=1
                                        ; =>  This Inner Loop Header: Depth=2
	s_add_u32 s26, s4, s22
	s_addc_u32 s27, s5, s23
	global_load_ubyte v2, v3, s[26:27]
	s_add_u32 s22, s22, 1
	s_addc_u32 s23, s23, 0
	s_waitcnt vmcnt(0)
	v_and_b32_e32 v2, 0xffff, v2
	v_lshlrev_b64 v[8:9], s20, v[2:3]
	s_add_u32 s20, s20, 8
	s_addc_u32 s21, s21, 0
	v_or_b32_e32 v22, v8, v22
	s_cmp_lg_u32 s24, s22
	v_or_b32_e32 v23, v9, v23
	s_cbranch_scc1 .LBB6_1215
	s_branch .LBB6_1218
.LBB6_1216:                             ;   in Loop: Header=BB6_1181 Depth=1
                                        ; implicit-def: $sgpr15
	s_branch .LBB6_1219
.LBB6_1217:                             ;   in Loop: Header=BB6_1181 Depth=1
	v_mov_b32_e32 v22, 0
	v_mov_b32_e32 v23, 0
.LBB6_1218:                             ;   in Loop: Header=BB6_1181 Depth=1
	s_mov_b32 s15, 0
	s_cbranch_execnz .LBB6_1220
.LBB6_1219:                             ;   in Loop: Header=BB6_1181 Depth=1
	global_load_dwordx2 v[22:23], v3, s[4:5]
	s_add_i32 s15, s24, -8
	s_add_u32 s4, s4, 8
	s_addc_u32 s5, s5, 0
.LBB6_1220:                             ;   in Loop: Header=BB6_1181 Depth=1
	s_cmp_gt_u32 s15, 7
	s_cbranch_scc1 .LBB6_1224
; %bb.1221:                             ;   in Loop: Header=BB6_1181 Depth=1
	s_cmp_eq_u32 s15, 0
	s_cbranch_scc1 .LBB6_1225
; %bb.1222:                             ;   in Loop: Header=BB6_1181 Depth=1
	v_mov_b32_e32 v24, 0
	s_mov_b64 s[20:21], 0
	v_mov_b32_e32 v25, 0
	s_mov_b64 s[22:23], 0
.LBB6_1223:                             ;   Parent Loop BB6_1181 Depth=1
                                        ; =>  This Inner Loop Header: Depth=2
	s_add_u32 s24, s4, s22
	s_addc_u32 s25, s5, s23
	global_load_ubyte v2, v3, s[24:25]
	s_add_u32 s22, s22, 1
	s_addc_u32 s23, s23, 0
	s_waitcnt vmcnt(0)
	v_and_b32_e32 v2, 0xffff, v2
	v_lshlrev_b64 v[8:9], s20, v[2:3]
	s_add_u32 s20, s20, 8
	s_addc_u32 s21, s21, 0
	v_or_b32_e32 v24, v8, v24
	s_cmp_lg_u32 s15, s22
	v_or_b32_e32 v25, v9, v25
	s_cbranch_scc1 .LBB6_1223
	s_branch .LBB6_1226
.LBB6_1224:                             ;   in Loop: Header=BB6_1181 Depth=1
                                        ; implicit-def: $vgpr24_vgpr25
                                        ; implicit-def: $sgpr24
	s_branch .LBB6_1227
.LBB6_1225:                             ;   in Loop: Header=BB6_1181 Depth=1
	v_mov_b32_e32 v24, 0
	v_mov_b32_e32 v25, 0
.LBB6_1226:                             ;   in Loop: Header=BB6_1181 Depth=1
	s_mov_b32 s24, 0
	s_cbranch_execnz .LBB6_1228
.LBB6_1227:                             ;   in Loop: Header=BB6_1181 Depth=1
	global_load_dwordx2 v[24:25], v3, s[4:5]
	s_add_i32 s24, s15, -8
	s_add_u32 s4, s4, 8
	s_addc_u32 s5, s5, 0
.LBB6_1228:                             ;   in Loop: Header=BB6_1181 Depth=1
	s_cmp_gt_u32 s24, 7
	s_cbranch_scc1 .LBB6_1232
; %bb.1229:                             ;   in Loop: Header=BB6_1181 Depth=1
	s_cmp_eq_u32 s24, 0
	s_cbranch_scc1 .LBB6_1233
; %bb.1230:                             ;   in Loop: Header=BB6_1181 Depth=1
	v_mov_b32_e32 v26, 0
	s_mov_b64 s[20:21], 0
	v_mov_b32_e32 v27, 0
	s_mov_b64 s[22:23], s[4:5]
.LBB6_1231:                             ;   Parent Loop BB6_1181 Depth=1
                                        ; =>  This Inner Loop Header: Depth=2
	global_load_ubyte v2, v3, s[22:23]
	s_add_i32 s24, s24, -1
	s_waitcnt vmcnt(0)
	v_and_b32_e32 v2, 0xffff, v2
	v_lshlrev_b64 v[8:9], s20, v[2:3]
	s_add_u32 s20, s20, 8
	s_addc_u32 s21, s21, 0
	s_add_u32 s22, s22, 1
	s_addc_u32 s23, s23, 0
	v_or_b32_e32 v26, v8, v26
	s_cmp_lg_u32 s24, 0
	v_or_b32_e32 v27, v9, v27
	s_cbranch_scc1 .LBB6_1231
	s_branch .LBB6_1234
.LBB6_1232:                             ;   in Loop: Header=BB6_1181 Depth=1
	s_branch .LBB6_1235
.LBB6_1233:                             ;   in Loop: Header=BB6_1181 Depth=1
	v_mov_b32_e32 v26, 0
	v_mov_b32_e32 v27, 0
.LBB6_1234:                             ;   in Loop: Header=BB6_1181 Depth=1
	s_cbranch_execnz .LBB6_1236
.LBB6_1235:                             ;   in Loop: Header=BB6_1181 Depth=1
	global_load_dwordx2 v[26:27], v3, s[4:5]
.LBB6_1236:                             ;   in Loop: Header=BB6_1181 Depth=1
	v_readfirstlane_b32 s4, v51
	s_waitcnt vmcnt(0)
	v_mov_b32_e32 v8, 0
	v_mov_b32_e32 v9, 0
	v_cmp_eq_u32_e64 s[4:5], s4, v51
	s_and_saveexec_b64 s[20:21], s[4:5]
	s_cbranch_execz .LBB6_1242
; %bb.1237:                             ;   in Loop: Header=BB6_1181 Depth=1
	global_load_dwordx2 v[30:31], v3, s[44:45] offset:24 glc
	s_waitcnt vmcnt(0)
	buffer_wbinvl1_vol
	global_load_dwordx2 v[8:9], v3, s[44:45] offset:40
	global_load_dwordx2 v[12:13], v3, s[44:45]
	s_waitcnt vmcnt(1)
	v_and_b32_e32 v2, v8, v30
	v_and_b32_e32 v8, v9, v31
	v_mul_lo_u32 v8, v8, 24
	v_mul_hi_u32 v9, v2, 24
	v_mul_lo_u32 v2, v2, 24
	v_add_u32_e32 v9, v9, v8
	s_waitcnt vmcnt(0)
	v_add_co_u32_e32 v8, vcc, v12, v2
	v_addc_co_u32_e32 v9, vcc, v13, v9, vcc
	global_load_dwordx2 v[28:29], v[8:9], off glc
	s_waitcnt vmcnt(0)
	global_atomic_cmpswap_x2 v[8:9], v3, v[28:31], s[44:45] offset:24 glc
	s_waitcnt vmcnt(0)
	buffer_wbinvl1_vol
	v_cmp_ne_u64_e32 vcc, v[8:9], v[30:31]
	s_and_saveexec_b64 s[22:23], vcc
	s_cbranch_execz .LBB6_1241
; %bb.1238:                             ;   in Loop: Header=BB6_1181 Depth=1
	s_mov_b64 s[24:25], 0
.LBB6_1239:                             ;   Parent Loop BB6_1181 Depth=1
                                        ; =>  This Inner Loop Header: Depth=2
	s_sleep 1
	global_load_dwordx2 v[12:13], v3, s[44:45] offset:40
	global_load_dwordx2 v[28:29], v3, s[44:45]
	v_mov_b32_e32 v31, v9
	v_mov_b32_e32 v30, v8
	s_waitcnt vmcnt(1)
	v_and_b32_e32 v2, v12, v30
	s_waitcnt vmcnt(0)
	v_mad_u64_u32 v[8:9], s[26:27], v2, 24, v[28:29]
	v_and_b32_e32 v12, v13, v31
	v_mov_b32_e32 v2, v9
	v_mad_u64_u32 v[12:13], s[26:27], v12, 24, v[2:3]
	v_mov_b32_e32 v9, v12
	global_load_dwordx2 v[28:29], v[8:9], off glc
	s_waitcnt vmcnt(0)
	global_atomic_cmpswap_x2 v[8:9], v3, v[28:31], s[44:45] offset:24 glc
	s_waitcnt vmcnt(0)
	buffer_wbinvl1_vol
	v_cmp_eq_u64_e32 vcc, v[8:9], v[30:31]
	s_or_b64 s[24:25], vcc, s[24:25]
	s_andn2_b64 exec, exec, s[24:25]
	s_cbranch_execnz .LBB6_1239
; %bb.1240:                             ;   in Loop: Header=BB6_1181 Depth=1
	s_or_b64 exec, exec, s[24:25]
.LBB6_1241:                             ;   in Loop: Header=BB6_1181 Depth=1
	s_or_b64 exec, exec, s[22:23]
.LBB6_1242:                             ;   in Loop: Header=BB6_1181 Depth=1
	s_or_b64 exec, exec, s[20:21]
	global_load_dwordx2 v[12:13], v3, s[44:45] offset:40
	global_load_dwordx4 v[28:31], v3, s[44:45]
	v_readfirstlane_b32 s20, v8
	v_readfirstlane_b32 s21, v9
	s_mov_b64 s[22:23], exec
	s_waitcnt vmcnt(1)
	v_readfirstlane_b32 s24, v12
	v_readfirstlane_b32 s25, v13
	s_and_b64 s[24:25], s[20:21], s[24:25]
	s_mul_i32 s15, s25, 24
	s_mul_hi_u32 s26, s24, 24
	s_mul_i32 s27, s24, 24
	s_add_i32 s15, s26, s15
	v_mov_b32_e32 v2, s15
	s_waitcnt vmcnt(0)
	v_add_co_u32_e32 v32, vcc, s27, v28
	v_addc_co_u32_e32 v33, vcc, v29, v2, vcc
	s_and_saveexec_b64 s[26:27], s[4:5]
	s_cbranch_execz .LBB6_1244
; %bb.1243:                             ;   in Loop: Header=BB6_1181 Depth=1
	v_mov_b32_e32 v8, s22
	v_mov_b32_e32 v9, s23
	global_store_dwordx4 v[32:33], v[8:11], off offset:8
.LBB6_1244:                             ;   in Loop: Header=BB6_1181 Depth=1
	s_or_b64 exec, exec, s[26:27]
	s_lshl_b64 s[22:23], s[24:25], 12
	v_mov_b32_e32 v2, s23
	v_add_co_u32_e32 v30, vcc, s22, v30
	v_addc_co_u32_e32 v31, vcc, v31, v2, vcc
	v_cmp_gt_u64_e64 vcc, s[16:17], 56
	v_or_b32_e32 v2, 0, v7
	v_or_b32_e32 v8, v6, v34
	s_lshl_b32 s15, s18, 2
	v_cndmask_b32_e32 v13, v2, v7, vcc
	v_cndmask_b32_e32 v2, v8, v6, vcc
	s_add_i32 s15, s15, 28
	s_and_b32 s15, s15, 0x1e0
	v_and_b32_e32 v2, 0xffffff1f, v2
	v_or_b32_e32 v12, s15, v2
	v_readfirstlane_b32 s22, v30
	v_readfirstlane_b32 s23, v31
	s_nop 4
	global_store_dwordx4 v50, v[12:15], s[22:23]
	global_store_dwordx4 v50, v[16:19], s[22:23] offset:16
	global_store_dwordx4 v50, v[20:23], s[22:23] offset:32
	;; [unrolled: 1-line block ×3, first 2 shown]
	s_and_saveexec_b64 s[22:23], s[4:5]
	s_cbranch_execz .LBB6_1252
; %bb.1245:                             ;   in Loop: Header=BB6_1181 Depth=1
	global_load_dwordx2 v[16:17], v3, s[44:45] offset:32 glc
	global_load_dwordx2 v[6:7], v3, s[44:45] offset:40
	v_mov_b32_e32 v14, s20
	v_mov_b32_e32 v15, s21
	s_waitcnt vmcnt(0)
	v_readfirstlane_b32 s24, v6
	v_readfirstlane_b32 s25, v7
	s_and_b64 s[24:25], s[24:25], s[20:21]
	s_mul_i32 s15, s25, 24
	s_mul_hi_u32 s25, s24, 24
	s_mul_i32 s24, s24, 24
	s_add_i32 s15, s25, s15
	v_mov_b32_e32 v2, s15
	v_add_co_u32_e32 v12, vcc, s24, v28
	v_addc_co_u32_e32 v13, vcc, v29, v2, vcc
	global_store_dwordx2 v[12:13], v[16:17], off
	s_waitcnt vmcnt(0)
	global_atomic_cmpswap_x2 v[8:9], v3, v[14:17], s[44:45] offset:32 glc
	s_waitcnt vmcnt(0)
	v_cmp_ne_u64_e32 vcc, v[8:9], v[16:17]
	s_and_saveexec_b64 s[24:25], vcc
	s_cbranch_execz .LBB6_1248
; %bb.1246:                             ;   in Loop: Header=BB6_1181 Depth=1
	s_mov_b64 s[26:27], 0
.LBB6_1247:                             ;   Parent Loop BB6_1181 Depth=1
                                        ; =>  This Inner Loop Header: Depth=2
	s_sleep 1
	global_store_dwordx2 v[12:13], v[8:9], off
	v_mov_b32_e32 v6, s20
	v_mov_b32_e32 v7, s21
	s_waitcnt vmcnt(0)
	global_atomic_cmpswap_x2 v[6:7], v3, v[6:9], s[44:45] offset:32 glc
	s_waitcnt vmcnt(0)
	v_cmp_eq_u64_e32 vcc, v[6:7], v[8:9]
	v_mov_b32_e32 v9, v7
	s_or_b64 s[26:27], vcc, s[26:27]
	v_mov_b32_e32 v8, v6
	s_andn2_b64 exec, exec, s[26:27]
	s_cbranch_execnz .LBB6_1247
.LBB6_1248:                             ;   in Loop: Header=BB6_1181 Depth=1
	s_or_b64 exec, exec, s[24:25]
	global_load_dwordx2 v[6:7], v3, s[44:45] offset:16
	s_mov_b64 s[26:27], exec
	v_mbcnt_lo_u32_b32 v2, s26, 0
	v_mbcnt_hi_u32_b32 v2, s27, v2
	v_cmp_eq_u32_e32 vcc, 0, v2
	s_and_saveexec_b64 s[24:25], vcc
	s_cbranch_execz .LBB6_1250
; %bb.1249:                             ;   in Loop: Header=BB6_1181 Depth=1
	s_bcnt1_i32_b64 s15, s[26:27]
	v_mov_b32_e32 v2, s15
	s_waitcnt vmcnt(0)
	global_atomic_add_x2 v[6:7], v[2:3], off offset:8
.LBB6_1250:                             ;   in Loop: Header=BB6_1181 Depth=1
	s_or_b64 exec, exec, s[24:25]
	s_waitcnt vmcnt(0)
	global_load_dwordx2 v[8:9], v[6:7], off offset:16
	s_waitcnt vmcnt(0)
	v_cmp_eq_u64_e32 vcc, 0, v[8:9]
	s_cbranch_vccnz .LBB6_1252
; %bb.1251:                             ;   in Loop: Header=BB6_1181 Depth=1
	global_load_dword v2, v[6:7], off offset:24
	s_waitcnt vmcnt(0)
	global_store_dwordx2 v[8:9], v[2:3], off
	v_and_b32_e32 v2, 0xffffff, v2
	v_readfirstlane_b32 m0, v2
	s_sendmsg sendmsg(MSG_INTERRUPT)
.LBB6_1252:                             ;   in Loop: Header=BB6_1181 Depth=1
	s_or_b64 exec, exec, s[22:23]
	v_add_co_u32_e32 v6, vcc, v30, v50
	v_addc_co_u32_e32 v7, vcc, 0, v31, vcc
	s_branch .LBB6_1256
.LBB6_1253:                             ;   in Loop: Header=BB6_1256 Depth=2
	s_or_b64 exec, exec, s[22:23]
	v_readfirstlane_b32 s15, v2
	s_cmp_eq_u32 s15, 0
	s_cbranch_scc1 .LBB6_1255
; %bb.1254:                             ;   in Loop: Header=BB6_1256 Depth=2
	s_sleep 1
	s_cbranch_execnz .LBB6_1256
	s_branch .LBB6_1258
.LBB6_1255:                             ;   in Loop: Header=BB6_1181 Depth=1
	s_branch .LBB6_1258
.LBB6_1256:                             ;   Parent Loop BB6_1181 Depth=1
                                        ; =>  This Inner Loop Header: Depth=2
	v_mov_b32_e32 v2, 1
	s_and_saveexec_b64 s[22:23], s[4:5]
	s_cbranch_execz .LBB6_1253
; %bb.1257:                             ;   in Loop: Header=BB6_1256 Depth=2
	global_load_dword v2, v[32:33], off offset:20 glc
	s_waitcnt vmcnt(0)
	buffer_wbinvl1_vol
	v_and_b32_e32 v2, 1, v2
	s_branch .LBB6_1253
.LBB6_1258:                             ;   in Loop: Header=BB6_1181 Depth=1
	global_load_dwordx4 v[6:9], v[6:7], off
	s_and_saveexec_b64 s[22:23], s[4:5]
	s_cbranch_execz .LBB6_1180
; %bb.1259:                             ;   in Loop: Header=BB6_1181 Depth=1
	global_load_dwordx2 v[8:9], v3, s[44:45] offset:40
	global_load_dwordx2 v[16:17], v3, s[44:45] offset:24 glc
	global_load_dwordx2 v[18:19], v3, s[44:45]
	v_mov_b32_e32 v2, s21
	s_waitcnt vmcnt(2)
	v_add_co_u32_e32 v14, vcc, 1, v8
	v_addc_co_u32_e32 v15, vcc, 0, v9, vcc
	v_add_co_u32_e32 v12, vcc, s20, v14
	v_addc_co_u32_e32 v13, vcc, v15, v2, vcc
	v_cmp_eq_u64_e32 vcc, 0, v[12:13]
	v_cndmask_b32_e32 v13, v13, v15, vcc
	v_cndmask_b32_e32 v12, v12, v14, vcc
	v_and_b32_e32 v2, v13, v9
	v_and_b32_e32 v8, v12, v8
	v_mul_lo_u32 v2, v2, 24
	v_mul_hi_u32 v9, v8, 24
	v_mul_lo_u32 v8, v8, 24
	s_waitcnt vmcnt(1)
	v_mov_b32_e32 v14, v16
	v_mov_b32_e32 v15, v17
	v_add_u32_e32 v2, v9, v2
	s_waitcnt vmcnt(0)
	v_add_co_u32_e32 v8, vcc, v18, v8
	v_addc_co_u32_e32 v9, vcc, v19, v2, vcc
	global_store_dwordx2 v[8:9], v[16:17], off
	s_waitcnt vmcnt(0)
	global_atomic_cmpswap_x2 v[14:15], v3, v[12:15], s[44:45] offset:24 glc
	s_waitcnt vmcnt(0)
	v_cmp_ne_u64_e32 vcc, v[14:15], v[16:17]
	s_and_b64 exec, exec, vcc
	s_cbranch_execz .LBB6_1180
; %bb.1260:                             ;   in Loop: Header=BB6_1181 Depth=1
	s_mov_b64 s[4:5], 0
.LBB6_1261:                             ;   Parent Loop BB6_1181 Depth=1
                                        ; =>  This Inner Loop Header: Depth=2
	s_sleep 1
	global_store_dwordx2 v[8:9], v[14:15], off
	s_waitcnt vmcnt(0)
	global_atomic_cmpswap_x2 v[16:17], v3, v[12:15], s[44:45] offset:24 glc
	s_waitcnt vmcnt(0)
	v_cmp_eq_u64_e32 vcc, v[16:17], v[14:15]
	v_mov_b32_e32 v14, v16
	s_or_b64 s[4:5], vcc, s[4:5]
	v_mov_b32_e32 v15, v17
	s_andn2_b64 exec, exec, s[4:5]
	s_cbranch_execnz .LBB6_1261
	s_branch .LBB6_1180
.LBB6_1262:
	s_branch .LBB6_1290
.LBB6_1263:
                                        ; implicit-def: $vgpr6_vgpr7
	s_cbranch_execz .LBB6_1290
; %bb.1264:
	v_readfirstlane_b32 s4, v51
	v_mov_b32_e32 v10, 0
	v_mov_b32_e32 v11, 0
	v_cmp_eq_u32_e64 s[4:5], s4, v51
	s_and_saveexec_b64 s[10:11], s[4:5]
	s_cbranch_execz .LBB6_1270
; %bb.1265:
	v_mov_b32_e32 v2, 0
	global_load_dwordx2 v[8:9], v2, s[44:45] offset:24 glc
	s_waitcnt vmcnt(0)
	buffer_wbinvl1_vol
	global_load_dwordx2 v[6:7], v2, s[44:45] offset:40
	global_load_dwordx2 v[10:11], v2, s[44:45]
	s_waitcnt vmcnt(1)
	v_and_b32_e32 v3, v6, v8
	v_and_b32_e32 v6, v7, v9
	v_mul_lo_u32 v6, v6, 24
	v_mul_hi_u32 v7, v3, 24
	v_mul_lo_u32 v3, v3, 24
	v_add_u32_e32 v7, v7, v6
	s_waitcnt vmcnt(0)
	v_add_co_u32_e32 v6, vcc, v10, v3
	v_addc_co_u32_e32 v7, vcc, v11, v7, vcc
	global_load_dwordx2 v[6:7], v[6:7], off glc
	s_waitcnt vmcnt(0)
	global_atomic_cmpswap_x2 v[10:11], v2, v[6:9], s[44:45] offset:24 glc
	s_waitcnt vmcnt(0)
	buffer_wbinvl1_vol
	v_cmp_ne_u64_e32 vcc, v[10:11], v[8:9]
	s_and_saveexec_b64 s[16:17], vcc
	s_cbranch_execz .LBB6_1269
; %bb.1266:
	s_mov_b64 s[18:19], 0
.LBB6_1267:                             ; =>This Inner Loop Header: Depth=1
	s_sleep 1
	global_load_dwordx2 v[6:7], v2, s[44:45] offset:40
	global_load_dwordx2 v[12:13], v2, s[44:45]
	v_mov_b32_e32 v8, v10
	v_mov_b32_e32 v9, v11
	s_waitcnt vmcnt(1)
	v_and_b32_e32 v3, v6, v8
	s_waitcnt vmcnt(0)
	v_mad_u64_u32 v[10:11], s[20:21], v3, 24, v[12:13]
	v_and_b32_e32 v6, v7, v9
	v_mov_b32_e32 v3, v11
	v_mad_u64_u32 v[6:7], s[20:21], v6, 24, v[3:4]
	v_mov_b32_e32 v11, v6
	global_load_dwordx2 v[6:7], v[10:11], off glc
	s_waitcnt vmcnt(0)
	global_atomic_cmpswap_x2 v[10:11], v2, v[6:9], s[44:45] offset:24 glc
	s_waitcnt vmcnt(0)
	buffer_wbinvl1_vol
	v_cmp_eq_u64_e32 vcc, v[10:11], v[8:9]
	s_or_b64 s[18:19], vcc, s[18:19]
	s_andn2_b64 exec, exec, s[18:19]
	s_cbranch_execnz .LBB6_1267
; %bb.1268:
	s_or_b64 exec, exec, s[18:19]
.LBB6_1269:
	s_or_b64 exec, exec, s[16:17]
.LBB6_1270:
	s_or_b64 exec, exec, s[10:11]
	v_mov_b32_e32 v2, 0
	global_load_dwordx2 v[12:13], v2, s[44:45] offset:40
	global_load_dwordx4 v[6:9], v2, s[44:45]
	v_readfirstlane_b32 s10, v10
	v_readfirstlane_b32 s11, v11
	s_mov_b64 s[16:17], exec
	s_waitcnt vmcnt(1)
	v_readfirstlane_b32 s18, v12
	v_readfirstlane_b32 s19, v13
	s_and_b64 s[18:19], s[10:11], s[18:19]
	s_mul_i32 s15, s19, 24
	s_mul_hi_u32 s20, s18, 24
	s_mul_i32 s21, s18, 24
	s_add_i32 s15, s20, s15
	v_mov_b32_e32 v3, s15
	s_waitcnt vmcnt(0)
	v_add_co_u32_e32 v10, vcc, s21, v6
	v_addc_co_u32_e32 v11, vcc, v7, v3, vcc
	s_and_saveexec_b64 s[20:21], s[4:5]
	s_cbranch_execz .LBB6_1272
; %bb.1271:
	v_mov_b32_e32 v12, s16
	v_mov_b32_e32 v13, s17
	;; [unrolled: 1-line block ×4, first 2 shown]
	global_store_dwordx4 v[10:11], v[12:15], off offset:8
.LBB6_1272:
	s_or_b64 exec, exec, s[20:21]
	s_lshl_b64 s[16:17], s[18:19], 12
	v_mov_b32_e32 v3, s17
	v_add_co_u32_e32 v12, vcc, s16, v8
	v_addc_co_u32_e32 v13, vcc, v9, v3, vcc
	s_movk_i32 s15, 0xff1f
	v_and_or_b32 v0, v0, s15, 32
	s_mov_b32 s16, 0
	v_mov_b32_e32 v3, v2
	v_readfirstlane_b32 s20, v12
	v_readfirstlane_b32 s21, v13
	v_add_co_u32_e32 v8, vcc, v12, v50
	s_mov_b32 s17, s16
	s_mov_b32 s18, s16
	;; [unrolled: 1-line block ×3, first 2 shown]
	s_nop 0
	global_store_dwordx4 v50, v[0:3], s[20:21]
	v_addc_co_u32_e32 v9, vcc, 0, v13, vcc
	v_mov_b32_e32 v0, s16
	v_mov_b32_e32 v1, s17
	;; [unrolled: 1-line block ×4, first 2 shown]
	global_store_dwordx4 v50, v[0:3], s[20:21] offset:16
	global_store_dwordx4 v50, v[0:3], s[20:21] offset:32
	;; [unrolled: 1-line block ×3, first 2 shown]
	s_and_saveexec_b64 s[16:17], s[4:5]
	s_cbranch_execz .LBB6_1280
; %bb.1273:
	v_mov_b32_e32 v12, 0
	global_load_dwordx2 v[15:16], v12, s[44:45] offset:32 glc
	global_load_dwordx2 v[0:1], v12, s[44:45] offset:40
	v_mov_b32_e32 v13, s10
	v_mov_b32_e32 v14, s11
	s_waitcnt vmcnt(0)
	v_readfirstlane_b32 s18, v0
	v_readfirstlane_b32 s19, v1
	s_and_b64 s[18:19], s[18:19], s[10:11]
	s_mul_i32 s15, s19, 24
	s_mul_hi_u32 s19, s18, 24
	s_mul_i32 s18, s18, 24
	s_add_i32 s15, s19, s15
	v_mov_b32_e32 v0, s15
	v_add_co_u32_e32 v6, vcc, s18, v6
	v_addc_co_u32_e32 v7, vcc, v7, v0, vcc
	global_store_dwordx2 v[6:7], v[15:16], off
	s_waitcnt vmcnt(0)
	global_atomic_cmpswap_x2 v[2:3], v12, v[13:16], s[44:45] offset:32 glc
	s_waitcnt vmcnt(0)
	v_cmp_ne_u64_e32 vcc, v[2:3], v[15:16]
	s_and_saveexec_b64 s[18:19], vcc
	s_cbranch_execz .LBB6_1276
; %bb.1274:
	s_mov_b64 s[20:21], 0
.LBB6_1275:                             ; =>This Inner Loop Header: Depth=1
	s_sleep 1
	global_store_dwordx2 v[6:7], v[2:3], off
	v_mov_b32_e32 v0, s10
	v_mov_b32_e32 v1, s11
	s_waitcnt vmcnt(0)
	global_atomic_cmpswap_x2 v[0:1], v12, v[0:3], s[44:45] offset:32 glc
	s_waitcnt vmcnt(0)
	v_cmp_eq_u64_e32 vcc, v[0:1], v[2:3]
	v_mov_b32_e32 v3, v1
	s_or_b64 s[20:21], vcc, s[20:21]
	v_mov_b32_e32 v2, v0
	s_andn2_b64 exec, exec, s[20:21]
	s_cbranch_execnz .LBB6_1275
.LBB6_1276:
	s_or_b64 exec, exec, s[18:19]
	v_mov_b32_e32 v3, 0
	global_load_dwordx2 v[0:1], v3, s[44:45] offset:16
	s_mov_b64 s[18:19], exec
	v_mbcnt_lo_u32_b32 v2, s18, 0
	v_mbcnt_hi_u32_b32 v2, s19, v2
	v_cmp_eq_u32_e32 vcc, 0, v2
	s_and_saveexec_b64 s[20:21], vcc
	s_cbranch_execz .LBB6_1278
; %bb.1277:
	s_bcnt1_i32_b64 s15, s[18:19]
	v_mov_b32_e32 v2, s15
	s_waitcnt vmcnt(0)
	global_atomic_add_x2 v[0:1], v[2:3], off offset:8
.LBB6_1278:
	s_or_b64 exec, exec, s[20:21]
	s_waitcnt vmcnt(0)
	global_load_dwordx2 v[2:3], v[0:1], off offset:16
	s_waitcnt vmcnt(0)
	v_cmp_eq_u64_e32 vcc, 0, v[2:3]
	s_cbranch_vccnz .LBB6_1280
; %bb.1279:
	global_load_dword v0, v[0:1], off offset:24
	v_mov_b32_e32 v1, 0
	s_waitcnt vmcnt(0)
	global_store_dwordx2 v[2:3], v[0:1], off
	v_and_b32_e32 v0, 0xffffff, v0
	v_readfirstlane_b32 m0, v0
	s_sendmsg sendmsg(MSG_INTERRUPT)
.LBB6_1280:
	s_or_b64 exec, exec, s[16:17]
	s_branch .LBB6_1284
.LBB6_1281:                             ;   in Loop: Header=BB6_1284 Depth=1
	s_or_b64 exec, exec, s[16:17]
	v_readfirstlane_b32 s15, v0
	s_cmp_eq_u32 s15, 0
	s_cbranch_scc1 .LBB6_1283
; %bb.1282:                             ;   in Loop: Header=BB6_1284 Depth=1
	s_sleep 1
	s_cbranch_execnz .LBB6_1284
	s_branch .LBB6_1286
.LBB6_1283:
	s_branch .LBB6_1286
.LBB6_1284:                             ; =>This Inner Loop Header: Depth=1
	v_mov_b32_e32 v0, 1
	s_and_saveexec_b64 s[16:17], s[4:5]
	s_cbranch_execz .LBB6_1281
; %bb.1285:                             ;   in Loop: Header=BB6_1284 Depth=1
	global_load_dword v0, v[10:11], off offset:20 glc
	s_waitcnt vmcnt(0)
	buffer_wbinvl1_vol
	v_and_b32_e32 v0, 1, v0
	s_branch .LBB6_1281
.LBB6_1286:
	global_load_dwordx2 v[6:7], v[8:9], off
	s_and_saveexec_b64 s[16:17], s[4:5]
	s_cbranch_execz .LBB6_1289
; %bb.1287:
	v_mov_b32_e32 v10, 0
	global_load_dwordx2 v[2:3], v10, s[44:45] offset:40
	global_load_dwordx2 v[11:12], v10, s[44:45] offset:24 glc
	global_load_dwordx2 v[8:9], v10, s[44:45]
	v_mov_b32_e32 v1, s11
	s_mov_b64 s[4:5], 0
	s_waitcnt vmcnt(2)
	v_add_co_u32_e32 v13, vcc, 1, v2
	v_addc_co_u32_e32 v14, vcc, 0, v3, vcc
	v_add_co_u32_e32 v0, vcc, s10, v13
	v_addc_co_u32_e32 v1, vcc, v14, v1, vcc
	v_cmp_eq_u64_e32 vcc, 0, v[0:1]
	v_cndmask_b32_e32 v1, v1, v14, vcc
	v_cndmask_b32_e32 v0, v0, v13, vcc
	v_and_b32_e32 v3, v1, v3
	v_and_b32_e32 v2, v0, v2
	v_mul_lo_u32 v3, v3, 24
	v_mul_hi_u32 v13, v2, 24
	v_mul_lo_u32 v14, v2, 24
	s_waitcnt vmcnt(1)
	v_mov_b32_e32 v2, v11
	v_add_u32_e32 v3, v13, v3
	s_waitcnt vmcnt(0)
	v_add_co_u32_e32 v8, vcc, v8, v14
	v_addc_co_u32_e32 v9, vcc, v9, v3, vcc
	global_store_dwordx2 v[8:9], v[11:12], off
	v_mov_b32_e32 v3, v12
	s_waitcnt vmcnt(0)
	global_atomic_cmpswap_x2 v[2:3], v10, v[0:3], s[44:45] offset:24 glc
	s_waitcnt vmcnt(0)
	v_cmp_ne_u64_e32 vcc, v[2:3], v[11:12]
	s_and_b64 exec, exec, vcc
	s_cbranch_execz .LBB6_1289
.LBB6_1288:                             ; =>This Inner Loop Header: Depth=1
	s_sleep 1
	global_store_dwordx2 v[8:9], v[2:3], off
	s_waitcnt vmcnt(0)
	global_atomic_cmpswap_x2 v[11:12], v10, v[0:3], s[44:45] offset:24 glc
	s_waitcnt vmcnt(0)
	v_cmp_eq_u64_e32 vcc, v[11:12], v[2:3]
	v_mov_b32_e32 v2, v11
	s_or_b64 s[4:5], vcc, s[4:5]
	v_mov_b32_e32 v3, v12
	s_andn2_b64 exec, exec, s[4:5]
	s_cbranch_execnz .LBB6_1288
.LBB6_1289:
	s_or_b64 exec, exec, s[16:17]
.LBB6_1290:
	v_readfirstlane_b32 s4, v51
	v_mov_b32_e32 v10, 0
	v_mov_b32_e32 v11, 0
	v_cmp_eq_u32_e64 s[4:5], s4, v51
	s_and_saveexec_b64 s[10:11], s[4:5]
	s_cbranch_execz .LBB6_1296
; %bb.1291:
	s_waitcnt vmcnt(0)
	v_mov_b32_e32 v0, 0
	global_load_dwordx2 v[12:13], v0, s[44:45] offset:24 glc
	s_waitcnt vmcnt(0)
	buffer_wbinvl1_vol
	global_load_dwordx2 v[1:2], v0, s[44:45] offset:40
	global_load_dwordx2 v[8:9], v0, s[44:45]
	s_waitcnt vmcnt(1)
	v_and_b32_e32 v1, v1, v12
	v_and_b32_e32 v2, v2, v13
	v_mul_lo_u32 v2, v2, 24
	v_mul_hi_u32 v3, v1, 24
	v_mul_lo_u32 v1, v1, 24
	v_add_u32_e32 v2, v3, v2
	s_waitcnt vmcnt(0)
	v_add_co_u32_e32 v1, vcc, v8, v1
	v_addc_co_u32_e32 v2, vcc, v9, v2, vcc
	global_load_dwordx2 v[10:11], v[1:2], off glc
	s_waitcnt vmcnt(0)
	global_atomic_cmpswap_x2 v[10:11], v0, v[10:13], s[44:45] offset:24 glc
	s_waitcnt vmcnt(0)
	buffer_wbinvl1_vol
	v_cmp_ne_u64_e32 vcc, v[10:11], v[12:13]
	s_and_saveexec_b64 s[16:17], vcc
	s_cbranch_execz .LBB6_1295
; %bb.1292:
	s_mov_b64 s[18:19], 0
.LBB6_1293:                             ; =>This Inner Loop Header: Depth=1
	s_sleep 1
	global_load_dwordx2 v[1:2], v0, s[44:45] offset:40
	global_load_dwordx2 v[8:9], v0, s[44:45]
	v_mov_b32_e32 v13, v11
	v_mov_b32_e32 v12, v10
	s_waitcnt vmcnt(1)
	v_and_b32_e32 v1, v1, v12
	s_waitcnt vmcnt(0)
	v_mad_u64_u32 v[8:9], s[20:21], v1, 24, v[8:9]
	v_and_b32_e32 v2, v2, v13
	v_mov_b32_e32 v1, v9
	v_mad_u64_u32 v[1:2], s[20:21], v2, 24, v[1:2]
	v_mov_b32_e32 v9, v1
	global_load_dwordx2 v[10:11], v[8:9], off glc
	s_waitcnt vmcnt(0)
	global_atomic_cmpswap_x2 v[10:11], v0, v[10:13], s[44:45] offset:24 glc
	s_waitcnt vmcnt(0)
	buffer_wbinvl1_vol
	v_cmp_eq_u64_e32 vcc, v[10:11], v[12:13]
	s_or_b64 s[18:19], vcc, s[18:19]
	s_andn2_b64 exec, exec, s[18:19]
	s_cbranch_execnz .LBB6_1293
; %bb.1294:
	s_or_b64 exec, exec, s[18:19]
.LBB6_1295:
	s_or_b64 exec, exec, s[16:17]
.LBB6_1296:
	s_or_b64 exec, exec, s[10:11]
	s_waitcnt vmcnt(0)
	v_mov_b32_e32 v9, 0
	global_load_dwordx2 v[12:13], v9, s[44:45] offset:40
	global_load_dwordx4 v[0:3], v9, s[44:45]
	v_readfirstlane_b32 s10, v10
	v_readfirstlane_b32 s11, v11
	s_mov_b64 s[16:17], exec
	s_waitcnt vmcnt(1)
	v_readfirstlane_b32 s18, v12
	v_readfirstlane_b32 s19, v13
	s_and_b64 s[18:19], s[10:11], s[18:19]
	s_mul_i32 s15, s19, 24
	s_mul_hi_u32 s20, s18, 24
	s_mul_i32 s21, s18, 24
	s_add_i32 s15, s20, s15
	v_mov_b32_e32 v8, s15
	s_waitcnt vmcnt(0)
	v_add_co_u32_e32 v10, vcc, s21, v0
	v_addc_co_u32_e32 v11, vcc, v1, v8, vcc
	s_and_saveexec_b64 s[20:21], s[4:5]
	s_cbranch_execz .LBB6_1298
; %bb.1297:
	v_mov_b32_e32 v12, s16
	v_mov_b32_e32 v13, s17
	;; [unrolled: 1-line block ×4, first 2 shown]
	global_store_dwordx4 v[10:11], v[12:15], off offset:8
.LBB6_1298:
	s_or_b64 exec, exec, s[20:21]
	s_lshl_b64 s[16:17], s[18:19], 12
	v_mov_b32_e32 v8, s17
	v_add_co_u32_e32 v2, vcc, s16, v2
	v_addc_co_u32_e32 v3, vcc, v3, v8, vcc
	s_movk_i32 s15, 0xff1d
	v_and_or_b32 v6, v6, s15, 34
	s_mov_b32 s16, 0
	v_mov_b32_e32 v8, 10
	v_readfirstlane_b32 s20, v2
	v_readfirstlane_b32 s21, v3
	s_mov_b32 s17, s16
	s_mov_b32 s18, s16
	;; [unrolled: 1-line block ×3, first 2 shown]
	s_nop 1
	global_store_dwordx4 v50, v[6:9], s[20:21]
	s_nop 0
	v_mov_b32_e32 v6, s16
	v_mov_b32_e32 v7, s17
	;; [unrolled: 1-line block ×4, first 2 shown]
	global_store_dwordx4 v50, v[6:9], s[20:21] offset:16
	global_store_dwordx4 v50, v[6:9], s[20:21] offset:32
	;; [unrolled: 1-line block ×3, first 2 shown]
	s_and_saveexec_b64 s[16:17], s[4:5]
	s_cbranch_execz .LBB6_1306
; %bb.1299:
	v_mov_b32_e32 v8, 0
	global_load_dwordx2 v[14:15], v8, s[44:45] offset:32 glc
	global_load_dwordx2 v[2:3], v8, s[44:45] offset:40
	v_mov_b32_e32 v12, s10
	v_mov_b32_e32 v13, s11
	s_waitcnt vmcnt(0)
	v_readfirstlane_b32 s18, v2
	v_readfirstlane_b32 s19, v3
	s_and_b64 s[18:19], s[18:19], s[10:11]
	s_mul_i32 s15, s19, 24
	s_mul_hi_u32 s19, s18, 24
	s_mul_i32 s18, s18, 24
	s_add_i32 s15, s19, s15
	v_mov_b32_e32 v2, s15
	v_add_co_u32_e32 v6, vcc, s18, v0
	v_addc_co_u32_e32 v7, vcc, v1, v2, vcc
	global_store_dwordx2 v[6:7], v[14:15], off
	s_waitcnt vmcnt(0)
	global_atomic_cmpswap_x2 v[2:3], v8, v[12:15], s[44:45] offset:32 glc
	s_waitcnt vmcnt(0)
	v_cmp_ne_u64_e32 vcc, v[2:3], v[14:15]
	s_and_saveexec_b64 s[18:19], vcc
	s_cbranch_execz .LBB6_1302
; %bb.1300:
	s_mov_b64 s[20:21], 0
.LBB6_1301:                             ; =>This Inner Loop Header: Depth=1
	s_sleep 1
	global_store_dwordx2 v[6:7], v[2:3], off
	v_mov_b32_e32 v0, s10
	v_mov_b32_e32 v1, s11
	s_waitcnt vmcnt(0)
	global_atomic_cmpswap_x2 v[0:1], v8, v[0:3], s[44:45] offset:32 glc
	s_waitcnt vmcnt(0)
	v_cmp_eq_u64_e32 vcc, v[0:1], v[2:3]
	v_mov_b32_e32 v3, v1
	s_or_b64 s[20:21], vcc, s[20:21]
	v_mov_b32_e32 v2, v0
	s_andn2_b64 exec, exec, s[20:21]
	s_cbranch_execnz .LBB6_1301
.LBB6_1302:
	s_or_b64 exec, exec, s[18:19]
	v_mov_b32_e32 v3, 0
	global_load_dwordx2 v[0:1], v3, s[44:45] offset:16
	s_mov_b64 s[18:19], exec
	v_mbcnt_lo_u32_b32 v2, s18, 0
	v_mbcnt_hi_u32_b32 v2, s19, v2
	v_cmp_eq_u32_e32 vcc, 0, v2
	s_and_saveexec_b64 s[20:21], vcc
	s_cbranch_execz .LBB6_1304
; %bb.1303:
	s_bcnt1_i32_b64 s15, s[18:19]
	v_mov_b32_e32 v2, s15
	s_waitcnt vmcnt(0)
	global_atomic_add_x2 v[0:1], v[2:3], off offset:8
.LBB6_1304:
	s_or_b64 exec, exec, s[20:21]
	s_waitcnt vmcnt(0)
	global_load_dwordx2 v[2:3], v[0:1], off offset:16
	s_waitcnt vmcnt(0)
	v_cmp_eq_u64_e32 vcc, 0, v[2:3]
	s_cbranch_vccnz .LBB6_1306
; %bb.1305:
	global_load_dword v0, v[0:1], off offset:24
	v_mov_b32_e32 v1, 0
	s_waitcnt vmcnt(0)
	global_store_dwordx2 v[2:3], v[0:1], off
	v_and_b32_e32 v0, 0xffffff, v0
	v_readfirstlane_b32 m0, v0
	s_sendmsg sendmsg(MSG_INTERRUPT)
.LBB6_1306:
	s_or_b64 exec, exec, s[16:17]
	s_branch .LBB6_1310
.LBB6_1307:                             ;   in Loop: Header=BB6_1310 Depth=1
	s_or_b64 exec, exec, s[16:17]
	v_readfirstlane_b32 s15, v0
	s_cmp_eq_u32 s15, 0
	s_cbranch_scc1 .LBB6_1309
; %bb.1308:                             ;   in Loop: Header=BB6_1310 Depth=1
	s_sleep 1
	s_cbranch_execnz .LBB6_1310
	s_branch .LBB6_1312
.LBB6_1309:
	s_branch .LBB6_1312
.LBB6_1310:                             ; =>This Inner Loop Header: Depth=1
	v_mov_b32_e32 v0, 1
	s_and_saveexec_b64 s[16:17], s[4:5]
	s_cbranch_execz .LBB6_1307
; %bb.1311:                             ;   in Loop: Header=BB6_1310 Depth=1
	global_load_dword v0, v[10:11], off offset:20 glc
	s_waitcnt vmcnt(0)
	buffer_wbinvl1_vol
	v_and_b32_e32 v0, 1, v0
	s_branch .LBB6_1307
.LBB6_1312:
	s_and_saveexec_b64 s[16:17], s[4:5]
	s_cbranch_execz .LBB6_1315
; %bb.1313:
	v_mov_b32_e32 v8, 0
	global_load_dwordx2 v[2:3], v8, s[44:45] offset:40
	global_load_dwordx2 v[9:10], v8, s[44:45] offset:24 glc
	global_load_dwordx2 v[6:7], v8, s[44:45]
	v_mov_b32_e32 v1, s11
	s_mov_b64 s[4:5], 0
	s_waitcnt vmcnt(2)
	v_add_co_u32_e32 v11, vcc, 1, v2
	v_addc_co_u32_e32 v12, vcc, 0, v3, vcc
	v_add_co_u32_e32 v0, vcc, s10, v11
	v_addc_co_u32_e32 v1, vcc, v12, v1, vcc
	v_cmp_eq_u64_e32 vcc, 0, v[0:1]
	v_cndmask_b32_e32 v1, v1, v12, vcc
	v_cndmask_b32_e32 v0, v0, v11, vcc
	v_and_b32_e32 v3, v1, v3
	v_and_b32_e32 v2, v0, v2
	v_mul_lo_u32 v3, v3, 24
	v_mul_hi_u32 v11, v2, 24
	v_mul_lo_u32 v12, v2, 24
	s_waitcnt vmcnt(1)
	v_mov_b32_e32 v2, v9
	v_add_u32_e32 v3, v11, v3
	s_waitcnt vmcnt(0)
	v_add_co_u32_e32 v6, vcc, v6, v12
	v_addc_co_u32_e32 v7, vcc, v7, v3, vcc
	global_store_dwordx2 v[6:7], v[9:10], off
	v_mov_b32_e32 v3, v10
	s_waitcnt vmcnt(0)
	global_atomic_cmpswap_x2 v[2:3], v8, v[0:3], s[44:45] offset:24 glc
	s_waitcnt vmcnt(0)
	v_cmp_ne_u64_e32 vcc, v[2:3], v[9:10]
	s_and_b64 exec, exec, vcc
	s_cbranch_execz .LBB6_1315
.LBB6_1314:                             ; =>This Inner Loop Header: Depth=1
	s_sleep 1
	global_store_dwordx2 v[6:7], v[2:3], off
	s_waitcnt vmcnt(0)
	global_atomic_cmpswap_x2 v[9:10], v8, v[0:3], s[44:45] offset:24 glc
	s_waitcnt vmcnt(0)
	v_cmp_eq_u64_e32 vcc, v[9:10], v[2:3]
	v_mov_b32_e32 v2, v9
	s_or_b64 s[4:5], vcc, s[4:5]
	v_mov_b32_e32 v3, v10
	s_andn2_b64 exec, exec, s[4:5]
	s_cbranch_execnz .LBB6_1314
.LBB6_1315:
	s_or_b64 exec, exec, s[16:17]
	v_readfirstlane_b32 s4, v51
	v_mov_b32_e32 v8, 0
	v_mov_b32_e32 v9, 0
	v_cmp_eq_u32_e64 s[4:5], s4, v51
	s_and_saveexec_b64 s[10:11], s[4:5]
	s_cbranch_execz .LBB6_1321
; %bb.1316:
	v_mov_b32_e32 v0, 0
	global_load_dwordx2 v[10:11], v0, s[44:45] offset:24 glc
	s_waitcnt vmcnt(0)
	buffer_wbinvl1_vol
	global_load_dwordx2 v[1:2], v0, s[44:45] offset:40
	global_load_dwordx2 v[6:7], v0, s[44:45]
	s_waitcnt vmcnt(1)
	v_and_b32_e32 v1, v1, v10
	v_and_b32_e32 v2, v2, v11
	v_mul_lo_u32 v2, v2, 24
	v_mul_hi_u32 v3, v1, 24
	v_mul_lo_u32 v1, v1, 24
	v_add_u32_e32 v2, v3, v2
	s_waitcnt vmcnt(0)
	v_add_co_u32_e32 v1, vcc, v6, v1
	v_addc_co_u32_e32 v2, vcc, v7, v2, vcc
	global_load_dwordx2 v[8:9], v[1:2], off glc
	s_waitcnt vmcnt(0)
	global_atomic_cmpswap_x2 v[8:9], v0, v[8:11], s[44:45] offset:24 glc
	s_waitcnt vmcnt(0)
	buffer_wbinvl1_vol
	v_cmp_ne_u64_e32 vcc, v[8:9], v[10:11]
	s_and_saveexec_b64 s[16:17], vcc
	s_cbranch_execz .LBB6_1320
; %bb.1317:
	s_mov_b64 s[18:19], 0
.LBB6_1318:                             ; =>This Inner Loop Header: Depth=1
	s_sleep 1
	global_load_dwordx2 v[1:2], v0, s[44:45] offset:40
	global_load_dwordx2 v[6:7], v0, s[44:45]
	v_mov_b32_e32 v11, v9
	v_mov_b32_e32 v10, v8
	s_waitcnt vmcnt(1)
	v_and_b32_e32 v1, v1, v10
	s_waitcnt vmcnt(0)
	v_mad_u64_u32 v[6:7], s[20:21], v1, 24, v[6:7]
	v_and_b32_e32 v2, v2, v11
	v_mov_b32_e32 v1, v7
	v_mad_u64_u32 v[1:2], s[20:21], v2, 24, v[1:2]
	v_mov_b32_e32 v7, v1
	global_load_dwordx2 v[8:9], v[6:7], off glc
	s_waitcnt vmcnt(0)
	global_atomic_cmpswap_x2 v[8:9], v0, v[8:11], s[44:45] offset:24 glc
	s_waitcnt vmcnt(0)
	buffer_wbinvl1_vol
	v_cmp_eq_u64_e32 vcc, v[8:9], v[10:11]
	s_or_b64 s[18:19], vcc, s[18:19]
	s_andn2_b64 exec, exec, s[18:19]
	s_cbranch_execnz .LBB6_1318
; %bb.1319:
	s_or_b64 exec, exec, s[18:19]
.LBB6_1320:
	s_or_b64 exec, exec, s[16:17]
.LBB6_1321:
	s_or_b64 exec, exec, s[10:11]
	v_mov_b32_e32 v7, 0
	global_load_dwordx2 v[10:11], v7, s[44:45] offset:40
	global_load_dwordx4 v[0:3], v7, s[44:45]
	v_readfirstlane_b32 s10, v8
	v_readfirstlane_b32 s11, v9
	s_mov_b64 s[16:17], exec
	s_waitcnt vmcnt(1)
	v_readfirstlane_b32 s18, v10
	v_readfirstlane_b32 s19, v11
	s_and_b64 s[18:19], s[10:11], s[18:19]
	s_mul_i32 s15, s19, 24
	s_mul_hi_u32 s20, s18, 24
	s_mul_i32 s21, s18, 24
	s_add_i32 s15, s20, s15
	v_mov_b32_e32 v6, s15
	s_waitcnt vmcnt(0)
	v_add_co_u32_e32 v10, vcc, s21, v0
	v_addc_co_u32_e32 v11, vcc, v1, v6, vcc
	s_and_saveexec_b64 s[20:21], s[4:5]
	s_cbranch_execz .LBB6_1323
; %bb.1322:
	v_mov_b32_e32 v12, s16
	v_mov_b32_e32 v13, s17
	;; [unrolled: 1-line block ×4, first 2 shown]
	global_store_dwordx4 v[10:11], v[12:15], off offset:8
.LBB6_1323:
	s_or_b64 exec, exec, s[20:21]
	s_lshl_b64 s[16:17], s[18:19], 12
	v_mov_b32_e32 v6, s17
	v_add_co_u32_e32 v2, vcc, s16, v2
	v_addc_co_u32_e32 v3, vcc, v3, v6, vcc
	s_mov_b32 s16, 0
	v_mov_b32_e32 v6, 33
	v_mov_b32_e32 v8, v7
	;; [unrolled: 1-line block ×3, first 2 shown]
	v_readfirstlane_b32 s20, v2
	v_readfirstlane_b32 s21, v3
	v_add_co_u32_e32 v12, vcc, v2, v50
	s_mov_b32 s17, s16
	s_mov_b32 s18, s16
	;; [unrolled: 1-line block ×3, first 2 shown]
	s_nop 0
	global_store_dwordx4 v50, v[6:9], s[20:21]
	v_addc_co_u32_e32 v13, vcc, 0, v3, vcc
	v_mov_b32_e32 v6, s16
	v_mov_b32_e32 v7, s17
	;; [unrolled: 1-line block ×4, first 2 shown]
	global_store_dwordx4 v50, v[6:9], s[20:21] offset:16
	global_store_dwordx4 v50, v[6:9], s[20:21] offset:32
	;; [unrolled: 1-line block ×3, first 2 shown]
	s_and_saveexec_b64 s[16:17], s[4:5]
	s_cbranch_execz .LBB6_1331
; %bb.1324:
	v_mov_b32_e32 v8, 0
	global_load_dwordx2 v[16:17], v8, s[44:45] offset:32 glc
	global_load_dwordx2 v[2:3], v8, s[44:45] offset:40
	v_mov_b32_e32 v14, s10
	v_mov_b32_e32 v15, s11
	s_waitcnt vmcnt(0)
	v_readfirstlane_b32 s18, v2
	v_readfirstlane_b32 s19, v3
	s_and_b64 s[18:19], s[18:19], s[10:11]
	s_mul_i32 s15, s19, 24
	s_mul_hi_u32 s19, s18, 24
	s_mul_i32 s18, s18, 24
	s_add_i32 s15, s19, s15
	v_mov_b32_e32 v2, s15
	v_add_co_u32_e32 v6, vcc, s18, v0
	v_addc_co_u32_e32 v7, vcc, v1, v2, vcc
	global_store_dwordx2 v[6:7], v[16:17], off
	s_waitcnt vmcnt(0)
	global_atomic_cmpswap_x2 v[2:3], v8, v[14:17], s[44:45] offset:32 glc
	s_waitcnt vmcnt(0)
	v_cmp_ne_u64_e32 vcc, v[2:3], v[16:17]
	s_and_saveexec_b64 s[18:19], vcc
	s_cbranch_execz .LBB6_1327
; %bb.1325:
	s_mov_b64 s[20:21], 0
.LBB6_1326:                             ; =>This Inner Loop Header: Depth=1
	s_sleep 1
	global_store_dwordx2 v[6:7], v[2:3], off
	v_mov_b32_e32 v0, s10
	v_mov_b32_e32 v1, s11
	s_waitcnt vmcnt(0)
	global_atomic_cmpswap_x2 v[0:1], v8, v[0:3], s[44:45] offset:32 glc
	s_waitcnt vmcnt(0)
	v_cmp_eq_u64_e32 vcc, v[0:1], v[2:3]
	v_mov_b32_e32 v3, v1
	s_or_b64 s[20:21], vcc, s[20:21]
	v_mov_b32_e32 v2, v0
	s_andn2_b64 exec, exec, s[20:21]
	s_cbranch_execnz .LBB6_1326
.LBB6_1327:
	s_or_b64 exec, exec, s[18:19]
	v_mov_b32_e32 v3, 0
	global_load_dwordx2 v[0:1], v3, s[44:45] offset:16
	s_mov_b64 s[18:19], exec
	v_mbcnt_lo_u32_b32 v2, s18, 0
	v_mbcnt_hi_u32_b32 v2, s19, v2
	v_cmp_eq_u32_e32 vcc, 0, v2
	s_and_saveexec_b64 s[20:21], vcc
	s_cbranch_execz .LBB6_1329
; %bb.1328:
	s_bcnt1_i32_b64 s15, s[18:19]
	v_mov_b32_e32 v2, s15
	s_waitcnt vmcnt(0)
	global_atomic_add_x2 v[0:1], v[2:3], off offset:8
.LBB6_1329:
	s_or_b64 exec, exec, s[20:21]
	s_waitcnt vmcnt(0)
	global_load_dwordx2 v[2:3], v[0:1], off offset:16
	s_waitcnt vmcnt(0)
	v_cmp_eq_u64_e32 vcc, 0, v[2:3]
	s_cbranch_vccnz .LBB6_1331
; %bb.1330:
	global_load_dword v0, v[0:1], off offset:24
	v_mov_b32_e32 v1, 0
	s_waitcnt vmcnt(0)
	global_store_dwordx2 v[2:3], v[0:1], off
	v_and_b32_e32 v0, 0xffffff, v0
	v_readfirstlane_b32 m0, v0
	s_sendmsg sendmsg(MSG_INTERRUPT)
.LBB6_1331:
	s_or_b64 exec, exec, s[16:17]
	s_branch .LBB6_1335
.LBB6_1332:                             ;   in Loop: Header=BB6_1335 Depth=1
	s_or_b64 exec, exec, s[16:17]
	v_readfirstlane_b32 s15, v0
	s_cmp_eq_u32 s15, 0
	s_cbranch_scc1 .LBB6_1334
; %bb.1333:                             ;   in Loop: Header=BB6_1335 Depth=1
	s_sleep 1
	s_cbranch_execnz .LBB6_1335
	s_branch .LBB6_1337
.LBB6_1334:
	s_branch .LBB6_1337
.LBB6_1335:                             ; =>This Inner Loop Header: Depth=1
	v_mov_b32_e32 v0, 1
	s_and_saveexec_b64 s[16:17], s[4:5]
	s_cbranch_execz .LBB6_1332
; %bb.1336:                             ;   in Loop: Header=BB6_1335 Depth=1
	global_load_dword v0, v[10:11], off offset:20 glc
	s_waitcnt vmcnt(0)
	buffer_wbinvl1_vol
	v_and_b32_e32 v0, 1, v0
	s_branch .LBB6_1332
.LBB6_1337:
	global_load_dwordx2 v[6:7], v[12:13], off
	s_and_saveexec_b64 s[16:17], s[4:5]
	s_cbranch_execz .LBB6_1340
; %bb.1338:
	v_mov_b32_e32 v10, 0
	global_load_dwordx2 v[2:3], v10, s[44:45] offset:40
	global_load_dwordx2 v[11:12], v10, s[44:45] offset:24 glc
	global_load_dwordx2 v[8:9], v10, s[44:45]
	v_mov_b32_e32 v1, s11
	s_mov_b64 s[4:5], 0
	s_waitcnt vmcnt(2)
	v_add_co_u32_e32 v13, vcc, 1, v2
	v_addc_co_u32_e32 v14, vcc, 0, v3, vcc
	v_add_co_u32_e32 v0, vcc, s10, v13
	v_addc_co_u32_e32 v1, vcc, v14, v1, vcc
	v_cmp_eq_u64_e32 vcc, 0, v[0:1]
	v_cndmask_b32_e32 v1, v1, v14, vcc
	v_cndmask_b32_e32 v0, v0, v13, vcc
	v_and_b32_e32 v3, v1, v3
	v_and_b32_e32 v2, v0, v2
	v_mul_lo_u32 v3, v3, 24
	v_mul_hi_u32 v13, v2, 24
	v_mul_lo_u32 v14, v2, 24
	s_waitcnt vmcnt(1)
	v_mov_b32_e32 v2, v11
	v_add_u32_e32 v3, v13, v3
	s_waitcnt vmcnt(0)
	v_add_co_u32_e32 v8, vcc, v8, v14
	v_addc_co_u32_e32 v9, vcc, v9, v3, vcc
	global_store_dwordx2 v[8:9], v[11:12], off
	v_mov_b32_e32 v3, v12
	s_waitcnt vmcnt(0)
	global_atomic_cmpswap_x2 v[2:3], v10, v[0:3], s[44:45] offset:24 glc
	s_waitcnt vmcnt(0)
	v_cmp_ne_u64_e32 vcc, v[2:3], v[11:12]
	s_and_b64 exec, exec, vcc
	s_cbranch_execz .LBB6_1340
.LBB6_1339:                             ; =>This Inner Loop Header: Depth=1
	s_sleep 1
	global_store_dwordx2 v[8:9], v[2:3], off
	s_waitcnt vmcnt(0)
	global_atomic_cmpswap_x2 v[11:12], v10, v[0:3], s[44:45] offset:24 glc
	s_waitcnt vmcnt(0)
	v_cmp_eq_u64_e32 vcc, v[11:12], v[2:3]
	v_mov_b32_e32 v2, v11
	s_or_b64 s[4:5], vcc, s[4:5]
	v_mov_b32_e32 v3, v12
	s_andn2_b64 exec, exec, s[4:5]
	s_cbranch_execnz .LBB6_1339
.LBB6_1340:
	s_or_b64 exec, exec, s[16:17]
	s_and_b64 vcc, exec, s[6:7]
	s_cbranch_vccz .LBB6_1425
; %bb.1341:
	s_waitcnt vmcnt(0)
	v_and_b32_e32 v31, 2, v6
	v_mov_b32_e32 v28, 0
	v_and_b32_e32 v0, -3, v6
	v_mov_b32_e32 v1, v7
	s_mov_b64 s[10:11], 3
	v_mov_b32_e32 v10, 2
	v_mov_b32_e32 v11, 1
	s_getpc_b64 s[6:7]
	s_add_u32 s6, s6, .str.7@rel32@lo+4
	s_addc_u32 s7, s7, .str.7@rel32@hi+12
	s_branch .LBB6_1343
.LBB6_1342:                             ;   in Loop: Header=BB6_1343 Depth=1
	s_or_b64 exec, exec, s[20:21]
	s_sub_u32 s10, s10, s16
	s_subb_u32 s11, s11, s17
	s_add_u32 s6, s6, s16
	s_addc_u32 s7, s7, s17
	s_cmp_lg_u64 s[10:11], 0
	s_cbranch_scc0 .LBB6_1424
.LBB6_1343:                             ; =>This Loop Header: Depth=1
                                        ;     Child Loop BB6_1346 Depth 2
                                        ;     Child Loop BB6_1353 Depth 2
	;; [unrolled: 1-line block ×11, first 2 shown]
	v_cmp_lt_u64_e64 s[4:5], s[10:11], 56
	v_cmp_gt_u64_e64 s[18:19], s[10:11], 7
	s_and_b64 s[4:5], s[4:5], exec
	s_cselect_b32 s17, s11, 0
	s_cselect_b32 s16, s10, 56
	s_and_b64 vcc, exec, s[18:19]
	s_cbranch_vccnz .LBB6_1348
; %bb.1344:                             ;   in Loop: Header=BB6_1343 Depth=1
	s_waitcnt vmcnt(0)
	v_mov_b32_e32 v2, 0
	s_cmp_eq_u64 s[10:11], 0
	v_mov_b32_e32 v3, 0
	s_mov_b64 s[4:5], 0
	s_cbranch_scc1 .LBB6_1347
; %bb.1345:                             ;   in Loop: Header=BB6_1343 Depth=1
	v_mov_b32_e32 v2, 0
	s_lshl_b64 s[18:19], s[16:17], 3
	s_mov_b64 s[20:21], 0
	v_mov_b32_e32 v3, 0
	s_mov_b64 s[22:23], s[6:7]
.LBB6_1346:                             ;   Parent Loop BB6_1343 Depth=1
                                        ; =>  This Inner Loop Header: Depth=2
	global_load_ubyte v8, v28, s[22:23]
	s_waitcnt vmcnt(0)
	v_and_b32_e32 v27, 0xffff, v8
	v_lshlrev_b64 v[8:9], s20, v[27:28]
	s_add_u32 s20, s20, 8
	s_addc_u32 s21, s21, 0
	s_add_u32 s22, s22, 1
	s_addc_u32 s23, s23, 0
	v_or_b32_e32 v2, v8, v2
	s_cmp_lg_u32 s18, s20
	v_or_b32_e32 v3, v9, v3
	s_cbranch_scc1 .LBB6_1346
.LBB6_1347:                             ;   in Loop: Header=BB6_1343 Depth=1
	s_mov_b32 s15, 0
	s_andn2_b64 vcc, exec, s[4:5]
	s_mov_b64 s[4:5], s[6:7]
	s_cbranch_vccz .LBB6_1349
	s_branch .LBB6_1350
.LBB6_1348:                             ;   in Loop: Header=BB6_1343 Depth=1
                                        ; implicit-def: $vgpr2_vgpr3
                                        ; implicit-def: $sgpr15
	s_mov_b64 s[4:5], s[6:7]
.LBB6_1349:                             ;   in Loop: Header=BB6_1343 Depth=1
	global_load_dwordx2 v[2:3], v28, s[6:7]
	s_add_i32 s15, s16, -8
	s_add_u32 s4, s6, 8
	s_addc_u32 s5, s7, 0
.LBB6_1350:                             ;   in Loop: Header=BB6_1343 Depth=1
	s_cmp_gt_u32 s15, 7
	s_cbranch_scc1 .LBB6_1354
; %bb.1351:                             ;   in Loop: Header=BB6_1343 Depth=1
	s_cmp_eq_u32 s15, 0
	s_cbranch_scc1 .LBB6_1355
; %bb.1352:                             ;   in Loop: Header=BB6_1343 Depth=1
	v_mov_b32_e32 v12, 0
	s_mov_b64 s[18:19], 0
	v_mov_b32_e32 v13, 0
	s_mov_b64 s[20:21], 0
.LBB6_1353:                             ;   Parent Loop BB6_1343 Depth=1
                                        ; =>  This Inner Loop Header: Depth=2
	s_add_u32 s22, s4, s20
	s_addc_u32 s23, s5, s21
	global_load_ubyte v8, v28, s[22:23]
	s_add_u32 s20, s20, 1
	s_addc_u32 s21, s21, 0
	s_waitcnt vmcnt(0)
	v_and_b32_e32 v27, 0xffff, v8
	v_lshlrev_b64 v[8:9], s18, v[27:28]
	s_add_u32 s18, s18, 8
	s_addc_u32 s19, s19, 0
	v_or_b32_e32 v12, v8, v12
	s_cmp_lg_u32 s15, s20
	v_or_b32_e32 v13, v9, v13
	s_cbranch_scc1 .LBB6_1353
	s_branch .LBB6_1356
.LBB6_1354:                             ;   in Loop: Header=BB6_1343 Depth=1
                                        ; implicit-def: $vgpr12_vgpr13
                                        ; implicit-def: $sgpr22
	s_branch .LBB6_1357
.LBB6_1355:                             ;   in Loop: Header=BB6_1343 Depth=1
	v_mov_b32_e32 v12, 0
	v_mov_b32_e32 v13, 0
.LBB6_1356:                             ;   in Loop: Header=BB6_1343 Depth=1
	s_mov_b32 s22, 0
	s_cbranch_execnz .LBB6_1358
.LBB6_1357:                             ;   in Loop: Header=BB6_1343 Depth=1
	global_load_dwordx2 v[12:13], v28, s[4:5]
	s_add_i32 s22, s15, -8
	s_add_u32 s4, s4, 8
	s_addc_u32 s5, s5, 0
.LBB6_1358:                             ;   in Loop: Header=BB6_1343 Depth=1
	s_cmp_gt_u32 s22, 7
	s_cbranch_scc1 .LBB6_1362
; %bb.1359:                             ;   in Loop: Header=BB6_1343 Depth=1
	s_cmp_eq_u32 s22, 0
	s_cbranch_scc1 .LBB6_1363
; %bb.1360:                             ;   in Loop: Header=BB6_1343 Depth=1
	v_mov_b32_e32 v14, 0
	s_mov_b64 s[18:19], 0
	v_mov_b32_e32 v15, 0
	s_mov_b64 s[20:21], 0
.LBB6_1361:                             ;   Parent Loop BB6_1343 Depth=1
                                        ; =>  This Inner Loop Header: Depth=2
	s_add_u32 s24, s4, s20
	s_addc_u32 s25, s5, s21
	global_load_ubyte v8, v28, s[24:25]
	s_add_u32 s20, s20, 1
	s_addc_u32 s21, s21, 0
	s_waitcnt vmcnt(0)
	v_and_b32_e32 v27, 0xffff, v8
	v_lshlrev_b64 v[8:9], s18, v[27:28]
	s_add_u32 s18, s18, 8
	s_addc_u32 s19, s19, 0
	v_or_b32_e32 v14, v8, v14
	s_cmp_lg_u32 s22, s20
	v_or_b32_e32 v15, v9, v15
	s_cbranch_scc1 .LBB6_1361
	s_branch .LBB6_1364
.LBB6_1362:                             ;   in Loop: Header=BB6_1343 Depth=1
                                        ; implicit-def: $sgpr15
	s_branch .LBB6_1365
.LBB6_1363:                             ;   in Loop: Header=BB6_1343 Depth=1
	v_mov_b32_e32 v14, 0
	v_mov_b32_e32 v15, 0
.LBB6_1364:                             ;   in Loop: Header=BB6_1343 Depth=1
	s_mov_b32 s15, 0
	s_cbranch_execnz .LBB6_1366
.LBB6_1365:                             ;   in Loop: Header=BB6_1343 Depth=1
	global_load_dwordx2 v[14:15], v28, s[4:5]
	s_add_i32 s15, s22, -8
	s_add_u32 s4, s4, 8
	s_addc_u32 s5, s5, 0
.LBB6_1366:                             ;   in Loop: Header=BB6_1343 Depth=1
	s_cmp_gt_u32 s15, 7
	s_cbranch_scc1 .LBB6_1370
; %bb.1367:                             ;   in Loop: Header=BB6_1343 Depth=1
	s_cmp_eq_u32 s15, 0
	s_cbranch_scc1 .LBB6_1371
; %bb.1368:                             ;   in Loop: Header=BB6_1343 Depth=1
	v_mov_b32_e32 v16, 0
	s_mov_b64 s[18:19], 0
	v_mov_b32_e32 v17, 0
	s_mov_b64 s[20:21], 0
.LBB6_1369:                             ;   Parent Loop BB6_1343 Depth=1
                                        ; =>  This Inner Loop Header: Depth=2
	s_add_u32 s22, s4, s20
	s_addc_u32 s23, s5, s21
	global_load_ubyte v8, v28, s[22:23]
	s_add_u32 s20, s20, 1
	s_addc_u32 s21, s21, 0
	s_waitcnt vmcnt(0)
	v_and_b32_e32 v27, 0xffff, v8
	v_lshlrev_b64 v[8:9], s18, v[27:28]
	s_add_u32 s18, s18, 8
	s_addc_u32 s19, s19, 0
	v_or_b32_e32 v16, v8, v16
	s_cmp_lg_u32 s15, s20
	v_or_b32_e32 v17, v9, v17
	s_cbranch_scc1 .LBB6_1369
	s_branch .LBB6_1372
.LBB6_1370:                             ;   in Loop: Header=BB6_1343 Depth=1
                                        ; implicit-def: $vgpr16_vgpr17
                                        ; implicit-def: $sgpr22
	s_branch .LBB6_1373
.LBB6_1371:                             ;   in Loop: Header=BB6_1343 Depth=1
	v_mov_b32_e32 v16, 0
	v_mov_b32_e32 v17, 0
.LBB6_1372:                             ;   in Loop: Header=BB6_1343 Depth=1
	s_mov_b32 s22, 0
	s_cbranch_execnz .LBB6_1374
.LBB6_1373:                             ;   in Loop: Header=BB6_1343 Depth=1
	global_load_dwordx2 v[16:17], v28, s[4:5]
	s_add_i32 s22, s15, -8
	s_add_u32 s4, s4, 8
	s_addc_u32 s5, s5, 0
.LBB6_1374:                             ;   in Loop: Header=BB6_1343 Depth=1
	s_cmp_gt_u32 s22, 7
	s_cbranch_scc1 .LBB6_1378
; %bb.1375:                             ;   in Loop: Header=BB6_1343 Depth=1
	s_cmp_eq_u32 s22, 0
	s_cbranch_scc1 .LBB6_1379
; %bb.1376:                             ;   in Loop: Header=BB6_1343 Depth=1
	v_mov_b32_e32 v18, 0
	s_mov_b64 s[18:19], 0
	v_mov_b32_e32 v19, 0
	s_mov_b64 s[20:21], 0
.LBB6_1377:                             ;   Parent Loop BB6_1343 Depth=1
                                        ; =>  This Inner Loop Header: Depth=2
	s_add_u32 s24, s4, s20
	s_addc_u32 s25, s5, s21
	global_load_ubyte v8, v28, s[24:25]
	s_add_u32 s20, s20, 1
	s_addc_u32 s21, s21, 0
	s_waitcnt vmcnt(0)
	v_and_b32_e32 v27, 0xffff, v8
	v_lshlrev_b64 v[8:9], s18, v[27:28]
	s_add_u32 s18, s18, 8
	s_addc_u32 s19, s19, 0
	v_or_b32_e32 v18, v8, v18
	s_cmp_lg_u32 s22, s20
	v_or_b32_e32 v19, v9, v19
	s_cbranch_scc1 .LBB6_1377
	s_branch .LBB6_1380
.LBB6_1378:                             ;   in Loop: Header=BB6_1343 Depth=1
                                        ; implicit-def: $sgpr15
	s_branch .LBB6_1381
.LBB6_1379:                             ;   in Loop: Header=BB6_1343 Depth=1
	v_mov_b32_e32 v18, 0
	v_mov_b32_e32 v19, 0
.LBB6_1380:                             ;   in Loop: Header=BB6_1343 Depth=1
	s_mov_b32 s15, 0
	s_cbranch_execnz .LBB6_1382
.LBB6_1381:                             ;   in Loop: Header=BB6_1343 Depth=1
	global_load_dwordx2 v[18:19], v28, s[4:5]
	s_add_i32 s15, s22, -8
	s_add_u32 s4, s4, 8
	s_addc_u32 s5, s5, 0
.LBB6_1382:                             ;   in Loop: Header=BB6_1343 Depth=1
	s_cmp_gt_u32 s15, 7
	s_cbranch_scc1 .LBB6_1386
; %bb.1383:                             ;   in Loop: Header=BB6_1343 Depth=1
	s_cmp_eq_u32 s15, 0
	s_cbranch_scc1 .LBB6_1387
; %bb.1384:                             ;   in Loop: Header=BB6_1343 Depth=1
	v_mov_b32_e32 v20, 0
	s_mov_b64 s[18:19], 0
	v_mov_b32_e32 v21, 0
	s_mov_b64 s[20:21], 0
.LBB6_1385:                             ;   Parent Loop BB6_1343 Depth=1
                                        ; =>  This Inner Loop Header: Depth=2
	s_add_u32 s22, s4, s20
	s_addc_u32 s23, s5, s21
	global_load_ubyte v8, v28, s[22:23]
	s_add_u32 s20, s20, 1
	s_addc_u32 s21, s21, 0
	s_waitcnt vmcnt(0)
	v_and_b32_e32 v27, 0xffff, v8
	v_lshlrev_b64 v[8:9], s18, v[27:28]
	s_add_u32 s18, s18, 8
	s_addc_u32 s19, s19, 0
	v_or_b32_e32 v20, v8, v20
	s_cmp_lg_u32 s15, s20
	v_or_b32_e32 v21, v9, v21
	s_cbranch_scc1 .LBB6_1385
	s_branch .LBB6_1388
.LBB6_1386:                             ;   in Loop: Header=BB6_1343 Depth=1
                                        ; implicit-def: $vgpr20_vgpr21
                                        ; implicit-def: $sgpr22
	s_branch .LBB6_1389
.LBB6_1387:                             ;   in Loop: Header=BB6_1343 Depth=1
	v_mov_b32_e32 v20, 0
	v_mov_b32_e32 v21, 0
.LBB6_1388:                             ;   in Loop: Header=BB6_1343 Depth=1
	s_mov_b32 s22, 0
	s_cbranch_execnz .LBB6_1390
.LBB6_1389:                             ;   in Loop: Header=BB6_1343 Depth=1
	global_load_dwordx2 v[20:21], v28, s[4:5]
	s_add_i32 s22, s15, -8
	s_add_u32 s4, s4, 8
	s_addc_u32 s5, s5, 0
.LBB6_1390:                             ;   in Loop: Header=BB6_1343 Depth=1
	s_cmp_gt_u32 s22, 7
	s_cbranch_scc1 .LBB6_1394
; %bb.1391:                             ;   in Loop: Header=BB6_1343 Depth=1
	s_cmp_eq_u32 s22, 0
	s_cbranch_scc1 .LBB6_1395
; %bb.1392:                             ;   in Loop: Header=BB6_1343 Depth=1
	v_mov_b32_e32 v22, 0
	s_mov_b64 s[18:19], 0
	v_mov_b32_e32 v23, 0
	s_mov_b64 s[20:21], s[4:5]
.LBB6_1393:                             ;   Parent Loop BB6_1343 Depth=1
                                        ; =>  This Inner Loop Header: Depth=2
	global_load_ubyte v8, v28, s[20:21]
	s_add_i32 s22, s22, -1
	s_waitcnt vmcnt(0)
	v_and_b32_e32 v27, 0xffff, v8
	v_lshlrev_b64 v[8:9], s18, v[27:28]
	s_add_u32 s18, s18, 8
	s_addc_u32 s19, s19, 0
	s_add_u32 s20, s20, 1
	s_addc_u32 s21, s21, 0
	v_or_b32_e32 v22, v8, v22
	s_cmp_lg_u32 s22, 0
	v_or_b32_e32 v23, v9, v23
	s_cbranch_scc1 .LBB6_1393
	s_branch .LBB6_1396
.LBB6_1394:                             ;   in Loop: Header=BB6_1343 Depth=1
	s_branch .LBB6_1397
.LBB6_1395:                             ;   in Loop: Header=BB6_1343 Depth=1
	v_mov_b32_e32 v22, 0
	v_mov_b32_e32 v23, 0
.LBB6_1396:                             ;   in Loop: Header=BB6_1343 Depth=1
	s_cbranch_execnz .LBB6_1398
.LBB6_1397:                             ;   in Loop: Header=BB6_1343 Depth=1
	global_load_dwordx2 v[22:23], v28, s[4:5]
.LBB6_1398:                             ;   in Loop: Header=BB6_1343 Depth=1
	v_readfirstlane_b32 s4, v51
	v_mov_b32_e32 v8, 0
	v_mov_b32_e32 v9, 0
	v_cmp_eq_u32_e64 s[4:5], s4, v51
	s_and_saveexec_b64 s[18:19], s[4:5]
	s_cbranch_execz .LBB6_1404
; %bb.1399:                             ;   in Loop: Header=BB6_1343 Depth=1
	global_load_dwordx2 v[26:27], v28, s[44:45] offset:24 glc
	s_waitcnt vmcnt(0)
	buffer_wbinvl1_vol
	global_load_dwordx2 v[8:9], v28, s[44:45] offset:40
	global_load_dwordx2 v[24:25], v28, s[44:45]
	s_waitcnt vmcnt(1)
	v_and_b32_e32 v8, v8, v26
	v_and_b32_e32 v9, v9, v27
	v_mul_lo_u32 v9, v9, 24
	v_mul_hi_u32 v29, v8, 24
	v_mul_lo_u32 v8, v8, 24
	v_add_u32_e32 v9, v29, v9
	s_waitcnt vmcnt(0)
	v_add_co_u32_e32 v8, vcc, v24, v8
	v_addc_co_u32_e32 v9, vcc, v25, v9, vcc
	global_load_dwordx2 v[24:25], v[8:9], off glc
	s_waitcnt vmcnt(0)
	global_atomic_cmpswap_x2 v[8:9], v28, v[24:27], s[44:45] offset:24 glc
	s_waitcnt vmcnt(0)
	buffer_wbinvl1_vol
	v_cmp_ne_u64_e32 vcc, v[8:9], v[26:27]
	s_and_saveexec_b64 s[20:21], vcc
	s_cbranch_execz .LBB6_1403
; %bb.1400:                             ;   in Loop: Header=BB6_1343 Depth=1
	s_mov_b64 s[22:23], 0
.LBB6_1401:                             ;   Parent Loop BB6_1343 Depth=1
                                        ; =>  This Inner Loop Header: Depth=2
	s_sleep 1
	global_load_dwordx2 v[24:25], v28, s[44:45] offset:40
	global_load_dwordx2 v[29:30], v28, s[44:45]
	v_mov_b32_e32 v27, v9
	v_mov_b32_e32 v26, v8
	s_waitcnt vmcnt(1)
	v_and_b32_e32 v8, v24, v26
	s_waitcnt vmcnt(0)
	v_mad_u64_u32 v[8:9], s[24:25], v8, 24, v[29:30]
	v_and_b32_e32 v24, v25, v27
	v_mad_u64_u32 v[24:25], s[24:25], v24, 24, v[9:10]
	v_mov_b32_e32 v9, v24
	global_load_dwordx2 v[24:25], v[8:9], off glc
	s_waitcnt vmcnt(0)
	global_atomic_cmpswap_x2 v[8:9], v28, v[24:27], s[44:45] offset:24 glc
	s_waitcnt vmcnt(0)
	buffer_wbinvl1_vol
	v_cmp_eq_u64_e32 vcc, v[8:9], v[26:27]
	s_or_b64 s[22:23], vcc, s[22:23]
	s_andn2_b64 exec, exec, s[22:23]
	s_cbranch_execnz .LBB6_1401
; %bb.1402:                             ;   in Loop: Header=BB6_1343 Depth=1
	s_or_b64 exec, exec, s[22:23]
.LBB6_1403:                             ;   in Loop: Header=BB6_1343 Depth=1
	s_or_b64 exec, exec, s[20:21]
.LBB6_1404:                             ;   in Loop: Header=BB6_1343 Depth=1
	s_or_b64 exec, exec, s[18:19]
	global_load_dwordx2 v[29:30], v28, s[44:45] offset:40
	global_load_dwordx4 v[24:27], v28, s[44:45]
	v_readfirstlane_b32 s18, v8
	v_readfirstlane_b32 s19, v9
	s_mov_b64 s[20:21], exec
	s_waitcnt vmcnt(1)
	v_readfirstlane_b32 s22, v29
	v_readfirstlane_b32 s23, v30
	s_and_b64 s[22:23], s[18:19], s[22:23]
	s_mul_i32 s15, s23, 24
	s_mul_hi_u32 s24, s22, 24
	s_mul_i32 s25, s22, 24
	s_add_i32 s15, s24, s15
	v_mov_b32_e32 v8, s15
	s_waitcnt vmcnt(0)
	v_add_co_u32_e32 v29, vcc, s25, v24
	v_addc_co_u32_e32 v30, vcc, v25, v8, vcc
	s_and_saveexec_b64 s[24:25], s[4:5]
	s_cbranch_execz .LBB6_1406
; %bb.1405:                             ;   in Loop: Header=BB6_1343 Depth=1
	v_mov_b32_e32 v8, s20
	v_mov_b32_e32 v9, s21
	global_store_dwordx4 v[29:30], v[8:11], off offset:8
.LBB6_1406:                             ;   in Loop: Header=BB6_1343 Depth=1
	s_or_b64 exec, exec, s[24:25]
	s_lshl_b64 s[20:21], s[22:23], 12
	v_mov_b32_e32 v8, s21
	v_add_co_u32_e32 v26, vcc, s20, v26
	v_addc_co_u32_e32 v32, vcc, v27, v8, vcc
	v_cmp_gt_u64_e64 vcc, s[10:11], 56
	v_or_b32_e32 v9, v0, v31
	s_lshl_b32 s15, s16, 2
	v_cndmask_b32_e32 v0, v9, v0, vcc
	s_add_i32 s15, s15, 28
	v_or_b32_e32 v8, 0, v1
	s_and_b32 s15, s15, 0x1e0
	v_and_b32_e32 v0, 0xffffff1f, v0
	v_cndmask_b32_e32 v1, v8, v1, vcc
	v_or_b32_e32 v0, s15, v0
	v_readfirstlane_b32 s20, v26
	v_readfirstlane_b32 s21, v32
	s_nop 4
	global_store_dwordx4 v50, v[0:3], s[20:21]
	global_store_dwordx4 v50, v[12:15], s[20:21] offset:16
	global_store_dwordx4 v50, v[16:19], s[20:21] offset:32
	;; [unrolled: 1-line block ×3, first 2 shown]
	s_and_saveexec_b64 s[20:21], s[4:5]
	s_cbranch_execz .LBB6_1414
; %bb.1407:                             ;   in Loop: Header=BB6_1343 Depth=1
	global_load_dwordx2 v[14:15], v28, s[44:45] offset:32 glc
	global_load_dwordx2 v[0:1], v28, s[44:45] offset:40
	v_mov_b32_e32 v12, s18
	v_mov_b32_e32 v13, s19
	s_waitcnt vmcnt(0)
	v_readfirstlane_b32 s22, v0
	v_readfirstlane_b32 s23, v1
	s_and_b64 s[22:23], s[22:23], s[18:19]
	s_mul_i32 s15, s23, 24
	s_mul_hi_u32 s23, s22, 24
	s_mul_i32 s22, s22, 24
	s_add_i32 s15, s23, s15
	v_mov_b32_e32 v0, s15
	v_add_co_u32_e32 v8, vcc, s22, v24
	v_addc_co_u32_e32 v9, vcc, v25, v0, vcc
	global_store_dwordx2 v[8:9], v[14:15], off
	s_waitcnt vmcnt(0)
	global_atomic_cmpswap_x2 v[2:3], v28, v[12:15], s[44:45] offset:32 glc
	s_waitcnt vmcnt(0)
	v_cmp_ne_u64_e32 vcc, v[2:3], v[14:15]
	s_and_saveexec_b64 s[22:23], vcc
	s_cbranch_execz .LBB6_1410
; %bb.1408:                             ;   in Loop: Header=BB6_1343 Depth=1
	s_mov_b64 s[24:25], 0
.LBB6_1409:                             ;   Parent Loop BB6_1343 Depth=1
                                        ; =>  This Inner Loop Header: Depth=2
	s_sleep 1
	global_store_dwordx2 v[8:9], v[2:3], off
	v_mov_b32_e32 v0, s18
	v_mov_b32_e32 v1, s19
	s_waitcnt vmcnt(0)
	global_atomic_cmpswap_x2 v[0:1], v28, v[0:3], s[44:45] offset:32 glc
	s_waitcnt vmcnt(0)
	v_cmp_eq_u64_e32 vcc, v[0:1], v[2:3]
	v_mov_b32_e32 v3, v1
	s_or_b64 s[24:25], vcc, s[24:25]
	v_mov_b32_e32 v2, v0
	s_andn2_b64 exec, exec, s[24:25]
	s_cbranch_execnz .LBB6_1409
.LBB6_1410:                             ;   in Loop: Header=BB6_1343 Depth=1
	s_or_b64 exec, exec, s[22:23]
	global_load_dwordx2 v[0:1], v28, s[44:45] offset:16
	s_mov_b64 s[24:25], exec
	v_mbcnt_lo_u32_b32 v2, s24, 0
	v_mbcnt_hi_u32_b32 v2, s25, v2
	v_cmp_eq_u32_e32 vcc, 0, v2
	s_and_saveexec_b64 s[22:23], vcc
	s_cbranch_execz .LBB6_1412
; %bb.1411:                             ;   in Loop: Header=BB6_1343 Depth=1
	s_bcnt1_i32_b64 s15, s[24:25]
	v_mov_b32_e32 v27, s15
	s_waitcnt vmcnt(0)
	global_atomic_add_x2 v[0:1], v[27:28], off offset:8
.LBB6_1412:                             ;   in Loop: Header=BB6_1343 Depth=1
	s_or_b64 exec, exec, s[22:23]
	s_waitcnt vmcnt(0)
	global_load_dwordx2 v[2:3], v[0:1], off offset:16
	s_waitcnt vmcnt(0)
	v_cmp_eq_u64_e32 vcc, 0, v[2:3]
	s_cbranch_vccnz .LBB6_1414
; %bb.1413:                             ;   in Loop: Header=BB6_1343 Depth=1
	global_load_dword v27, v[0:1], off offset:24
	s_waitcnt vmcnt(0)
	v_and_b32_e32 v0, 0xffffff, v27
	v_readfirstlane_b32 m0, v0
	global_store_dwordx2 v[2:3], v[27:28], off
	s_sendmsg sendmsg(MSG_INTERRUPT)
.LBB6_1414:                             ;   in Loop: Header=BB6_1343 Depth=1
	s_or_b64 exec, exec, s[20:21]
	v_add_co_u32_e32 v0, vcc, v26, v50
	v_addc_co_u32_e32 v1, vcc, 0, v32, vcc
	s_branch .LBB6_1418
.LBB6_1415:                             ;   in Loop: Header=BB6_1418 Depth=2
	s_or_b64 exec, exec, s[20:21]
	v_readfirstlane_b32 s15, v2
	s_cmp_eq_u32 s15, 0
	s_cbranch_scc1 .LBB6_1417
; %bb.1416:                             ;   in Loop: Header=BB6_1418 Depth=2
	s_sleep 1
	s_cbranch_execnz .LBB6_1418
	s_branch .LBB6_1420
.LBB6_1417:                             ;   in Loop: Header=BB6_1343 Depth=1
	s_branch .LBB6_1420
.LBB6_1418:                             ;   Parent Loop BB6_1343 Depth=1
                                        ; =>  This Inner Loop Header: Depth=2
	v_mov_b32_e32 v2, 1
	s_and_saveexec_b64 s[20:21], s[4:5]
	s_cbranch_execz .LBB6_1415
; %bb.1419:                             ;   in Loop: Header=BB6_1418 Depth=2
	global_load_dword v2, v[29:30], off offset:20 glc
	s_waitcnt vmcnt(0)
	buffer_wbinvl1_vol
	v_and_b32_e32 v2, 1, v2
	s_branch .LBB6_1415
.LBB6_1420:                             ;   in Loop: Header=BB6_1343 Depth=1
	global_load_dwordx4 v[0:3], v[0:1], off
	s_and_saveexec_b64 s[20:21], s[4:5]
	s_cbranch_execz .LBB6_1342
; %bb.1421:                             ;   in Loop: Header=BB6_1343 Depth=1
	global_load_dwordx2 v[2:3], v28, s[44:45] offset:40
	global_load_dwordx2 v[8:9], v28, s[44:45] offset:24 glc
	global_load_dwordx2 v[15:16], v28, s[44:45]
	v_mov_b32_e32 v13, s19
	s_waitcnt vmcnt(2)
	v_add_co_u32_e32 v14, vcc, 1, v2
	v_addc_co_u32_e32 v17, vcc, 0, v3, vcc
	v_add_co_u32_e32 v12, vcc, s18, v14
	v_addc_co_u32_e32 v13, vcc, v17, v13, vcc
	v_cmp_eq_u64_e32 vcc, 0, v[12:13]
	v_cndmask_b32_e32 v13, v13, v17, vcc
	v_cndmask_b32_e32 v12, v12, v14, vcc
	v_and_b32_e32 v3, v13, v3
	v_and_b32_e32 v2, v12, v2
	v_mul_lo_u32 v3, v3, 24
	v_mul_hi_u32 v17, v2, 24
	v_mul_lo_u32 v2, v2, 24
	s_waitcnt vmcnt(1)
	v_mov_b32_e32 v14, v8
	v_add_u32_e32 v3, v17, v3
	s_waitcnt vmcnt(0)
	v_add_co_u32_e32 v2, vcc, v15, v2
	v_addc_co_u32_e32 v3, vcc, v16, v3, vcc
	global_store_dwordx2 v[2:3], v[8:9], off
	v_mov_b32_e32 v15, v9
	s_waitcnt vmcnt(0)
	global_atomic_cmpswap_x2 v[14:15], v28, v[12:15], s[44:45] offset:24 glc
	s_waitcnt vmcnt(0)
	v_cmp_ne_u64_e32 vcc, v[14:15], v[8:9]
	s_and_b64 exec, exec, vcc
	s_cbranch_execz .LBB6_1342
; %bb.1422:                             ;   in Loop: Header=BB6_1343 Depth=1
	s_mov_b64 s[4:5], 0
.LBB6_1423:                             ;   Parent Loop BB6_1343 Depth=1
                                        ; =>  This Inner Loop Header: Depth=2
	s_sleep 1
	global_store_dwordx2 v[2:3], v[14:15], off
	s_waitcnt vmcnt(0)
	global_atomic_cmpswap_x2 v[8:9], v28, v[12:15], s[44:45] offset:24 glc
	s_waitcnt vmcnt(0)
	v_cmp_eq_u64_e32 vcc, v[8:9], v[14:15]
	v_mov_b32_e32 v15, v9
	s_or_b64 s[4:5], vcc, s[4:5]
	v_mov_b32_e32 v14, v8
	s_andn2_b64 exec, exec, s[4:5]
	s_cbranch_execnz .LBB6_1423
	s_branch .LBB6_1342
.LBB6_1424:
	s_branch .LBB6_1452
.LBB6_1425:
                                        ; implicit-def: $vgpr0_vgpr1
	s_cbranch_execz .LBB6_1452
; %bb.1426:
	v_readfirstlane_b32 s4, v51
	v_mov_b32_e32 v9, 0
	v_mov_b32_e32 v10, 0
	v_cmp_eq_u32_e64 s[4:5], s4, v51
	s_and_saveexec_b64 s[6:7], s[4:5]
	s_cbranch_execz .LBB6_1432
; %bb.1427:
	s_waitcnt vmcnt(0)
	v_mov_b32_e32 v0, 0
	global_load_dwordx2 v[11:12], v0, s[44:45] offset:24 glc
	s_waitcnt vmcnt(0)
	buffer_wbinvl1_vol
	global_load_dwordx2 v[1:2], v0, s[44:45] offset:40
	global_load_dwordx2 v[8:9], v0, s[44:45]
	s_waitcnt vmcnt(1)
	v_and_b32_e32 v1, v1, v11
	v_and_b32_e32 v2, v2, v12
	v_mul_lo_u32 v2, v2, 24
	v_mul_hi_u32 v3, v1, 24
	v_mul_lo_u32 v1, v1, 24
	v_add_u32_e32 v2, v3, v2
	s_waitcnt vmcnt(0)
	v_add_co_u32_e32 v1, vcc, v8, v1
	v_addc_co_u32_e32 v2, vcc, v9, v2, vcc
	global_load_dwordx2 v[9:10], v[1:2], off glc
	s_waitcnt vmcnt(0)
	global_atomic_cmpswap_x2 v[9:10], v0, v[9:12], s[44:45] offset:24 glc
	s_waitcnt vmcnt(0)
	buffer_wbinvl1_vol
	v_cmp_ne_u64_e32 vcc, v[9:10], v[11:12]
	s_and_saveexec_b64 s[10:11], vcc
	s_cbranch_execz .LBB6_1431
; %bb.1428:
	s_mov_b64 s[16:17], 0
.LBB6_1429:                             ; =>This Inner Loop Header: Depth=1
	s_sleep 1
	global_load_dwordx2 v[1:2], v0, s[44:45] offset:40
	global_load_dwordx2 v[13:14], v0, s[44:45]
	v_mov_b32_e32 v12, v10
	v_mov_b32_e32 v11, v9
	s_waitcnt vmcnt(1)
	v_and_b32_e32 v1, v1, v11
	s_waitcnt vmcnt(0)
	v_mad_u64_u32 v[8:9], s[18:19], v1, 24, v[13:14]
	v_and_b32_e32 v2, v2, v12
	v_mov_b32_e32 v1, v9
	v_mad_u64_u32 v[1:2], s[18:19], v2, 24, v[1:2]
	v_mov_b32_e32 v9, v1
	global_load_dwordx2 v[9:10], v[8:9], off glc
	s_waitcnt vmcnt(0)
	global_atomic_cmpswap_x2 v[9:10], v0, v[9:12], s[44:45] offset:24 glc
	s_waitcnt vmcnt(0)
	buffer_wbinvl1_vol
	v_cmp_eq_u64_e32 vcc, v[9:10], v[11:12]
	s_or_b64 s[16:17], vcc, s[16:17]
	s_andn2_b64 exec, exec, s[16:17]
	s_cbranch_execnz .LBB6_1429
; %bb.1430:
	s_or_b64 exec, exec, s[16:17]
.LBB6_1431:
	s_or_b64 exec, exec, s[10:11]
.LBB6_1432:
	s_or_b64 exec, exec, s[6:7]
	v_mov_b32_e32 v8, 0
	global_load_dwordx2 v[11:12], v8, s[44:45] offset:40
	global_load_dwordx4 v[0:3], v8, s[44:45]
	v_readfirstlane_b32 s6, v9
	v_readfirstlane_b32 s7, v10
	s_mov_b64 s[10:11], exec
	s_waitcnt vmcnt(1)
	v_readfirstlane_b32 s16, v11
	v_readfirstlane_b32 s17, v12
	s_and_b64 s[16:17], s[6:7], s[16:17]
	s_mul_i32 s15, s17, 24
	s_mul_hi_u32 s18, s16, 24
	s_mul_i32 s19, s16, 24
	s_add_i32 s15, s18, s15
	v_mov_b32_e32 v9, s15
	s_waitcnt vmcnt(0)
	v_add_co_u32_e32 v10, vcc, s19, v0
	v_addc_co_u32_e32 v11, vcc, v1, v9, vcc
	s_and_saveexec_b64 s[18:19], s[4:5]
	s_cbranch_execz .LBB6_1434
; %bb.1433:
	v_mov_b32_e32 v13, s11
	v_mov_b32_e32 v12, s10
	;; [unrolled: 1-line block ×4, first 2 shown]
	global_store_dwordx4 v[10:11], v[12:15], off offset:8
.LBB6_1434:
	s_or_b64 exec, exec, s[18:19]
	s_lshl_b64 s[10:11], s[16:17], 12
	v_mov_b32_e32 v9, s11
	v_add_co_u32_e32 v2, vcc, s10, v2
	v_addc_co_u32_e32 v3, vcc, v3, v9, vcc
	s_movk_i32 s10, 0xff1f
	v_and_or_b32 v6, v6, s10, 32
	s_mov_b32 s16, 0
	v_mov_b32_e32 v9, v8
	v_readfirstlane_b32 s10, v2
	v_readfirstlane_b32 s11, v3
	v_add_co_u32_e32 v12, vcc, v2, v50
	s_mov_b32 s17, s16
	s_mov_b32 s18, s16
	;; [unrolled: 1-line block ×3, first 2 shown]
	s_nop 0
	global_store_dwordx4 v50, v[6:9], s[10:11]
	v_addc_co_u32_e32 v13, vcc, 0, v3, vcc
	v_mov_b32_e32 v6, s16
	v_mov_b32_e32 v7, s17
	;; [unrolled: 1-line block ×4, first 2 shown]
	global_store_dwordx4 v50, v[6:9], s[10:11] offset:16
	global_store_dwordx4 v50, v[6:9], s[10:11] offset:32
	global_store_dwordx4 v50, v[6:9], s[10:11] offset:48
	s_and_saveexec_b64 s[10:11], s[4:5]
	s_cbranch_execz .LBB6_1442
; %bb.1435:
	v_mov_b32_e32 v8, 0
	global_load_dwordx2 v[16:17], v8, s[44:45] offset:32 glc
	global_load_dwordx2 v[2:3], v8, s[44:45] offset:40
	v_mov_b32_e32 v14, s6
	v_mov_b32_e32 v15, s7
	s_waitcnt vmcnt(0)
	v_readfirstlane_b32 s16, v2
	v_readfirstlane_b32 s17, v3
	s_and_b64 s[16:17], s[16:17], s[6:7]
	s_mul_i32 s15, s17, 24
	s_mul_hi_u32 s17, s16, 24
	s_mul_i32 s16, s16, 24
	s_add_i32 s15, s17, s15
	v_mov_b32_e32 v2, s15
	v_add_co_u32_e32 v6, vcc, s16, v0
	v_addc_co_u32_e32 v7, vcc, v1, v2, vcc
	global_store_dwordx2 v[6:7], v[16:17], off
	s_waitcnt vmcnt(0)
	global_atomic_cmpswap_x2 v[2:3], v8, v[14:17], s[44:45] offset:32 glc
	s_waitcnt vmcnt(0)
	v_cmp_ne_u64_e32 vcc, v[2:3], v[16:17]
	s_and_saveexec_b64 s[16:17], vcc
	s_cbranch_execz .LBB6_1438
; %bb.1436:
	s_mov_b64 s[18:19], 0
.LBB6_1437:                             ; =>This Inner Loop Header: Depth=1
	s_sleep 1
	global_store_dwordx2 v[6:7], v[2:3], off
	v_mov_b32_e32 v0, s6
	v_mov_b32_e32 v1, s7
	s_waitcnt vmcnt(0)
	global_atomic_cmpswap_x2 v[0:1], v8, v[0:3], s[44:45] offset:32 glc
	s_waitcnt vmcnt(0)
	v_cmp_eq_u64_e32 vcc, v[0:1], v[2:3]
	v_mov_b32_e32 v3, v1
	s_or_b64 s[18:19], vcc, s[18:19]
	v_mov_b32_e32 v2, v0
	s_andn2_b64 exec, exec, s[18:19]
	s_cbranch_execnz .LBB6_1437
.LBB6_1438:
	s_or_b64 exec, exec, s[16:17]
	v_mov_b32_e32 v3, 0
	global_load_dwordx2 v[0:1], v3, s[44:45] offset:16
	s_mov_b64 s[16:17], exec
	v_mbcnt_lo_u32_b32 v2, s16, 0
	v_mbcnt_hi_u32_b32 v2, s17, v2
	v_cmp_eq_u32_e32 vcc, 0, v2
	s_and_saveexec_b64 s[18:19], vcc
	s_cbranch_execz .LBB6_1440
; %bb.1439:
	s_bcnt1_i32_b64 s15, s[16:17]
	v_mov_b32_e32 v2, s15
	s_waitcnt vmcnt(0)
	global_atomic_add_x2 v[0:1], v[2:3], off offset:8
.LBB6_1440:
	s_or_b64 exec, exec, s[18:19]
	s_waitcnt vmcnt(0)
	global_load_dwordx2 v[2:3], v[0:1], off offset:16
	s_waitcnt vmcnt(0)
	v_cmp_eq_u64_e32 vcc, 0, v[2:3]
	s_cbranch_vccnz .LBB6_1442
; %bb.1441:
	global_load_dword v0, v[0:1], off offset:24
	v_mov_b32_e32 v1, 0
	s_waitcnt vmcnt(0)
	global_store_dwordx2 v[2:3], v[0:1], off
	v_and_b32_e32 v0, 0xffffff, v0
	v_readfirstlane_b32 m0, v0
	s_sendmsg sendmsg(MSG_INTERRUPT)
.LBB6_1442:
	s_or_b64 exec, exec, s[10:11]
	s_branch .LBB6_1446
.LBB6_1443:                             ;   in Loop: Header=BB6_1446 Depth=1
	s_or_b64 exec, exec, s[10:11]
	v_readfirstlane_b32 s10, v0
	s_cmp_eq_u32 s10, 0
	s_cbranch_scc1 .LBB6_1445
; %bb.1444:                             ;   in Loop: Header=BB6_1446 Depth=1
	s_sleep 1
	s_cbranch_execnz .LBB6_1446
	s_branch .LBB6_1448
.LBB6_1445:
	s_branch .LBB6_1448
.LBB6_1446:                             ; =>This Inner Loop Header: Depth=1
	v_mov_b32_e32 v0, 1
	s_and_saveexec_b64 s[10:11], s[4:5]
	s_cbranch_execz .LBB6_1443
; %bb.1447:                             ;   in Loop: Header=BB6_1446 Depth=1
	global_load_dword v0, v[10:11], off offset:20 glc
	s_waitcnt vmcnt(0)
	buffer_wbinvl1_vol
	v_and_b32_e32 v0, 1, v0
	s_branch .LBB6_1443
.LBB6_1448:
	global_load_dwordx2 v[0:1], v[12:13], off
	s_and_saveexec_b64 s[10:11], s[4:5]
	s_cbranch_execz .LBB6_1451
; %bb.1449:
	v_mov_b32_e32 v10, 0
	global_load_dwordx2 v[2:3], v10, s[44:45] offset:40
	global_load_dwordx2 v[11:12], v10, s[44:45] offset:24 glc
	global_load_dwordx2 v[13:14], v10, s[44:45]
	v_mov_b32_e32 v7, s7
	s_mov_b64 s[4:5], 0
	s_waitcnt vmcnt(2)
	v_add_co_u32_e32 v8, vcc, 1, v2
	v_addc_co_u32_e32 v9, vcc, 0, v3, vcc
	v_add_co_u32_e32 v6, vcc, s6, v8
	v_addc_co_u32_e32 v7, vcc, v9, v7, vcc
	v_cmp_eq_u64_e32 vcc, 0, v[6:7]
	v_cndmask_b32_e32 v7, v7, v9, vcc
	v_cndmask_b32_e32 v6, v6, v8, vcc
	v_and_b32_e32 v3, v7, v3
	v_and_b32_e32 v2, v6, v2
	v_mul_lo_u32 v3, v3, 24
	v_mul_hi_u32 v9, v2, 24
	v_mul_lo_u32 v2, v2, 24
	s_waitcnt vmcnt(1)
	v_mov_b32_e32 v8, v11
	v_add_u32_e32 v3, v9, v3
	s_waitcnt vmcnt(0)
	v_add_co_u32_e32 v2, vcc, v13, v2
	v_addc_co_u32_e32 v3, vcc, v14, v3, vcc
	global_store_dwordx2 v[2:3], v[11:12], off
	v_mov_b32_e32 v9, v12
	s_waitcnt vmcnt(0)
	global_atomic_cmpswap_x2 v[8:9], v10, v[6:9], s[44:45] offset:24 glc
	s_waitcnt vmcnt(0)
	v_cmp_ne_u64_e32 vcc, v[8:9], v[11:12]
	s_and_b64 exec, exec, vcc
	s_cbranch_execz .LBB6_1451
.LBB6_1450:                             ; =>This Inner Loop Header: Depth=1
	s_sleep 1
	global_store_dwordx2 v[2:3], v[8:9], off
	s_waitcnt vmcnt(0)
	global_atomic_cmpswap_x2 v[11:12], v10, v[6:9], s[44:45] offset:24 glc
	s_waitcnt vmcnt(0)
	v_cmp_eq_u64_e32 vcc, v[11:12], v[8:9]
	v_mov_b32_e32 v8, v11
	s_or_b64 s[4:5], vcc, s[4:5]
	v_mov_b32_e32 v9, v12
	s_andn2_b64 exec, exec, s[4:5]
	s_cbranch_execnz .LBB6_1450
.LBB6_1451:
	s_or_b64 exec, exec, s[10:11]
.LBB6_1452:
	s_getpc_b64 s[6:7]
	s_add_u32 s6, s6, .str.4@rel32@lo+4
	s_addc_u32 s7, s7, .str.4@rel32@hi+12
	s_cmp_lg_u64 s[6:7], 0
	s_cbranch_scc0 .LBB6_1537
; %bb.1453:
	s_waitcnt vmcnt(0)
	v_and_b32_e32 v10, -3, v0
	v_mov_b32_e32 v11, v1
	s_mov_b64 s[10:11], 13
	v_mov_b32_e32 v3, 0
	v_mov_b32_e32 v8, 2
	;; [unrolled: 1-line block ×3, first 2 shown]
	s_branch .LBB6_1455
.LBB6_1454:                             ;   in Loop: Header=BB6_1455 Depth=1
	s_or_b64 exec, exec, s[20:21]
	s_sub_u32 s10, s10, s16
	s_subb_u32 s11, s11, s17
	s_add_u32 s6, s6, s16
	s_addc_u32 s7, s7, s17
	s_cmp_lg_u64 s[10:11], 0
	s_cbranch_scc0 .LBB6_1536
.LBB6_1455:                             ; =>This Loop Header: Depth=1
                                        ;     Child Loop BB6_1458 Depth 2
                                        ;     Child Loop BB6_1465 Depth 2
	;; [unrolled: 1-line block ×11, first 2 shown]
	v_cmp_lt_u64_e64 s[4:5], s[10:11], 56
	v_cmp_gt_u64_e64 s[18:19], s[10:11], 7
	s_and_b64 s[4:5], s[4:5], exec
	s_cselect_b32 s17, s11, 0
	s_cselect_b32 s16, s10, 56
	s_and_b64 vcc, exec, s[18:19]
	s_cbranch_vccnz .LBB6_1460
; %bb.1456:                             ;   in Loop: Header=BB6_1455 Depth=1
	s_waitcnt vmcnt(0)
	v_mov_b32_e32 v12, 0
	s_cmp_eq_u64 s[10:11], 0
	v_mov_b32_e32 v13, 0
	s_mov_b64 s[4:5], 0
	s_cbranch_scc1 .LBB6_1459
; %bb.1457:                             ;   in Loop: Header=BB6_1455 Depth=1
	v_mov_b32_e32 v12, 0
	s_lshl_b64 s[18:19], s[16:17], 3
	s_mov_b64 s[20:21], 0
	v_mov_b32_e32 v13, 0
	s_mov_b64 s[22:23], s[6:7]
.LBB6_1458:                             ;   Parent Loop BB6_1455 Depth=1
                                        ; =>  This Inner Loop Header: Depth=2
	global_load_ubyte v2, v3, s[22:23]
	s_waitcnt vmcnt(0)
	v_and_b32_e32 v2, 0xffff, v2
	v_lshlrev_b64 v[6:7], s20, v[2:3]
	s_add_u32 s20, s20, 8
	s_addc_u32 s21, s21, 0
	s_add_u32 s22, s22, 1
	s_addc_u32 s23, s23, 0
	v_or_b32_e32 v12, v6, v12
	s_cmp_lg_u32 s18, s20
	v_or_b32_e32 v13, v7, v13
	s_cbranch_scc1 .LBB6_1458
.LBB6_1459:                             ;   in Loop: Header=BB6_1455 Depth=1
	s_mov_b32 s15, 0
	s_andn2_b64 vcc, exec, s[4:5]
	s_mov_b64 s[4:5], s[6:7]
	s_cbranch_vccz .LBB6_1461
	s_branch .LBB6_1462
.LBB6_1460:                             ;   in Loop: Header=BB6_1455 Depth=1
                                        ; implicit-def: $sgpr15
	s_mov_b64 s[4:5], s[6:7]
.LBB6_1461:                             ;   in Loop: Header=BB6_1455 Depth=1
	global_load_dwordx2 v[12:13], v3, s[6:7]
	s_add_i32 s15, s16, -8
	s_add_u32 s4, s6, 8
	s_addc_u32 s5, s7, 0
.LBB6_1462:                             ;   in Loop: Header=BB6_1455 Depth=1
	s_cmp_gt_u32 s15, 7
	s_cbranch_scc1 .LBB6_1466
; %bb.1463:                             ;   in Loop: Header=BB6_1455 Depth=1
	s_cmp_eq_u32 s15, 0
	s_cbranch_scc1 .LBB6_1467
; %bb.1464:                             ;   in Loop: Header=BB6_1455 Depth=1
	v_mov_b32_e32 v14, 0
	s_mov_b64 s[18:19], 0
	v_mov_b32_e32 v15, 0
	s_mov_b64 s[20:21], 0
.LBB6_1465:                             ;   Parent Loop BB6_1455 Depth=1
                                        ; =>  This Inner Loop Header: Depth=2
	s_add_u32 s22, s4, s20
	s_addc_u32 s23, s5, s21
	global_load_ubyte v2, v3, s[22:23]
	s_add_u32 s20, s20, 1
	s_addc_u32 s21, s21, 0
	s_waitcnt vmcnt(0)
	v_and_b32_e32 v2, 0xffff, v2
	v_lshlrev_b64 v[6:7], s18, v[2:3]
	s_add_u32 s18, s18, 8
	s_addc_u32 s19, s19, 0
	v_or_b32_e32 v14, v6, v14
	s_cmp_lg_u32 s15, s20
	v_or_b32_e32 v15, v7, v15
	s_cbranch_scc1 .LBB6_1465
	s_branch .LBB6_1468
.LBB6_1466:                             ;   in Loop: Header=BB6_1455 Depth=1
                                        ; implicit-def: $vgpr14_vgpr15
                                        ; implicit-def: $sgpr22
	s_branch .LBB6_1469
.LBB6_1467:                             ;   in Loop: Header=BB6_1455 Depth=1
	v_mov_b32_e32 v14, 0
	v_mov_b32_e32 v15, 0
.LBB6_1468:                             ;   in Loop: Header=BB6_1455 Depth=1
	s_mov_b32 s22, 0
	s_cbranch_execnz .LBB6_1470
.LBB6_1469:                             ;   in Loop: Header=BB6_1455 Depth=1
	global_load_dwordx2 v[14:15], v3, s[4:5]
	s_add_i32 s22, s15, -8
	s_add_u32 s4, s4, 8
	s_addc_u32 s5, s5, 0
.LBB6_1470:                             ;   in Loop: Header=BB6_1455 Depth=1
	s_cmp_gt_u32 s22, 7
	s_cbranch_scc1 .LBB6_1474
; %bb.1471:                             ;   in Loop: Header=BB6_1455 Depth=1
	s_cmp_eq_u32 s22, 0
	s_cbranch_scc1 .LBB6_1475
; %bb.1472:                             ;   in Loop: Header=BB6_1455 Depth=1
	v_mov_b32_e32 v16, 0
	s_mov_b64 s[18:19], 0
	v_mov_b32_e32 v17, 0
	s_mov_b64 s[20:21], 0
.LBB6_1473:                             ;   Parent Loop BB6_1455 Depth=1
                                        ; =>  This Inner Loop Header: Depth=2
	s_add_u32 s24, s4, s20
	s_addc_u32 s25, s5, s21
	global_load_ubyte v2, v3, s[24:25]
	s_add_u32 s20, s20, 1
	s_addc_u32 s21, s21, 0
	s_waitcnt vmcnt(0)
	v_and_b32_e32 v2, 0xffff, v2
	v_lshlrev_b64 v[6:7], s18, v[2:3]
	s_add_u32 s18, s18, 8
	s_addc_u32 s19, s19, 0
	v_or_b32_e32 v16, v6, v16
	s_cmp_lg_u32 s22, s20
	v_or_b32_e32 v17, v7, v17
	s_cbranch_scc1 .LBB6_1473
	s_branch .LBB6_1476
.LBB6_1474:                             ;   in Loop: Header=BB6_1455 Depth=1
                                        ; implicit-def: $sgpr15
	s_branch .LBB6_1477
.LBB6_1475:                             ;   in Loop: Header=BB6_1455 Depth=1
	v_mov_b32_e32 v16, 0
	v_mov_b32_e32 v17, 0
.LBB6_1476:                             ;   in Loop: Header=BB6_1455 Depth=1
	s_mov_b32 s15, 0
	s_cbranch_execnz .LBB6_1478
.LBB6_1477:                             ;   in Loop: Header=BB6_1455 Depth=1
	global_load_dwordx2 v[16:17], v3, s[4:5]
	s_add_i32 s15, s22, -8
	s_add_u32 s4, s4, 8
	s_addc_u32 s5, s5, 0
.LBB6_1478:                             ;   in Loop: Header=BB6_1455 Depth=1
	s_cmp_gt_u32 s15, 7
	s_cbranch_scc1 .LBB6_1482
; %bb.1479:                             ;   in Loop: Header=BB6_1455 Depth=1
	s_cmp_eq_u32 s15, 0
	s_cbranch_scc1 .LBB6_1483
; %bb.1480:                             ;   in Loop: Header=BB6_1455 Depth=1
	v_mov_b32_e32 v18, 0
	s_mov_b64 s[18:19], 0
	v_mov_b32_e32 v19, 0
	s_mov_b64 s[20:21], 0
.LBB6_1481:                             ;   Parent Loop BB6_1455 Depth=1
                                        ; =>  This Inner Loop Header: Depth=2
	s_add_u32 s22, s4, s20
	s_addc_u32 s23, s5, s21
	global_load_ubyte v2, v3, s[22:23]
	s_add_u32 s20, s20, 1
	s_addc_u32 s21, s21, 0
	s_waitcnt vmcnt(0)
	v_and_b32_e32 v2, 0xffff, v2
	v_lshlrev_b64 v[6:7], s18, v[2:3]
	s_add_u32 s18, s18, 8
	s_addc_u32 s19, s19, 0
	v_or_b32_e32 v18, v6, v18
	s_cmp_lg_u32 s15, s20
	v_or_b32_e32 v19, v7, v19
	s_cbranch_scc1 .LBB6_1481
	s_branch .LBB6_1484
.LBB6_1482:                             ;   in Loop: Header=BB6_1455 Depth=1
                                        ; implicit-def: $vgpr18_vgpr19
                                        ; implicit-def: $sgpr22
	s_branch .LBB6_1485
.LBB6_1483:                             ;   in Loop: Header=BB6_1455 Depth=1
	v_mov_b32_e32 v18, 0
	v_mov_b32_e32 v19, 0
.LBB6_1484:                             ;   in Loop: Header=BB6_1455 Depth=1
	s_mov_b32 s22, 0
	s_cbranch_execnz .LBB6_1486
.LBB6_1485:                             ;   in Loop: Header=BB6_1455 Depth=1
	global_load_dwordx2 v[18:19], v3, s[4:5]
	s_add_i32 s22, s15, -8
	s_add_u32 s4, s4, 8
	s_addc_u32 s5, s5, 0
.LBB6_1486:                             ;   in Loop: Header=BB6_1455 Depth=1
	s_cmp_gt_u32 s22, 7
	s_cbranch_scc1 .LBB6_1490
; %bb.1487:                             ;   in Loop: Header=BB6_1455 Depth=1
	s_cmp_eq_u32 s22, 0
	s_cbranch_scc1 .LBB6_1491
; %bb.1488:                             ;   in Loop: Header=BB6_1455 Depth=1
	v_mov_b32_e32 v20, 0
	s_mov_b64 s[18:19], 0
	v_mov_b32_e32 v21, 0
	s_mov_b64 s[20:21], 0
.LBB6_1489:                             ;   Parent Loop BB6_1455 Depth=1
                                        ; =>  This Inner Loop Header: Depth=2
	s_add_u32 s24, s4, s20
	s_addc_u32 s25, s5, s21
	global_load_ubyte v2, v3, s[24:25]
	s_add_u32 s20, s20, 1
	s_addc_u32 s21, s21, 0
	s_waitcnt vmcnt(0)
	v_and_b32_e32 v2, 0xffff, v2
	v_lshlrev_b64 v[6:7], s18, v[2:3]
	s_add_u32 s18, s18, 8
	s_addc_u32 s19, s19, 0
	v_or_b32_e32 v20, v6, v20
	s_cmp_lg_u32 s22, s20
	v_or_b32_e32 v21, v7, v21
	s_cbranch_scc1 .LBB6_1489
	s_branch .LBB6_1492
.LBB6_1490:                             ;   in Loop: Header=BB6_1455 Depth=1
                                        ; implicit-def: $sgpr15
	s_branch .LBB6_1493
.LBB6_1491:                             ;   in Loop: Header=BB6_1455 Depth=1
	v_mov_b32_e32 v20, 0
	v_mov_b32_e32 v21, 0
.LBB6_1492:                             ;   in Loop: Header=BB6_1455 Depth=1
	s_mov_b32 s15, 0
	s_cbranch_execnz .LBB6_1494
.LBB6_1493:                             ;   in Loop: Header=BB6_1455 Depth=1
	global_load_dwordx2 v[20:21], v3, s[4:5]
	s_add_i32 s15, s22, -8
	s_add_u32 s4, s4, 8
	s_addc_u32 s5, s5, 0
.LBB6_1494:                             ;   in Loop: Header=BB6_1455 Depth=1
	s_cmp_gt_u32 s15, 7
	s_cbranch_scc1 .LBB6_1498
; %bb.1495:                             ;   in Loop: Header=BB6_1455 Depth=1
	s_cmp_eq_u32 s15, 0
	s_cbranch_scc1 .LBB6_1499
; %bb.1496:                             ;   in Loop: Header=BB6_1455 Depth=1
	v_mov_b32_e32 v22, 0
	s_mov_b64 s[18:19], 0
	v_mov_b32_e32 v23, 0
	s_mov_b64 s[20:21], 0
.LBB6_1497:                             ;   Parent Loop BB6_1455 Depth=1
                                        ; =>  This Inner Loop Header: Depth=2
	s_add_u32 s22, s4, s20
	s_addc_u32 s23, s5, s21
	global_load_ubyte v2, v3, s[22:23]
	s_add_u32 s20, s20, 1
	s_addc_u32 s21, s21, 0
	s_waitcnt vmcnt(0)
	v_and_b32_e32 v2, 0xffff, v2
	v_lshlrev_b64 v[6:7], s18, v[2:3]
	s_add_u32 s18, s18, 8
	s_addc_u32 s19, s19, 0
	v_or_b32_e32 v22, v6, v22
	s_cmp_lg_u32 s15, s20
	v_or_b32_e32 v23, v7, v23
	s_cbranch_scc1 .LBB6_1497
	s_branch .LBB6_1500
.LBB6_1498:                             ;   in Loop: Header=BB6_1455 Depth=1
                                        ; implicit-def: $vgpr22_vgpr23
                                        ; implicit-def: $sgpr22
	s_branch .LBB6_1501
.LBB6_1499:                             ;   in Loop: Header=BB6_1455 Depth=1
	v_mov_b32_e32 v22, 0
	v_mov_b32_e32 v23, 0
.LBB6_1500:                             ;   in Loop: Header=BB6_1455 Depth=1
	s_mov_b32 s22, 0
	s_cbranch_execnz .LBB6_1502
.LBB6_1501:                             ;   in Loop: Header=BB6_1455 Depth=1
	global_load_dwordx2 v[22:23], v3, s[4:5]
	s_add_i32 s22, s15, -8
	s_add_u32 s4, s4, 8
	s_addc_u32 s5, s5, 0
.LBB6_1502:                             ;   in Loop: Header=BB6_1455 Depth=1
	s_cmp_gt_u32 s22, 7
	s_cbranch_scc1 .LBB6_1506
; %bb.1503:                             ;   in Loop: Header=BB6_1455 Depth=1
	s_cmp_eq_u32 s22, 0
	s_cbranch_scc1 .LBB6_1507
; %bb.1504:                             ;   in Loop: Header=BB6_1455 Depth=1
	v_mov_b32_e32 v24, 0
	s_mov_b64 s[18:19], 0
	v_mov_b32_e32 v25, 0
	s_mov_b64 s[20:21], s[4:5]
.LBB6_1505:                             ;   Parent Loop BB6_1455 Depth=1
                                        ; =>  This Inner Loop Header: Depth=2
	global_load_ubyte v2, v3, s[20:21]
	s_add_i32 s22, s22, -1
	s_waitcnt vmcnt(0)
	v_and_b32_e32 v2, 0xffff, v2
	v_lshlrev_b64 v[6:7], s18, v[2:3]
	s_add_u32 s18, s18, 8
	s_addc_u32 s19, s19, 0
	s_add_u32 s20, s20, 1
	s_addc_u32 s21, s21, 0
	v_or_b32_e32 v24, v6, v24
	s_cmp_lg_u32 s22, 0
	v_or_b32_e32 v25, v7, v25
	s_cbranch_scc1 .LBB6_1505
	s_branch .LBB6_1508
.LBB6_1506:                             ;   in Loop: Header=BB6_1455 Depth=1
	s_branch .LBB6_1509
.LBB6_1507:                             ;   in Loop: Header=BB6_1455 Depth=1
	v_mov_b32_e32 v24, 0
	v_mov_b32_e32 v25, 0
.LBB6_1508:                             ;   in Loop: Header=BB6_1455 Depth=1
	s_cbranch_execnz .LBB6_1510
.LBB6_1509:                             ;   in Loop: Header=BB6_1455 Depth=1
	global_load_dwordx2 v[24:25], v3, s[4:5]
.LBB6_1510:                             ;   in Loop: Header=BB6_1455 Depth=1
	v_readfirstlane_b32 s4, v51
	v_mov_b32_e32 v6, 0
	v_mov_b32_e32 v7, 0
	v_cmp_eq_u32_e64 s[4:5], s4, v51
	s_and_saveexec_b64 s[18:19], s[4:5]
	s_cbranch_execz .LBB6_1516
; %bb.1511:                             ;   in Loop: Header=BB6_1455 Depth=1
	global_load_dwordx2 v[28:29], v3, s[44:45] offset:24 glc
	s_waitcnt vmcnt(0)
	buffer_wbinvl1_vol
	global_load_dwordx2 v[6:7], v3, s[44:45] offset:40
	global_load_dwordx2 v[26:27], v3, s[44:45]
	s_waitcnt vmcnt(1)
	v_and_b32_e32 v2, v6, v28
	v_and_b32_e32 v6, v7, v29
	v_mul_lo_u32 v6, v6, 24
	v_mul_hi_u32 v7, v2, 24
	v_mul_lo_u32 v2, v2, 24
	v_add_u32_e32 v7, v7, v6
	s_waitcnt vmcnt(0)
	v_add_co_u32_e32 v6, vcc, v26, v2
	v_addc_co_u32_e32 v7, vcc, v27, v7, vcc
	global_load_dwordx2 v[26:27], v[6:7], off glc
	s_waitcnt vmcnt(0)
	global_atomic_cmpswap_x2 v[6:7], v3, v[26:29], s[44:45] offset:24 glc
	s_waitcnt vmcnt(0)
	buffer_wbinvl1_vol
	v_cmp_ne_u64_e32 vcc, v[6:7], v[28:29]
	s_and_saveexec_b64 s[20:21], vcc
	s_cbranch_execz .LBB6_1515
; %bb.1512:                             ;   in Loop: Header=BB6_1455 Depth=1
	s_mov_b64 s[22:23], 0
.LBB6_1513:                             ;   Parent Loop BB6_1455 Depth=1
                                        ; =>  This Inner Loop Header: Depth=2
	s_sleep 1
	global_load_dwordx2 v[26:27], v3, s[44:45] offset:40
	global_load_dwordx2 v[30:31], v3, s[44:45]
	v_mov_b32_e32 v29, v7
	v_mov_b32_e32 v28, v6
	s_waitcnt vmcnt(1)
	v_and_b32_e32 v2, v26, v28
	s_waitcnt vmcnt(0)
	v_mad_u64_u32 v[6:7], s[24:25], v2, 24, v[30:31]
	v_and_b32_e32 v26, v27, v29
	v_mov_b32_e32 v2, v7
	v_mad_u64_u32 v[26:27], s[24:25], v26, 24, v[2:3]
	v_mov_b32_e32 v7, v26
	global_load_dwordx2 v[26:27], v[6:7], off glc
	s_waitcnt vmcnt(0)
	global_atomic_cmpswap_x2 v[6:7], v3, v[26:29], s[44:45] offset:24 glc
	s_waitcnt vmcnt(0)
	buffer_wbinvl1_vol
	v_cmp_eq_u64_e32 vcc, v[6:7], v[28:29]
	s_or_b64 s[22:23], vcc, s[22:23]
	s_andn2_b64 exec, exec, s[22:23]
	s_cbranch_execnz .LBB6_1513
; %bb.1514:                             ;   in Loop: Header=BB6_1455 Depth=1
	s_or_b64 exec, exec, s[22:23]
.LBB6_1515:                             ;   in Loop: Header=BB6_1455 Depth=1
	s_or_b64 exec, exec, s[20:21]
.LBB6_1516:                             ;   in Loop: Header=BB6_1455 Depth=1
	s_or_b64 exec, exec, s[18:19]
	global_load_dwordx2 v[30:31], v3, s[44:45] offset:40
	global_load_dwordx4 v[26:29], v3, s[44:45]
	v_readfirstlane_b32 s18, v6
	v_readfirstlane_b32 s19, v7
	s_mov_b64 s[20:21], exec
	s_waitcnt vmcnt(1)
	v_readfirstlane_b32 s22, v30
	v_readfirstlane_b32 s23, v31
	s_and_b64 s[22:23], s[18:19], s[22:23]
	s_mul_i32 s15, s23, 24
	s_mul_hi_u32 s24, s22, 24
	s_mul_i32 s25, s22, 24
	s_add_i32 s15, s24, s15
	v_mov_b32_e32 v2, s15
	s_waitcnt vmcnt(0)
	v_add_co_u32_e32 v30, vcc, s25, v26
	v_addc_co_u32_e32 v31, vcc, v27, v2, vcc
	s_and_saveexec_b64 s[24:25], s[4:5]
	s_cbranch_execz .LBB6_1518
; %bb.1517:                             ;   in Loop: Header=BB6_1455 Depth=1
	v_mov_b32_e32 v6, s20
	v_mov_b32_e32 v7, s21
	global_store_dwordx4 v[30:31], v[6:9], off offset:8
.LBB6_1518:                             ;   in Loop: Header=BB6_1455 Depth=1
	s_or_b64 exec, exec, s[24:25]
	s_lshl_b64 s[20:21], s[22:23], 12
	v_mov_b32_e32 v2, s21
	v_add_co_u32_e32 v28, vcc, s20, v28
	v_addc_co_u32_e32 v29, vcc, v29, v2, vcc
	v_cmp_gt_u64_e64 vcc, s[10:11], 56
	v_or_b32_e32 v2, 2, v10
	s_lshl_b32 s15, s16, 2
	v_cndmask_b32_e32 v2, v2, v10, vcc
	s_add_i32 s15, s15, 28
	s_and_b32 s15, s15, 0x1e0
	v_and_b32_e32 v2, 0xffffff1f, v2
	v_or_b32_e32 v10, s15, v2
	v_readfirstlane_b32 s20, v28
	v_readfirstlane_b32 s21, v29
	s_nop 4
	global_store_dwordx4 v50, v[10:13], s[20:21]
	global_store_dwordx4 v50, v[14:17], s[20:21] offset:16
	global_store_dwordx4 v50, v[18:21], s[20:21] offset:32
	;; [unrolled: 1-line block ×3, first 2 shown]
	s_and_saveexec_b64 s[20:21], s[4:5]
	s_cbranch_execz .LBB6_1526
; %bb.1519:                             ;   in Loop: Header=BB6_1455 Depth=1
	global_load_dwordx2 v[14:15], v3, s[44:45] offset:32 glc
	global_load_dwordx2 v[6:7], v3, s[44:45] offset:40
	v_mov_b32_e32 v12, s18
	v_mov_b32_e32 v13, s19
	s_waitcnt vmcnt(0)
	v_readfirstlane_b32 s22, v6
	v_readfirstlane_b32 s23, v7
	s_and_b64 s[22:23], s[22:23], s[18:19]
	s_mul_i32 s15, s23, 24
	s_mul_hi_u32 s23, s22, 24
	s_mul_i32 s22, s22, 24
	s_add_i32 s15, s23, s15
	v_mov_b32_e32 v2, s15
	v_add_co_u32_e32 v6, vcc, s22, v26
	v_addc_co_u32_e32 v7, vcc, v27, v2, vcc
	global_store_dwordx2 v[6:7], v[14:15], off
	s_waitcnt vmcnt(0)
	global_atomic_cmpswap_x2 v[12:13], v3, v[12:15], s[44:45] offset:32 glc
	s_waitcnt vmcnt(0)
	v_cmp_ne_u64_e32 vcc, v[12:13], v[14:15]
	s_and_saveexec_b64 s[22:23], vcc
	s_cbranch_execz .LBB6_1522
; %bb.1520:                             ;   in Loop: Header=BB6_1455 Depth=1
	s_mov_b64 s[24:25], 0
.LBB6_1521:                             ;   Parent Loop BB6_1455 Depth=1
                                        ; =>  This Inner Loop Header: Depth=2
	s_sleep 1
	global_store_dwordx2 v[6:7], v[12:13], off
	v_mov_b32_e32 v10, s18
	v_mov_b32_e32 v11, s19
	s_waitcnt vmcnt(0)
	global_atomic_cmpswap_x2 v[10:11], v3, v[10:13], s[44:45] offset:32 glc
	s_waitcnt vmcnt(0)
	v_cmp_eq_u64_e32 vcc, v[10:11], v[12:13]
	v_mov_b32_e32 v13, v11
	s_or_b64 s[24:25], vcc, s[24:25]
	v_mov_b32_e32 v12, v10
	s_andn2_b64 exec, exec, s[24:25]
	s_cbranch_execnz .LBB6_1521
.LBB6_1522:                             ;   in Loop: Header=BB6_1455 Depth=1
	s_or_b64 exec, exec, s[22:23]
	global_load_dwordx2 v[6:7], v3, s[44:45] offset:16
	s_mov_b64 s[24:25], exec
	v_mbcnt_lo_u32_b32 v2, s24, 0
	v_mbcnt_hi_u32_b32 v2, s25, v2
	v_cmp_eq_u32_e32 vcc, 0, v2
	s_and_saveexec_b64 s[22:23], vcc
	s_cbranch_execz .LBB6_1524
; %bb.1523:                             ;   in Loop: Header=BB6_1455 Depth=1
	s_bcnt1_i32_b64 s15, s[24:25]
	v_mov_b32_e32 v2, s15
	s_waitcnt vmcnt(0)
	global_atomic_add_x2 v[6:7], v[2:3], off offset:8
.LBB6_1524:                             ;   in Loop: Header=BB6_1455 Depth=1
	s_or_b64 exec, exec, s[22:23]
	s_waitcnt vmcnt(0)
	global_load_dwordx2 v[10:11], v[6:7], off offset:16
	s_waitcnt vmcnt(0)
	v_cmp_eq_u64_e32 vcc, 0, v[10:11]
	s_cbranch_vccnz .LBB6_1526
; %bb.1525:                             ;   in Loop: Header=BB6_1455 Depth=1
	global_load_dword v2, v[6:7], off offset:24
	s_waitcnt vmcnt(0)
	global_store_dwordx2 v[10:11], v[2:3], off
	v_and_b32_e32 v2, 0xffffff, v2
	v_readfirstlane_b32 m0, v2
	s_sendmsg sendmsg(MSG_INTERRUPT)
.LBB6_1526:                             ;   in Loop: Header=BB6_1455 Depth=1
	s_or_b64 exec, exec, s[20:21]
	v_add_co_u32_e32 v6, vcc, v28, v50
	v_addc_co_u32_e32 v7, vcc, 0, v29, vcc
	s_branch .LBB6_1530
.LBB6_1527:                             ;   in Loop: Header=BB6_1530 Depth=2
	s_or_b64 exec, exec, s[20:21]
	v_readfirstlane_b32 s15, v2
	s_cmp_eq_u32 s15, 0
	s_cbranch_scc1 .LBB6_1529
; %bb.1528:                             ;   in Loop: Header=BB6_1530 Depth=2
	s_sleep 1
	s_cbranch_execnz .LBB6_1530
	s_branch .LBB6_1532
.LBB6_1529:                             ;   in Loop: Header=BB6_1455 Depth=1
	s_branch .LBB6_1532
.LBB6_1530:                             ;   Parent Loop BB6_1455 Depth=1
                                        ; =>  This Inner Loop Header: Depth=2
	v_mov_b32_e32 v2, 1
	s_and_saveexec_b64 s[20:21], s[4:5]
	s_cbranch_execz .LBB6_1527
; %bb.1531:                             ;   in Loop: Header=BB6_1530 Depth=2
	global_load_dword v2, v[30:31], off offset:20 glc
	s_waitcnt vmcnt(0)
	buffer_wbinvl1_vol
	v_and_b32_e32 v2, 1, v2
	s_branch .LBB6_1527
.LBB6_1532:                             ;   in Loop: Header=BB6_1455 Depth=1
	global_load_dwordx4 v[10:13], v[6:7], off
	s_and_saveexec_b64 s[20:21], s[4:5]
	s_cbranch_execz .LBB6_1454
; %bb.1533:                             ;   in Loop: Header=BB6_1455 Depth=1
	global_load_dwordx2 v[6:7], v3, s[44:45] offset:40
	global_load_dwordx2 v[16:17], v3, s[44:45] offset:24 glc
	global_load_dwordx2 v[18:19], v3, s[44:45]
	v_mov_b32_e32 v2, s19
	s_waitcnt vmcnt(2)
	v_add_co_u32_e32 v14, vcc, 1, v6
	v_addc_co_u32_e32 v15, vcc, 0, v7, vcc
	v_add_co_u32_e32 v12, vcc, s18, v14
	v_addc_co_u32_e32 v13, vcc, v15, v2, vcc
	v_cmp_eq_u64_e32 vcc, 0, v[12:13]
	v_cndmask_b32_e32 v13, v13, v15, vcc
	v_cndmask_b32_e32 v12, v12, v14, vcc
	v_and_b32_e32 v2, v13, v7
	v_and_b32_e32 v6, v12, v6
	v_mul_lo_u32 v2, v2, 24
	v_mul_hi_u32 v7, v6, 24
	v_mul_lo_u32 v6, v6, 24
	s_waitcnt vmcnt(1)
	v_mov_b32_e32 v14, v16
	v_mov_b32_e32 v15, v17
	v_add_u32_e32 v2, v7, v2
	s_waitcnt vmcnt(0)
	v_add_co_u32_e32 v6, vcc, v18, v6
	v_addc_co_u32_e32 v7, vcc, v19, v2, vcc
	global_store_dwordx2 v[6:7], v[16:17], off
	s_waitcnt vmcnt(0)
	global_atomic_cmpswap_x2 v[14:15], v3, v[12:15], s[44:45] offset:24 glc
	s_waitcnt vmcnt(0)
	v_cmp_ne_u64_e32 vcc, v[14:15], v[16:17]
	s_and_b64 exec, exec, vcc
	s_cbranch_execz .LBB6_1454
; %bb.1534:                             ;   in Loop: Header=BB6_1455 Depth=1
	s_mov_b64 s[4:5], 0
.LBB6_1535:                             ;   Parent Loop BB6_1455 Depth=1
                                        ; =>  This Inner Loop Header: Depth=2
	s_sleep 1
	global_store_dwordx2 v[6:7], v[14:15], off
	s_waitcnt vmcnt(0)
	global_atomic_cmpswap_x2 v[16:17], v3, v[12:15], s[44:45] offset:24 glc
	s_waitcnt vmcnt(0)
	v_cmp_eq_u64_e32 vcc, v[16:17], v[14:15]
	v_mov_b32_e32 v14, v16
	s_or_b64 s[4:5], vcc, s[4:5]
	v_mov_b32_e32 v15, v17
	s_andn2_b64 exec, exec, s[4:5]
	s_cbranch_execnz .LBB6_1535
	s_branch .LBB6_1454
.LBB6_1536:
	s_mov_b64 s[4:5], 0
	s_branch .LBB6_1538
.LBB6_1537:
	s_mov_b64 s[4:5], -1
.LBB6_1538:
	s_mov_b32 s48, s12
	s_mov_b32 s49, s13
	;; [unrolled: 1-line block ×3, first 2 shown]
	s_and_b64 vcc, exec, s[4:5]
	s_cbranch_vccz .LBB6_1565
; %bb.1539:
	v_readfirstlane_b32 s4, v51
	s_waitcnt vmcnt(0)
	v_mov_b32_e32 v10, 0
	v_mov_b32_e32 v11, 0
	v_cmp_eq_u32_e64 s[4:5], s4, v51
	s_and_saveexec_b64 s[6:7], s[4:5]
	s_cbranch_execz .LBB6_1545
; %bb.1540:
	v_mov_b32_e32 v2, 0
	global_load_dwordx2 v[8:9], v2, s[44:45] offset:24 glc
	s_waitcnt vmcnt(0)
	buffer_wbinvl1_vol
	global_load_dwordx2 v[6:7], v2, s[44:45] offset:40
	global_load_dwordx2 v[10:11], v2, s[44:45]
	s_waitcnt vmcnt(1)
	v_and_b32_e32 v3, v6, v8
	v_and_b32_e32 v6, v7, v9
	v_mul_lo_u32 v6, v6, 24
	v_mul_hi_u32 v7, v3, 24
	v_mul_lo_u32 v3, v3, 24
	v_add_u32_e32 v7, v7, v6
	s_waitcnt vmcnt(0)
	v_add_co_u32_e32 v6, vcc, v10, v3
	v_addc_co_u32_e32 v7, vcc, v11, v7, vcc
	global_load_dwordx2 v[6:7], v[6:7], off glc
	s_waitcnt vmcnt(0)
	global_atomic_cmpswap_x2 v[10:11], v2, v[6:9], s[44:45] offset:24 glc
	s_waitcnt vmcnt(0)
	buffer_wbinvl1_vol
	v_cmp_ne_u64_e32 vcc, v[10:11], v[8:9]
	s_and_saveexec_b64 s[10:11], vcc
	s_cbranch_execz .LBB6_1544
; %bb.1541:
	s_mov_b64 s[12:13], 0
.LBB6_1542:                             ; =>This Inner Loop Header: Depth=1
	s_sleep 1
	global_load_dwordx2 v[6:7], v2, s[44:45] offset:40
	global_load_dwordx2 v[12:13], v2, s[44:45]
	v_mov_b32_e32 v8, v10
	v_mov_b32_e32 v9, v11
	s_waitcnt vmcnt(1)
	v_and_b32_e32 v3, v6, v8
	s_waitcnt vmcnt(0)
	v_mad_u64_u32 v[10:11], s[14:15], v3, 24, v[12:13]
	v_and_b32_e32 v6, v7, v9
	v_mov_b32_e32 v3, v11
	v_mad_u64_u32 v[6:7], s[14:15], v6, 24, v[3:4]
	v_mov_b32_e32 v11, v6
	global_load_dwordx2 v[6:7], v[10:11], off glc
	s_waitcnt vmcnt(0)
	global_atomic_cmpswap_x2 v[10:11], v2, v[6:9], s[44:45] offset:24 glc
	s_waitcnt vmcnt(0)
	buffer_wbinvl1_vol
	v_cmp_eq_u64_e32 vcc, v[10:11], v[8:9]
	s_or_b64 s[12:13], vcc, s[12:13]
	s_andn2_b64 exec, exec, s[12:13]
	s_cbranch_execnz .LBB6_1542
; %bb.1543:
	s_or_b64 exec, exec, s[12:13]
.LBB6_1544:
	s_or_b64 exec, exec, s[10:11]
.LBB6_1545:
	s_or_b64 exec, exec, s[6:7]
	v_mov_b32_e32 v2, 0
	global_load_dwordx2 v[12:13], v2, s[44:45] offset:40
	global_load_dwordx4 v[6:9], v2, s[44:45]
	v_readfirstlane_b32 s6, v10
	v_readfirstlane_b32 s7, v11
	s_mov_b64 s[10:11], exec
	s_waitcnt vmcnt(1)
	v_readfirstlane_b32 s12, v12
	v_readfirstlane_b32 s13, v13
	s_and_b64 s[12:13], s[6:7], s[12:13]
	s_mul_i32 s14, s13, 24
	s_mul_hi_u32 s15, s12, 24
	s_mul_i32 s16, s12, 24
	s_add_i32 s14, s15, s14
	v_mov_b32_e32 v3, s14
	s_waitcnt vmcnt(0)
	v_add_co_u32_e32 v10, vcc, s16, v6
	v_addc_co_u32_e32 v11, vcc, v7, v3, vcc
	s_and_saveexec_b64 s[14:15], s[4:5]
	s_cbranch_execz .LBB6_1547
; %bb.1546:
	v_mov_b32_e32 v13, s11
	v_mov_b32_e32 v12, s10
	;; [unrolled: 1-line block ×4, first 2 shown]
	global_store_dwordx4 v[10:11], v[12:15], off offset:8
.LBB6_1547:
	s_or_b64 exec, exec, s[14:15]
	s_lshl_b64 s[10:11], s[12:13], 12
	v_mov_b32_e32 v3, s11
	v_add_co_u32_e32 v8, vcc, s10, v8
	v_addc_co_u32_e32 v9, vcc, v9, v3, vcc
	s_movk_i32 s10, 0xff1d
	v_and_or_b32 v0, v0, s10, 34
	s_mov_b32 s12, 0
	v_mov_b32_e32 v3, v2
	v_readfirstlane_b32 s10, v8
	v_readfirstlane_b32 s11, v9
	s_mov_b32 s13, s12
	s_mov_b32 s14, s12
	;; [unrolled: 1-line block ×3, first 2 shown]
	s_nop 1
	global_store_dwordx4 v50, v[0:3], s[10:11]
	s_nop 0
	v_mov_b32_e32 v0, s12
	v_mov_b32_e32 v1, s13
	;; [unrolled: 1-line block ×4, first 2 shown]
	global_store_dwordx4 v50, v[0:3], s[10:11] offset:16
	global_store_dwordx4 v50, v[0:3], s[10:11] offset:32
	;; [unrolled: 1-line block ×3, first 2 shown]
	s_and_saveexec_b64 s[10:11], s[4:5]
	s_cbranch_execz .LBB6_1555
; %bb.1548:
	v_mov_b32_e32 v8, 0
	global_load_dwordx2 v[14:15], v8, s[44:45] offset:32 glc
	global_load_dwordx2 v[0:1], v8, s[44:45] offset:40
	v_mov_b32_e32 v12, s6
	v_mov_b32_e32 v13, s7
	s_waitcnt vmcnt(0)
	v_readfirstlane_b32 s12, v0
	v_readfirstlane_b32 s13, v1
	s_and_b64 s[12:13], s[12:13], s[6:7]
	s_mul_i32 s13, s13, 24
	s_mul_hi_u32 s14, s12, 24
	s_mul_i32 s12, s12, 24
	s_add_i32 s13, s14, s13
	v_mov_b32_e32 v0, s13
	v_add_co_u32_e32 v6, vcc, s12, v6
	v_addc_co_u32_e32 v7, vcc, v7, v0, vcc
	global_store_dwordx2 v[6:7], v[14:15], off
	s_waitcnt vmcnt(0)
	global_atomic_cmpswap_x2 v[2:3], v8, v[12:15], s[44:45] offset:32 glc
	s_waitcnt vmcnt(0)
	v_cmp_ne_u64_e32 vcc, v[2:3], v[14:15]
	s_and_saveexec_b64 s[12:13], vcc
	s_cbranch_execz .LBB6_1551
; %bb.1549:
	s_mov_b64 s[14:15], 0
.LBB6_1550:                             ; =>This Inner Loop Header: Depth=1
	s_sleep 1
	global_store_dwordx2 v[6:7], v[2:3], off
	v_mov_b32_e32 v0, s6
	v_mov_b32_e32 v1, s7
	s_waitcnt vmcnt(0)
	global_atomic_cmpswap_x2 v[0:1], v8, v[0:3], s[44:45] offset:32 glc
	s_waitcnt vmcnt(0)
	v_cmp_eq_u64_e32 vcc, v[0:1], v[2:3]
	v_mov_b32_e32 v3, v1
	s_or_b64 s[14:15], vcc, s[14:15]
	v_mov_b32_e32 v2, v0
	s_andn2_b64 exec, exec, s[14:15]
	s_cbranch_execnz .LBB6_1550
.LBB6_1551:
	s_or_b64 exec, exec, s[12:13]
	v_mov_b32_e32 v3, 0
	global_load_dwordx2 v[0:1], v3, s[44:45] offset:16
	s_mov_b64 s[12:13], exec
	v_mbcnt_lo_u32_b32 v2, s12, 0
	v_mbcnt_hi_u32_b32 v2, s13, v2
	v_cmp_eq_u32_e32 vcc, 0, v2
	s_and_saveexec_b64 s[14:15], vcc
	s_cbranch_execz .LBB6_1553
; %bb.1552:
	s_bcnt1_i32_b64 s12, s[12:13]
	v_mov_b32_e32 v2, s12
	s_waitcnt vmcnt(0)
	global_atomic_add_x2 v[0:1], v[2:3], off offset:8
.LBB6_1553:
	s_or_b64 exec, exec, s[14:15]
	s_waitcnt vmcnt(0)
	global_load_dwordx2 v[2:3], v[0:1], off offset:16
	s_waitcnt vmcnt(0)
	v_cmp_eq_u64_e32 vcc, 0, v[2:3]
	s_cbranch_vccnz .LBB6_1555
; %bb.1554:
	global_load_dword v0, v[0:1], off offset:24
	v_mov_b32_e32 v1, 0
	s_waitcnt vmcnt(0)
	global_store_dwordx2 v[2:3], v[0:1], off
	v_and_b32_e32 v0, 0xffffff, v0
	v_readfirstlane_b32 m0, v0
	s_sendmsg sendmsg(MSG_INTERRUPT)
.LBB6_1555:
	s_or_b64 exec, exec, s[10:11]
	s_branch .LBB6_1559
.LBB6_1556:                             ;   in Loop: Header=BB6_1559 Depth=1
	s_or_b64 exec, exec, s[10:11]
	v_readfirstlane_b32 s10, v0
	s_cmp_eq_u32 s10, 0
	s_cbranch_scc1 .LBB6_1558
; %bb.1557:                             ;   in Loop: Header=BB6_1559 Depth=1
	s_sleep 1
	s_cbranch_execnz .LBB6_1559
	s_branch .LBB6_1561
.LBB6_1558:
	s_branch .LBB6_1561
.LBB6_1559:                             ; =>This Inner Loop Header: Depth=1
	v_mov_b32_e32 v0, 1
	s_and_saveexec_b64 s[10:11], s[4:5]
	s_cbranch_execz .LBB6_1556
; %bb.1560:                             ;   in Loop: Header=BB6_1559 Depth=1
	global_load_dword v0, v[10:11], off offset:20 glc
	s_waitcnt vmcnt(0)
	buffer_wbinvl1_vol
	v_and_b32_e32 v0, 1, v0
	s_branch .LBB6_1556
.LBB6_1561:
	s_and_saveexec_b64 s[10:11], s[4:5]
	s_cbranch_execz .LBB6_1564
; %bb.1562:
	v_mov_b32_e32 v8, 0
	global_load_dwordx2 v[2:3], v8, s[44:45] offset:40
	global_load_dwordx2 v[9:10], v8, s[44:45] offset:24 glc
	global_load_dwordx2 v[6:7], v8, s[44:45]
	v_mov_b32_e32 v1, s7
	s_mov_b64 s[4:5], 0
	s_waitcnt vmcnt(2)
	v_add_co_u32_e32 v11, vcc, 1, v2
	v_addc_co_u32_e32 v12, vcc, 0, v3, vcc
	v_add_co_u32_e32 v0, vcc, s6, v11
	v_addc_co_u32_e32 v1, vcc, v12, v1, vcc
	v_cmp_eq_u64_e32 vcc, 0, v[0:1]
	v_cndmask_b32_e32 v1, v1, v12, vcc
	v_cndmask_b32_e32 v0, v0, v11, vcc
	v_and_b32_e32 v3, v1, v3
	v_and_b32_e32 v2, v0, v2
	v_mul_lo_u32 v3, v3, 24
	v_mul_hi_u32 v11, v2, 24
	v_mul_lo_u32 v12, v2, 24
	s_waitcnt vmcnt(1)
	v_mov_b32_e32 v2, v9
	v_add_u32_e32 v3, v11, v3
	s_waitcnt vmcnt(0)
	v_add_co_u32_e32 v6, vcc, v6, v12
	v_addc_co_u32_e32 v7, vcc, v7, v3, vcc
	global_store_dwordx2 v[6:7], v[9:10], off
	v_mov_b32_e32 v3, v10
	s_waitcnt vmcnt(0)
	global_atomic_cmpswap_x2 v[2:3], v8, v[0:3], s[44:45] offset:24 glc
	s_waitcnt vmcnt(0)
	v_cmp_ne_u64_e32 vcc, v[2:3], v[9:10]
	s_and_b64 exec, exec, vcc
	s_cbranch_execz .LBB6_1564
.LBB6_1563:                             ; =>This Inner Loop Header: Depth=1
	s_sleep 1
	global_store_dwordx2 v[6:7], v[2:3], off
	s_waitcnt vmcnt(0)
	global_atomic_cmpswap_x2 v[9:10], v8, v[0:3], s[44:45] offset:24 glc
	s_waitcnt vmcnt(0)
	v_cmp_eq_u64_e32 vcc, v[9:10], v[2:3]
	v_mov_b32_e32 v2, v9
	s_or_b64 s[4:5], vcc, s[4:5]
	v_mov_b32_e32 v3, v10
	s_andn2_b64 exec, exec, s[4:5]
	s_cbranch_execnz .LBB6_1563
.LBB6_1564:
	s_or_b64 exec, exec, s[10:11]
.LBB6_1565:
	s_waitcnt vmcnt(0)
	v_mov_b32_e32 v0, v4
	v_mov_b32_e32 v1, v5
	s_getpc_b64 s[52:53]
	s_add_u32 s52, s52, _ZNK8migraphx13basic_printerIZNS_4coutEvEUlT_E_ElsEPKc@rel32@lo+4
	s_addc_u32 s53, s53, _ZNK8migraphx13basic_printerIZNS_4coutEvEUlT_E_ElsEPKc@rel32@hi+12
	s_mov_b64 s[38:39], s[8:9]
	s_swappc_b64 s[30:31], s[52:53]
	s_getpc_b64 s[4:5]
	s_add_u32 s4, s4, .str.5@rel32@lo+4
	s_addc_u32 s5, s5, .str.5@rel32@hi+12
	s_mov_b64 s[8:9], s[38:39]
	v_mov_b32_e32 v0, s4
	v_mov_b32_e32 v1, s5
	s_swappc_b64 s[30:31], s[52:53]
	s_mov_b64 s[8:9], s[38:39]
	v_mov_b32_e32 v0, v36
	v_mov_b32_e32 v1, v37
	s_getpc_b64 s[4:5]
	s_add_u32 s4, s4, _ZN8migraphx4testlsIKNS_13basic_printerIZNS_4coutEvEUlT_E_EEEERS3_S7_RKNS0_10expressionINS0_14lhs_expressionIRiNS0_3nopEEEiNS0_5equalEEE@rel32@lo+4
	s_addc_u32 s5, s5, _ZN8migraphx4testlsIKNS_13basic_printerIZNS_4coutEvEUlT_E_EEEERS3_S7_RKNS0_10expressionINS0_14lhs_expressionIRiNS0_3nopEEEiNS0_5equalEEE@rel32@hi+12
	s_swappc_b64 s[30:31], s[4:5]
	s_getpc_b64 s[4:5]
	s_add_u32 s4, s4, .str.6@rel32@lo+4
	s_addc_u32 s5, s5, .str.6@rel32@hi+12
	s_mov_b64 s[8:9], s[38:39]
	v_mov_b32_e32 v0, s4
	v_mov_b32_e32 v1, s5
	s_mov_b64 s[24:25], s[38:39]
	s_swappc_b64 s[30:31], s[52:53]
	v_readfirstlane_b32 s4, v51
	v_mov_b32_e32 v5, 0
	v_mov_b32_e32 v6, 0
	v_cmp_eq_u32_e64 s[4:5], s4, v51
	s_and_saveexec_b64 s[6:7], s[4:5]
	s_mov_b32 s14, s50
	s_mov_b32 s13, s49
	;; [unrolled: 1-line block ×3, first 2 shown]
	s_cbranch_execz .LBB6_1571
; %bb.1566:
	v_mov_b32_e32 v0, 0
	global_load_dwordx2 v[3:4], v0, s[44:45] offset:24 glc
	s_waitcnt vmcnt(0)
	buffer_wbinvl1_vol
	global_load_dwordx2 v[1:2], v0, s[44:45] offset:40
	global_load_dwordx2 v[5:6], v0, s[44:45]
	s_waitcnt vmcnt(1)
	v_and_b32_e32 v1, v1, v3
	v_and_b32_e32 v2, v2, v4
	v_mul_lo_u32 v2, v2, 24
	v_mul_hi_u32 v7, v1, 24
	v_mul_lo_u32 v1, v1, 24
	v_add_u32_e32 v2, v7, v2
	s_waitcnt vmcnt(0)
	v_add_co_u32_e32 v1, vcc, v5, v1
	v_addc_co_u32_e32 v2, vcc, v6, v2, vcc
	global_load_dwordx2 v[1:2], v[1:2], off glc
	s_waitcnt vmcnt(0)
	global_atomic_cmpswap_x2 v[5:6], v0, v[1:4], s[44:45] offset:24 glc
	s_waitcnt vmcnt(0)
	buffer_wbinvl1_vol
	v_cmp_ne_u64_e32 vcc, v[5:6], v[3:4]
	s_and_saveexec_b64 s[8:9], vcc
	s_cbranch_execz .LBB6_1570
; %bb.1567:
	s_mov_b64 s[10:11], 0
.LBB6_1568:                             ; =>This Inner Loop Header: Depth=1
	s_sleep 1
	global_load_dwordx2 v[1:2], v0, s[44:45] offset:40
	global_load_dwordx2 v[7:8], v0, s[44:45]
	v_mov_b32_e32 v3, v5
	v_mov_b32_e32 v4, v6
	s_waitcnt vmcnt(1)
	v_and_b32_e32 v1, v1, v3
	s_waitcnt vmcnt(0)
	v_mad_u64_u32 v[5:6], s[16:17], v1, 24, v[7:8]
	v_and_b32_e32 v2, v2, v4
	v_mov_b32_e32 v1, v6
	v_mad_u64_u32 v[1:2], s[16:17], v2, 24, v[1:2]
	v_mov_b32_e32 v6, v1
	global_load_dwordx2 v[1:2], v[5:6], off glc
	s_waitcnt vmcnt(0)
	global_atomic_cmpswap_x2 v[5:6], v0, v[1:4], s[44:45] offset:24 glc
	s_waitcnt vmcnt(0)
	buffer_wbinvl1_vol
	v_cmp_eq_u64_e32 vcc, v[5:6], v[3:4]
	s_or_b64 s[10:11], vcc, s[10:11]
	s_andn2_b64 exec, exec, s[10:11]
	s_cbranch_execnz .LBB6_1568
; %bb.1569:
	s_or_b64 exec, exec, s[10:11]
.LBB6_1570:
	s_or_b64 exec, exec, s[8:9]
.LBB6_1571:
	s_or_b64 exec, exec, s[6:7]
	v_mov_b32_e32 v4, 0
	global_load_dwordx2 v[7:8], v4, s[44:45] offset:40
	global_load_dwordx4 v[0:3], v4, s[44:45]
	v_readfirstlane_b32 s6, v5
	v_readfirstlane_b32 s7, v6
	s_mov_b64 s[8:9], exec
	s_waitcnt vmcnt(1)
	v_readfirstlane_b32 s10, v7
	v_readfirstlane_b32 s11, v8
	s_and_b64 s[10:11], s[6:7], s[10:11]
	s_mul_i32 s15, s11, 24
	s_mul_hi_u32 s16, s10, 24
	s_mul_i32 s17, s10, 24
	s_add_i32 s15, s16, s15
	v_mov_b32_e32 v5, s15
	s_waitcnt vmcnt(0)
	v_add_co_u32_e32 v7, vcc, s17, v0
	v_addc_co_u32_e32 v8, vcc, v1, v5, vcc
	s_and_saveexec_b64 s[16:17], s[4:5]
	s_cbranch_execz .LBB6_1573
; %bb.1572:
	v_mov_b32_e32 v10, s9
	v_mov_b32_e32 v9, s8
	;; [unrolled: 1-line block ×4, first 2 shown]
	global_store_dwordx4 v[7:8], v[9:12], off offset:8
.LBB6_1573:
	s_or_b64 exec, exec, s[16:17]
	s_lshl_b64 s[8:9], s[10:11], 12
	v_mov_b32_e32 v5, s9
	v_add_co_u32_e32 v2, vcc, s8, v2
	v_addc_co_u32_e32 v11, vcc, v3, v5, vcc
	s_mov_b32 s8, 0
	v_mov_b32_e32 v3, 33
	v_mov_b32_e32 v5, v4
	;; [unrolled: 1-line block ×3, first 2 shown]
	v_readfirstlane_b32 s16, v2
	v_readfirstlane_b32 s17, v11
	v_add_co_u32_e32 v9, vcc, v2, v50
	s_mov_b32 s9, s8
	s_mov_b32 s10, s8
	;; [unrolled: 1-line block ×3, first 2 shown]
	s_nop 0
	global_store_dwordx4 v50, v[3:6], s[16:17]
	v_mov_b32_e32 v2, s8
	v_addc_co_u32_e32 v10, vcc, 0, v11, vcc
	v_mov_b32_e32 v3, s9
	v_mov_b32_e32 v4, s10
	;; [unrolled: 1-line block ×3, first 2 shown]
	global_store_dwordx4 v50, v[2:5], s[16:17] offset:16
	global_store_dwordx4 v50, v[2:5], s[16:17] offset:32
	;; [unrolled: 1-line block ×3, first 2 shown]
	s_and_saveexec_b64 s[10:11], s[4:5]
	s_mov_b64 s[8:9], s[24:25]
	s_cbranch_execz .LBB6_1581
; %bb.1574:
	v_mov_b32_e32 v6, 0
	global_load_dwordx2 v[13:14], v6, s[44:45] offset:32 glc
	global_load_dwordx2 v[2:3], v6, s[44:45] offset:40
	v_mov_b32_e32 v11, s6
	v_mov_b32_e32 v12, s7
	s_waitcnt vmcnt(0)
	v_readfirstlane_b32 s16, v2
	v_readfirstlane_b32 s17, v3
	s_and_b64 s[16:17], s[16:17], s[6:7]
	s_mul_i32 s15, s17, 24
	s_mul_hi_u32 s17, s16, 24
	s_mul_i32 s16, s16, 24
	s_add_i32 s15, s17, s15
	v_mov_b32_e32 v2, s15
	v_add_co_u32_e32 v4, vcc, s16, v0
	v_addc_co_u32_e32 v5, vcc, v1, v2, vcc
	global_store_dwordx2 v[4:5], v[13:14], off
	s_waitcnt vmcnt(0)
	global_atomic_cmpswap_x2 v[2:3], v6, v[11:14], s[44:45] offset:32 glc
	s_waitcnt vmcnt(0)
	v_cmp_ne_u64_e32 vcc, v[2:3], v[13:14]
	s_and_saveexec_b64 s[16:17], vcc
	s_cbranch_execz .LBB6_1577
; %bb.1575:
	s_mov_b64 s[18:19], 0
.LBB6_1576:                             ; =>This Inner Loop Header: Depth=1
	s_sleep 1
	global_store_dwordx2 v[4:5], v[2:3], off
	v_mov_b32_e32 v0, s6
	v_mov_b32_e32 v1, s7
	s_waitcnt vmcnt(0)
	global_atomic_cmpswap_x2 v[0:1], v6, v[0:3], s[44:45] offset:32 glc
	s_waitcnt vmcnt(0)
	v_cmp_eq_u64_e32 vcc, v[0:1], v[2:3]
	v_mov_b32_e32 v3, v1
	s_or_b64 s[18:19], vcc, s[18:19]
	v_mov_b32_e32 v2, v0
	s_andn2_b64 exec, exec, s[18:19]
	s_cbranch_execnz .LBB6_1576
.LBB6_1577:
	s_or_b64 exec, exec, s[16:17]
	v_mov_b32_e32 v3, 0
	global_load_dwordx2 v[0:1], v3, s[44:45] offset:16
	s_mov_b64 s[16:17], exec
	v_mbcnt_lo_u32_b32 v2, s16, 0
	v_mbcnt_hi_u32_b32 v2, s17, v2
	v_cmp_eq_u32_e32 vcc, 0, v2
	s_and_saveexec_b64 s[18:19], vcc
	s_cbranch_execz .LBB6_1579
; %bb.1578:
	s_bcnt1_i32_b64 s15, s[16:17]
	v_mov_b32_e32 v2, s15
	s_waitcnt vmcnt(0)
	global_atomic_add_x2 v[0:1], v[2:3], off offset:8
.LBB6_1579:
	s_or_b64 exec, exec, s[18:19]
	s_waitcnt vmcnt(0)
	global_load_dwordx2 v[2:3], v[0:1], off offset:16
	s_waitcnt vmcnt(0)
	v_cmp_eq_u64_e32 vcc, 0, v[2:3]
	s_cbranch_vccnz .LBB6_1581
; %bb.1580:
	global_load_dword v0, v[0:1], off offset:24
	v_mov_b32_e32 v1, 0
	s_waitcnt vmcnt(0)
	global_store_dwordx2 v[2:3], v[0:1], off
	v_and_b32_e32 v0, 0xffffff, v0
	v_readfirstlane_b32 m0, v0
	s_sendmsg sendmsg(MSG_INTERRUPT)
.LBB6_1581:
	s_or_b64 exec, exec, s[10:11]
	s_branch .LBB6_1585
.LBB6_1582:                             ;   in Loop: Header=BB6_1585 Depth=1
	s_or_b64 exec, exec, s[10:11]
	v_readfirstlane_b32 s10, v0
	s_cmp_eq_u32 s10, 0
	s_cbranch_scc1 .LBB6_1584
; %bb.1583:                             ;   in Loop: Header=BB6_1585 Depth=1
	s_sleep 1
	s_cbranch_execnz .LBB6_1585
	s_branch .LBB6_1587
.LBB6_1584:
	s_branch .LBB6_1587
.LBB6_1585:                             ; =>This Inner Loop Header: Depth=1
	v_mov_b32_e32 v0, 1
	s_and_saveexec_b64 s[10:11], s[4:5]
	s_cbranch_execz .LBB6_1582
; %bb.1586:                             ;   in Loop: Header=BB6_1585 Depth=1
	global_load_dword v0, v[7:8], off offset:20 glc
	s_waitcnt vmcnt(0)
	buffer_wbinvl1_vol
	v_and_b32_e32 v0, 1, v0
	s_branch .LBB6_1582
.LBB6_1587:
	global_load_dwordx2 v[0:1], v[9:10], off
	s_and_saveexec_b64 s[10:11], s[4:5]
	s_cbranch_execz .LBB6_1590
; %bb.1588:
	v_mov_b32_e32 v8, 0
	global_load_dwordx2 v[4:5], v8, s[44:45] offset:40
	global_load_dwordx2 v[9:10], v8, s[44:45] offset:24 glc
	global_load_dwordx2 v[6:7], v8, s[44:45]
	v_mov_b32_e32 v3, s7
	s_mov_b64 s[4:5], 0
	s_waitcnt vmcnt(2)
	v_add_co_u32_e32 v11, vcc, 1, v4
	v_addc_co_u32_e32 v12, vcc, 0, v5, vcc
	v_add_co_u32_e32 v2, vcc, s6, v11
	v_addc_co_u32_e32 v3, vcc, v12, v3, vcc
	v_cmp_eq_u64_e32 vcc, 0, v[2:3]
	v_cndmask_b32_e32 v3, v3, v12, vcc
	v_cndmask_b32_e32 v2, v2, v11, vcc
	v_and_b32_e32 v5, v3, v5
	v_and_b32_e32 v4, v2, v4
	v_mul_lo_u32 v5, v5, 24
	v_mul_hi_u32 v11, v4, 24
	v_mul_lo_u32 v12, v4, 24
	s_waitcnt vmcnt(1)
	v_mov_b32_e32 v4, v9
	v_add_u32_e32 v5, v11, v5
	s_waitcnt vmcnt(0)
	v_add_co_u32_e32 v6, vcc, v6, v12
	v_addc_co_u32_e32 v7, vcc, v7, v5, vcc
	global_store_dwordx2 v[6:7], v[9:10], off
	v_mov_b32_e32 v5, v10
	s_waitcnt vmcnt(0)
	global_atomic_cmpswap_x2 v[4:5], v8, v[2:5], s[44:45] offset:24 glc
	s_waitcnt vmcnt(0)
	v_cmp_ne_u64_e32 vcc, v[4:5], v[9:10]
	s_and_b64 exec, exec, vcc
	s_cbranch_execz .LBB6_1590
.LBB6_1589:                             ; =>This Inner Loop Header: Depth=1
	s_sleep 1
	global_store_dwordx2 v[6:7], v[4:5], off
	s_waitcnt vmcnt(0)
	global_atomic_cmpswap_x2 v[9:10], v8, v[2:5], s[44:45] offset:24 glc
	s_waitcnt vmcnt(0)
	v_cmp_eq_u64_e32 vcc, v[9:10], v[4:5]
	v_mov_b32_e32 v4, v9
	s_or_b64 s[4:5], vcc, s[4:5]
	v_mov_b32_e32 v5, v10
	s_andn2_b64 exec, exec, s[4:5]
	s_cbranch_execnz .LBB6_1589
.LBB6_1590:
	s_or_b64 exec, exec, s[10:11]
	s_and_b64 vcc, exec, s[46:47]
	s_cbranch_vccz .LBB6_1675
; %bb.1591:
	s_waitcnt vmcnt(0)
	v_and_b32_e32 v31, 2, v0
	v_mov_b32_e32 v28, 0
	v_and_b32_e32 v2, -3, v0
	v_mov_b32_e32 v3, v1
	s_mov_b64 s[10:11], 3
	v_mov_b32_e32 v6, 2
	v_mov_b32_e32 v7, 1
	s_getpc_b64 s[6:7]
	s_add_u32 s6, s6, .str.8@rel32@lo+4
	s_addc_u32 s7, s7, .str.8@rel32@hi+12
	s_branch .LBB6_1593
.LBB6_1592:                             ;   in Loop: Header=BB6_1593 Depth=1
	s_or_b64 exec, exec, s[20:21]
	s_sub_u32 s10, s10, s16
	s_subb_u32 s11, s11, s17
	s_add_u32 s6, s6, s16
	s_addc_u32 s7, s7, s17
	s_cmp_lg_u64 s[10:11], 0
	s_cbranch_scc0 .LBB6_1674
.LBB6_1593:                             ; =>This Loop Header: Depth=1
                                        ;     Child Loop BB6_1596 Depth 2
                                        ;     Child Loop BB6_1603 Depth 2
	;; [unrolled: 1-line block ×11, first 2 shown]
	v_cmp_lt_u64_e64 s[4:5], s[10:11], 56
	v_cmp_gt_u64_e64 s[18:19], s[10:11], 7
	s_and_b64 s[4:5], s[4:5], exec
	s_cselect_b32 s17, s11, 0
	s_cselect_b32 s16, s10, 56
	s_and_b64 vcc, exec, s[18:19]
	s_cbranch_vccnz .LBB6_1598
; %bb.1594:                             ;   in Loop: Header=BB6_1593 Depth=1
	v_mov_b32_e32 v10, 0
	s_cmp_eq_u64 s[10:11], 0
	v_mov_b32_e32 v11, 0
	s_mov_b64 s[4:5], 0
	s_cbranch_scc1 .LBB6_1597
; %bb.1595:                             ;   in Loop: Header=BB6_1593 Depth=1
	v_mov_b32_e32 v10, 0
	s_lshl_b64 s[18:19], s[16:17], 3
	s_mov_b64 s[20:21], 0
	v_mov_b32_e32 v11, 0
	s_mov_b64 s[22:23], s[6:7]
.LBB6_1596:                             ;   Parent Loop BB6_1593 Depth=1
                                        ; =>  This Inner Loop Header: Depth=2
	global_load_ubyte v4, v28, s[22:23]
	s_waitcnt vmcnt(0)
	v_and_b32_e32 v27, 0xffff, v4
	v_lshlrev_b64 v[4:5], s20, v[27:28]
	s_add_u32 s20, s20, 8
	s_addc_u32 s21, s21, 0
	s_add_u32 s22, s22, 1
	s_addc_u32 s23, s23, 0
	v_or_b32_e32 v10, v4, v10
	s_cmp_lg_u32 s18, s20
	v_or_b32_e32 v11, v5, v11
	s_cbranch_scc1 .LBB6_1596
.LBB6_1597:                             ;   in Loop: Header=BB6_1593 Depth=1
	s_mov_b32 s15, 0
	s_andn2_b64 vcc, exec, s[4:5]
	s_mov_b64 s[4:5], s[6:7]
	s_cbranch_vccz .LBB6_1599
	s_branch .LBB6_1600
.LBB6_1598:                             ;   in Loop: Header=BB6_1593 Depth=1
                                        ; implicit-def: $vgpr10_vgpr11
                                        ; implicit-def: $sgpr15
	s_mov_b64 s[4:5], s[6:7]
.LBB6_1599:                             ;   in Loop: Header=BB6_1593 Depth=1
	global_load_dwordx2 v[10:11], v28, s[6:7]
	s_add_i32 s15, s16, -8
	s_add_u32 s4, s6, 8
	s_addc_u32 s5, s7, 0
.LBB6_1600:                             ;   in Loop: Header=BB6_1593 Depth=1
	s_cmp_gt_u32 s15, 7
	s_cbranch_scc1 .LBB6_1604
; %bb.1601:                             ;   in Loop: Header=BB6_1593 Depth=1
	s_cmp_eq_u32 s15, 0
	s_cbranch_scc1 .LBB6_1605
; %bb.1602:                             ;   in Loop: Header=BB6_1593 Depth=1
	v_mov_b32_e32 v12, 0
	s_mov_b64 s[18:19], 0
	v_mov_b32_e32 v13, 0
	s_mov_b64 s[20:21], 0
.LBB6_1603:                             ;   Parent Loop BB6_1593 Depth=1
                                        ; =>  This Inner Loop Header: Depth=2
	s_add_u32 s22, s4, s20
	s_addc_u32 s23, s5, s21
	global_load_ubyte v4, v28, s[22:23]
	s_add_u32 s20, s20, 1
	s_addc_u32 s21, s21, 0
	s_waitcnt vmcnt(0)
	v_and_b32_e32 v27, 0xffff, v4
	v_lshlrev_b64 v[4:5], s18, v[27:28]
	s_add_u32 s18, s18, 8
	s_addc_u32 s19, s19, 0
	v_or_b32_e32 v12, v4, v12
	s_cmp_lg_u32 s15, s20
	v_or_b32_e32 v13, v5, v13
	s_cbranch_scc1 .LBB6_1603
	s_branch .LBB6_1606
.LBB6_1604:                             ;   in Loop: Header=BB6_1593 Depth=1
                                        ; implicit-def: $vgpr12_vgpr13
                                        ; implicit-def: $sgpr22
	s_branch .LBB6_1607
.LBB6_1605:                             ;   in Loop: Header=BB6_1593 Depth=1
	v_mov_b32_e32 v12, 0
	v_mov_b32_e32 v13, 0
.LBB6_1606:                             ;   in Loop: Header=BB6_1593 Depth=1
	s_mov_b32 s22, 0
	s_cbranch_execnz .LBB6_1608
.LBB6_1607:                             ;   in Loop: Header=BB6_1593 Depth=1
	global_load_dwordx2 v[12:13], v28, s[4:5]
	s_add_i32 s22, s15, -8
	s_add_u32 s4, s4, 8
	s_addc_u32 s5, s5, 0
.LBB6_1608:                             ;   in Loop: Header=BB6_1593 Depth=1
	s_cmp_gt_u32 s22, 7
	s_cbranch_scc1 .LBB6_1612
; %bb.1609:                             ;   in Loop: Header=BB6_1593 Depth=1
	s_cmp_eq_u32 s22, 0
	s_cbranch_scc1 .LBB6_1613
; %bb.1610:                             ;   in Loop: Header=BB6_1593 Depth=1
	v_mov_b32_e32 v14, 0
	s_mov_b64 s[18:19], 0
	v_mov_b32_e32 v15, 0
	s_mov_b64 s[20:21], 0
.LBB6_1611:                             ;   Parent Loop BB6_1593 Depth=1
                                        ; =>  This Inner Loop Header: Depth=2
	s_add_u32 s24, s4, s20
	s_addc_u32 s25, s5, s21
	global_load_ubyte v4, v28, s[24:25]
	s_add_u32 s20, s20, 1
	s_addc_u32 s21, s21, 0
	s_waitcnt vmcnt(0)
	v_and_b32_e32 v27, 0xffff, v4
	v_lshlrev_b64 v[4:5], s18, v[27:28]
	s_add_u32 s18, s18, 8
	s_addc_u32 s19, s19, 0
	v_or_b32_e32 v14, v4, v14
	s_cmp_lg_u32 s22, s20
	v_or_b32_e32 v15, v5, v15
	s_cbranch_scc1 .LBB6_1611
	s_branch .LBB6_1614
.LBB6_1612:                             ;   in Loop: Header=BB6_1593 Depth=1
                                        ; implicit-def: $sgpr15
	s_branch .LBB6_1615
.LBB6_1613:                             ;   in Loop: Header=BB6_1593 Depth=1
	v_mov_b32_e32 v14, 0
	v_mov_b32_e32 v15, 0
.LBB6_1614:                             ;   in Loop: Header=BB6_1593 Depth=1
	s_mov_b32 s15, 0
	s_cbranch_execnz .LBB6_1616
.LBB6_1615:                             ;   in Loop: Header=BB6_1593 Depth=1
	global_load_dwordx2 v[14:15], v28, s[4:5]
	s_add_i32 s15, s22, -8
	s_add_u32 s4, s4, 8
	s_addc_u32 s5, s5, 0
.LBB6_1616:                             ;   in Loop: Header=BB6_1593 Depth=1
	s_cmp_gt_u32 s15, 7
	s_cbranch_scc1 .LBB6_1620
; %bb.1617:                             ;   in Loop: Header=BB6_1593 Depth=1
	s_cmp_eq_u32 s15, 0
	s_cbranch_scc1 .LBB6_1621
; %bb.1618:                             ;   in Loop: Header=BB6_1593 Depth=1
	v_mov_b32_e32 v16, 0
	s_mov_b64 s[18:19], 0
	v_mov_b32_e32 v17, 0
	s_mov_b64 s[20:21], 0
.LBB6_1619:                             ;   Parent Loop BB6_1593 Depth=1
                                        ; =>  This Inner Loop Header: Depth=2
	s_add_u32 s22, s4, s20
	s_addc_u32 s23, s5, s21
	global_load_ubyte v4, v28, s[22:23]
	s_add_u32 s20, s20, 1
	s_addc_u32 s21, s21, 0
	s_waitcnt vmcnt(0)
	v_and_b32_e32 v27, 0xffff, v4
	v_lshlrev_b64 v[4:5], s18, v[27:28]
	s_add_u32 s18, s18, 8
	s_addc_u32 s19, s19, 0
	v_or_b32_e32 v16, v4, v16
	s_cmp_lg_u32 s15, s20
	v_or_b32_e32 v17, v5, v17
	s_cbranch_scc1 .LBB6_1619
	s_branch .LBB6_1622
.LBB6_1620:                             ;   in Loop: Header=BB6_1593 Depth=1
                                        ; implicit-def: $vgpr16_vgpr17
                                        ; implicit-def: $sgpr22
	s_branch .LBB6_1623
.LBB6_1621:                             ;   in Loop: Header=BB6_1593 Depth=1
	v_mov_b32_e32 v16, 0
	v_mov_b32_e32 v17, 0
.LBB6_1622:                             ;   in Loop: Header=BB6_1593 Depth=1
	s_mov_b32 s22, 0
	s_cbranch_execnz .LBB6_1624
.LBB6_1623:                             ;   in Loop: Header=BB6_1593 Depth=1
	global_load_dwordx2 v[16:17], v28, s[4:5]
	s_add_i32 s22, s15, -8
	s_add_u32 s4, s4, 8
	s_addc_u32 s5, s5, 0
.LBB6_1624:                             ;   in Loop: Header=BB6_1593 Depth=1
	s_cmp_gt_u32 s22, 7
	s_cbranch_scc1 .LBB6_1628
; %bb.1625:                             ;   in Loop: Header=BB6_1593 Depth=1
	s_cmp_eq_u32 s22, 0
	s_cbranch_scc1 .LBB6_1629
; %bb.1626:                             ;   in Loop: Header=BB6_1593 Depth=1
	v_mov_b32_e32 v18, 0
	s_mov_b64 s[18:19], 0
	v_mov_b32_e32 v19, 0
	s_mov_b64 s[20:21], 0
.LBB6_1627:                             ;   Parent Loop BB6_1593 Depth=1
                                        ; =>  This Inner Loop Header: Depth=2
	s_add_u32 s24, s4, s20
	s_addc_u32 s25, s5, s21
	global_load_ubyte v4, v28, s[24:25]
	s_add_u32 s20, s20, 1
	s_addc_u32 s21, s21, 0
	s_waitcnt vmcnt(0)
	v_and_b32_e32 v27, 0xffff, v4
	v_lshlrev_b64 v[4:5], s18, v[27:28]
	s_add_u32 s18, s18, 8
	s_addc_u32 s19, s19, 0
	v_or_b32_e32 v18, v4, v18
	s_cmp_lg_u32 s22, s20
	v_or_b32_e32 v19, v5, v19
	s_cbranch_scc1 .LBB6_1627
	s_branch .LBB6_1630
.LBB6_1628:                             ;   in Loop: Header=BB6_1593 Depth=1
                                        ; implicit-def: $sgpr15
	s_branch .LBB6_1631
.LBB6_1629:                             ;   in Loop: Header=BB6_1593 Depth=1
	v_mov_b32_e32 v18, 0
	v_mov_b32_e32 v19, 0
.LBB6_1630:                             ;   in Loop: Header=BB6_1593 Depth=1
	s_mov_b32 s15, 0
	s_cbranch_execnz .LBB6_1632
.LBB6_1631:                             ;   in Loop: Header=BB6_1593 Depth=1
	global_load_dwordx2 v[18:19], v28, s[4:5]
	s_add_i32 s15, s22, -8
	s_add_u32 s4, s4, 8
	s_addc_u32 s5, s5, 0
.LBB6_1632:                             ;   in Loop: Header=BB6_1593 Depth=1
	s_cmp_gt_u32 s15, 7
	s_cbranch_scc1 .LBB6_1636
; %bb.1633:                             ;   in Loop: Header=BB6_1593 Depth=1
	s_cmp_eq_u32 s15, 0
	s_cbranch_scc1 .LBB6_1637
; %bb.1634:                             ;   in Loop: Header=BB6_1593 Depth=1
	v_mov_b32_e32 v20, 0
	s_mov_b64 s[18:19], 0
	v_mov_b32_e32 v21, 0
	s_mov_b64 s[20:21], 0
.LBB6_1635:                             ;   Parent Loop BB6_1593 Depth=1
                                        ; =>  This Inner Loop Header: Depth=2
	s_add_u32 s22, s4, s20
	s_addc_u32 s23, s5, s21
	global_load_ubyte v4, v28, s[22:23]
	s_add_u32 s20, s20, 1
	s_addc_u32 s21, s21, 0
	s_waitcnt vmcnt(0)
	v_and_b32_e32 v27, 0xffff, v4
	v_lshlrev_b64 v[4:5], s18, v[27:28]
	s_add_u32 s18, s18, 8
	s_addc_u32 s19, s19, 0
	v_or_b32_e32 v20, v4, v20
	s_cmp_lg_u32 s15, s20
	v_or_b32_e32 v21, v5, v21
	s_cbranch_scc1 .LBB6_1635
	s_branch .LBB6_1638
.LBB6_1636:                             ;   in Loop: Header=BB6_1593 Depth=1
                                        ; implicit-def: $vgpr20_vgpr21
                                        ; implicit-def: $sgpr22
	s_branch .LBB6_1639
.LBB6_1637:                             ;   in Loop: Header=BB6_1593 Depth=1
	v_mov_b32_e32 v20, 0
	v_mov_b32_e32 v21, 0
.LBB6_1638:                             ;   in Loop: Header=BB6_1593 Depth=1
	s_mov_b32 s22, 0
	s_cbranch_execnz .LBB6_1640
.LBB6_1639:                             ;   in Loop: Header=BB6_1593 Depth=1
	global_load_dwordx2 v[20:21], v28, s[4:5]
	s_add_i32 s22, s15, -8
	s_add_u32 s4, s4, 8
	s_addc_u32 s5, s5, 0
.LBB6_1640:                             ;   in Loop: Header=BB6_1593 Depth=1
	s_cmp_gt_u32 s22, 7
	s_cbranch_scc1 .LBB6_1644
; %bb.1641:                             ;   in Loop: Header=BB6_1593 Depth=1
	s_cmp_eq_u32 s22, 0
	s_cbranch_scc1 .LBB6_1645
; %bb.1642:                             ;   in Loop: Header=BB6_1593 Depth=1
	v_mov_b32_e32 v22, 0
	s_mov_b64 s[18:19], 0
	v_mov_b32_e32 v23, 0
	s_mov_b64 s[20:21], s[4:5]
.LBB6_1643:                             ;   Parent Loop BB6_1593 Depth=1
                                        ; =>  This Inner Loop Header: Depth=2
	global_load_ubyte v4, v28, s[20:21]
	s_add_i32 s22, s22, -1
	s_waitcnt vmcnt(0)
	v_and_b32_e32 v27, 0xffff, v4
	v_lshlrev_b64 v[4:5], s18, v[27:28]
	s_add_u32 s18, s18, 8
	s_addc_u32 s19, s19, 0
	s_add_u32 s20, s20, 1
	s_addc_u32 s21, s21, 0
	v_or_b32_e32 v22, v4, v22
	s_cmp_lg_u32 s22, 0
	v_or_b32_e32 v23, v5, v23
	s_cbranch_scc1 .LBB6_1643
	s_branch .LBB6_1646
.LBB6_1644:                             ;   in Loop: Header=BB6_1593 Depth=1
	s_branch .LBB6_1647
.LBB6_1645:                             ;   in Loop: Header=BB6_1593 Depth=1
	v_mov_b32_e32 v22, 0
	v_mov_b32_e32 v23, 0
.LBB6_1646:                             ;   in Loop: Header=BB6_1593 Depth=1
	s_cbranch_execnz .LBB6_1648
.LBB6_1647:                             ;   in Loop: Header=BB6_1593 Depth=1
	global_load_dwordx2 v[22:23], v28, s[4:5]
.LBB6_1648:                             ;   in Loop: Header=BB6_1593 Depth=1
	v_readfirstlane_b32 s4, v51
	s_waitcnt vmcnt(0)
	v_mov_b32_e32 v4, 0
	v_mov_b32_e32 v5, 0
	v_cmp_eq_u32_e64 s[4:5], s4, v51
	s_and_saveexec_b64 s[18:19], s[4:5]
	s_cbranch_execz .LBB6_1654
; %bb.1649:                             ;   in Loop: Header=BB6_1593 Depth=1
	global_load_dwordx2 v[26:27], v28, s[44:45] offset:24 glc
	s_waitcnt vmcnt(0)
	buffer_wbinvl1_vol
	global_load_dwordx2 v[4:5], v28, s[44:45] offset:40
	global_load_dwordx2 v[8:9], v28, s[44:45]
	s_waitcnt vmcnt(1)
	v_and_b32_e32 v4, v4, v26
	v_and_b32_e32 v5, v5, v27
	v_mul_lo_u32 v5, v5, 24
	v_mul_hi_u32 v24, v4, 24
	v_mul_lo_u32 v4, v4, 24
	v_add_u32_e32 v5, v24, v5
	s_waitcnt vmcnt(0)
	v_add_co_u32_e32 v4, vcc, v8, v4
	v_addc_co_u32_e32 v5, vcc, v9, v5, vcc
	global_load_dwordx2 v[24:25], v[4:5], off glc
	s_waitcnt vmcnt(0)
	global_atomic_cmpswap_x2 v[4:5], v28, v[24:27], s[44:45] offset:24 glc
	s_waitcnt vmcnt(0)
	buffer_wbinvl1_vol
	v_cmp_ne_u64_e32 vcc, v[4:5], v[26:27]
	s_and_saveexec_b64 s[20:21], vcc
	s_cbranch_execz .LBB6_1653
; %bb.1650:                             ;   in Loop: Header=BB6_1593 Depth=1
	s_mov_b64 s[22:23], 0
.LBB6_1651:                             ;   Parent Loop BB6_1593 Depth=1
                                        ; =>  This Inner Loop Header: Depth=2
	s_sleep 1
	global_load_dwordx2 v[8:9], v28, s[44:45] offset:40
	global_load_dwordx2 v[24:25], v28, s[44:45]
	v_mov_b32_e32 v27, v5
	v_mov_b32_e32 v26, v4
	s_waitcnt vmcnt(1)
	v_and_b32_e32 v4, v8, v26
	s_waitcnt vmcnt(0)
	v_mad_u64_u32 v[4:5], s[24:25], v4, 24, v[24:25]
	v_and_b32_e32 v8, v9, v27
	v_mad_u64_u32 v[8:9], s[24:25], v8, 24, v[5:6]
	v_mov_b32_e32 v5, v8
	global_load_dwordx2 v[24:25], v[4:5], off glc
	s_waitcnt vmcnt(0)
	global_atomic_cmpswap_x2 v[4:5], v28, v[24:27], s[44:45] offset:24 glc
	s_waitcnt vmcnt(0)
	buffer_wbinvl1_vol
	v_cmp_eq_u64_e32 vcc, v[4:5], v[26:27]
	s_or_b64 s[22:23], vcc, s[22:23]
	s_andn2_b64 exec, exec, s[22:23]
	s_cbranch_execnz .LBB6_1651
; %bb.1652:                             ;   in Loop: Header=BB6_1593 Depth=1
	s_or_b64 exec, exec, s[22:23]
.LBB6_1653:                             ;   in Loop: Header=BB6_1593 Depth=1
	s_or_b64 exec, exec, s[20:21]
.LBB6_1654:                             ;   in Loop: Header=BB6_1593 Depth=1
	s_or_b64 exec, exec, s[18:19]
	global_load_dwordx2 v[8:9], v28, s[44:45] offset:40
	global_load_dwordx4 v[24:27], v28, s[44:45]
	v_readfirstlane_b32 s18, v4
	v_readfirstlane_b32 s19, v5
	s_mov_b64 s[20:21], exec
	s_waitcnt vmcnt(1)
	v_readfirstlane_b32 s22, v8
	v_readfirstlane_b32 s23, v9
	s_and_b64 s[22:23], s[18:19], s[22:23]
	s_mul_i32 s15, s23, 24
	s_mul_hi_u32 s24, s22, 24
	s_mul_i32 s25, s22, 24
	s_add_i32 s15, s24, s15
	v_mov_b32_e32 v4, s15
	s_waitcnt vmcnt(0)
	v_add_co_u32_e32 v29, vcc, s25, v24
	v_addc_co_u32_e32 v30, vcc, v25, v4, vcc
	s_and_saveexec_b64 s[24:25], s[4:5]
	s_cbranch_execz .LBB6_1656
; %bb.1655:                             ;   in Loop: Header=BB6_1593 Depth=1
	v_mov_b32_e32 v4, s20
	v_mov_b32_e32 v5, s21
	global_store_dwordx4 v[29:30], v[4:7], off offset:8
.LBB6_1656:                             ;   in Loop: Header=BB6_1593 Depth=1
	s_or_b64 exec, exec, s[24:25]
	s_lshl_b64 s[20:21], s[22:23], 12
	v_mov_b32_e32 v4, s21
	v_add_co_u32_e32 v26, vcc, s20, v26
	v_addc_co_u32_e32 v32, vcc, v27, v4, vcc
	v_cmp_gt_u64_e64 vcc, s[10:11], 56
	v_or_b32_e32 v5, v2, v31
	s_lshl_b32 s15, s16, 2
	v_cndmask_b32_e32 v2, v5, v2, vcc
	s_add_i32 s15, s15, 28
	v_or_b32_e32 v4, 0, v3
	s_and_b32 s15, s15, 0x1e0
	v_and_b32_e32 v2, 0xffffff1f, v2
	v_cndmask_b32_e32 v9, v4, v3, vcc
	v_or_b32_e32 v8, s15, v2
	v_readfirstlane_b32 s20, v26
	v_readfirstlane_b32 s21, v32
	s_nop 4
	global_store_dwordx4 v50, v[8:11], s[20:21]
	global_store_dwordx4 v50, v[12:15], s[20:21] offset:16
	global_store_dwordx4 v50, v[16:19], s[20:21] offset:32
	;; [unrolled: 1-line block ×3, first 2 shown]
	s_and_saveexec_b64 s[20:21], s[4:5]
	s_cbranch_execz .LBB6_1664
; %bb.1657:                             ;   in Loop: Header=BB6_1593 Depth=1
	global_load_dwordx2 v[12:13], v28, s[44:45] offset:32 glc
	global_load_dwordx2 v[2:3], v28, s[44:45] offset:40
	v_mov_b32_e32 v10, s18
	v_mov_b32_e32 v11, s19
	s_waitcnt vmcnt(0)
	v_readfirstlane_b32 s22, v2
	v_readfirstlane_b32 s23, v3
	s_and_b64 s[22:23], s[22:23], s[18:19]
	s_mul_i32 s15, s23, 24
	s_mul_hi_u32 s23, s22, 24
	s_mul_i32 s22, s22, 24
	s_add_i32 s15, s23, s15
	v_mov_b32_e32 v2, s15
	v_add_co_u32_e32 v8, vcc, s22, v24
	v_addc_co_u32_e32 v9, vcc, v25, v2, vcc
	global_store_dwordx2 v[8:9], v[12:13], off
	s_waitcnt vmcnt(0)
	global_atomic_cmpswap_x2 v[4:5], v28, v[10:13], s[44:45] offset:32 glc
	s_waitcnt vmcnt(0)
	v_cmp_ne_u64_e32 vcc, v[4:5], v[12:13]
	s_and_saveexec_b64 s[22:23], vcc
	s_cbranch_execz .LBB6_1660
; %bb.1658:                             ;   in Loop: Header=BB6_1593 Depth=1
	s_mov_b64 s[24:25], 0
.LBB6_1659:                             ;   Parent Loop BB6_1593 Depth=1
                                        ; =>  This Inner Loop Header: Depth=2
	s_sleep 1
	global_store_dwordx2 v[8:9], v[4:5], off
	v_mov_b32_e32 v2, s18
	v_mov_b32_e32 v3, s19
	s_waitcnt vmcnt(0)
	global_atomic_cmpswap_x2 v[2:3], v28, v[2:5], s[44:45] offset:32 glc
	s_waitcnt vmcnt(0)
	v_cmp_eq_u64_e32 vcc, v[2:3], v[4:5]
	v_mov_b32_e32 v5, v3
	s_or_b64 s[24:25], vcc, s[24:25]
	v_mov_b32_e32 v4, v2
	s_andn2_b64 exec, exec, s[24:25]
	s_cbranch_execnz .LBB6_1659
.LBB6_1660:                             ;   in Loop: Header=BB6_1593 Depth=1
	s_or_b64 exec, exec, s[22:23]
	global_load_dwordx2 v[2:3], v28, s[44:45] offset:16
	s_mov_b64 s[24:25], exec
	v_mbcnt_lo_u32_b32 v4, s24, 0
	v_mbcnt_hi_u32_b32 v4, s25, v4
	v_cmp_eq_u32_e32 vcc, 0, v4
	s_and_saveexec_b64 s[22:23], vcc
	s_cbranch_execz .LBB6_1662
; %bb.1661:                             ;   in Loop: Header=BB6_1593 Depth=1
	s_bcnt1_i32_b64 s15, s[24:25]
	v_mov_b32_e32 v27, s15
	s_waitcnt vmcnt(0)
	global_atomic_add_x2 v[2:3], v[27:28], off offset:8
.LBB6_1662:                             ;   in Loop: Header=BB6_1593 Depth=1
	s_or_b64 exec, exec, s[22:23]
	s_waitcnt vmcnt(0)
	global_load_dwordx2 v[4:5], v[2:3], off offset:16
	s_waitcnt vmcnt(0)
	v_cmp_eq_u64_e32 vcc, 0, v[4:5]
	s_cbranch_vccnz .LBB6_1664
; %bb.1663:                             ;   in Loop: Header=BB6_1593 Depth=1
	global_load_dword v27, v[2:3], off offset:24
	s_waitcnt vmcnt(0)
	v_and_b32_e32 v2, 0xffffff, v27
	v_readfirstlane_b32 m0, v2
	global_store_dwordx2 v[4:5], v[27:28], off
	s_sendmsg sendmsg(MSG_INTERRUPT)
.LBB6_1664:                             ;   in Loop: Header=BB6_1593 Depth=1
	s_or_b64 exec, exec, s[20:21]
	v_add_co_u32_e32 v2, vcc, v26, v50
	v_addc_co_u32_e32 v3, vcc, 0, v32, vcc
	s_branch .LBB6_1668
.LBB6_1665:                             ;   in Loop: Header=BB6_1668 Depth=2
	s_or_b64 exec, exec, s[20:21]
	v_readfirstlane_b32 s15, v4
	s_cmp_eq_u32 s15, 0
	s_cbranch_scc1 .LBB6_1667
; %bb.1666:                             ;   in Loop: Header=BB6_1668 Depth=2
	s_sleep 1
	s_cbranch_execnz .LBB6_1668
	s_branch .LBB6_1670
.LBB6_1667:                             ;   in Loop: Header=BB6_1593 Depth=1
	s_branch .LBB6_1670
.LBB6_1668:                             ;   Parent Loop BB6_1593 Depth=1
                                        ; =>  This Inner Loop Header: Depth=2
	v_mov_b32_e32 v4, 1
	s_and_saveexec_b64 s[20:21], s[4:5]
	s_cbranch_execz .LBB6_1665
; %bb.1669:                             ;   in Loop: Header=BB6_1668 Depth=2
	global_load_dword v4, v[29:30], off offset:20 glc
	s_waitcnt vmcnt(0)
	buffer_wbinvl1_vol
	v_and_b32_e32 v4, 1, v4
	s_branch .LBB6_1665
.LBB6_1670:                             ;   in Loop: Header=BB6_1593 Depth=1
	global_load_dwordx4 v[2:5], v[2:3], off
	s_and_saveexec_b64 s[20:21], s[4:5]
	s_cbranch_execz .LBB6_1592
; %bb.1671:                             ;   in Loop: Header=BB6_1593 Depth=1
	global_load_dwordx2 v[4:5], v28, s[44:45] offset:40
	global_load_dwordx2 v[12:13], v28, s[44:45] offset:24 glc
	global_load_dwordx2 v[14:15], v28, s[44:45]
	v_mov_b32_e32 v9, s19
	s_waitcnt vmcnt(2)
	v_add_co_u32_e32 v10, vcc, 1, v4
	v_addc_co_u32_e32 v11, vcc, 0, v5, vcc
	v_add_co_u32_e32 v8, vcc, s18, v10
	v_addc_co_u32_e32 v9, vcc, v11, v9, vcc
	v_cmp_eq_u64_e32 vcc, 0, v[8:9]
	v_cndmask_b32_e32 v9, v9, v11, vcc
	v_cndmask_b32_e32 v8, v8, v10, vcc
	v_and_b32_e32 v5, v9, v5
	v_and_b32_e32 v4, v8, v4
	v_mul_lo_u32 v5, v5, 24
	v_mul_hi_u32 v11, v4, 24
	v_mul_lo_u32 v4, v4, 24
	s_waitcnt vmcnt(1)
	v_mov_b32_e32 v10, v12
	v_add_u32_e32 v5, v11, v5
	s_waitcnt vmcnt(0)
	v_add_co_u32_e32 v4, vcc, v14, v4
	v_addc_co_u32_e32 v5, vcc, v15, v5, vcc
	global_store_dwordx2 v[4:5], v[12:13], off
	v_mov_b32_e32 v11, v13
	s_waitcnt vmcnt(0)
	global_atomic_cmpswap_x2 v[10:11], v28, v[8:11], s[44:45] offset:24 glc
	s_waitcnt vmcnt(0)
	v_cmp_ne_u64_e32 vcc, v[10:11], v[12:13]
	s_and_b64 exec, exec, vcc
	s_cbranch_execz .LBB6_1592
; %bb.1672:                             ;   in Loop: Header=BB6_1593 Depth=1
	s_mov_b64 s[4:5], 0
.LBB6_1673:                             ;   Parent Loop BB6_1593 Depth=1
                                        ; =>  This Inner Loop Header: Depth=2
	s_sleep 1
	global_store_dwordx2 v[4:5], v[10:11], off
	s_waitcnt vmcnt(0)
	global_atomic_cmpswap_x2 v[12:13], v28, v[8:11], s[44:45] offset:24 glc
	s_waitcnt vmcnt(0)
	v_cmp_eq_u64_e32 vcc, v[12:13], v[10:11]
	v_mov_b32_e32 v10, v12
	s_or_b64 s[4:5], vcc, s[4:5]
	v_mov_b32_e32 v11, v13
	s_andn2_b64 exec, exec, s[4:5]
	s_cbranch_execnz .LBB6_1673
	s_branch .LBB6_1592
.LBB6_1674:
	s_branch .LBB6_1702
.LBB6_1675:
                                        ; implicit-def: $vgpr2_vgpr3
	s_cbranch_execz .LBB6_1702
; %bb.1676:
	v_readfirstlane_b32 s4, v51
	v_mov_b32_e32 v8, 0
	v_mov_b32_e32 v9, 0
	v_cmp_eq_u32_e64 s[4:5], s4, v51
	s_and_saveexec_b64 s[6:7], s[4:5]
	s_cbranch_execz .LBB6_1682
; %bb.1677:
	s_waitcnt vmcnt(0)
	v_mov_b32_e32 v2, 0
	global_load_dwordx2 v[5:6], v2, s[44:45] offset:24 glc
	s_waitcnt vmcnt(0)
	buffer_wbinvl1_vol
	global_load_dwordx2 v[3:4], v2, s[44:45] offset:40
	global_load_dwordx2 v[7:8], v2, s[44:45]
	s_waitcnt vmcnt(1)
	v_and_b32_e32 v3, v3, v5
	v_and_b32_e32 v4, v4, v6
	v_mul_lo_u32 v4, v4, 24
	v_mul_hi_u32 v9, v3, 24
	v_mul_lo_u32 v3, v3, 24
	v_add_u32_e32 v4, v9, v4
	s_waitcnt vmcnt(0)
	v_add_co_u32_e32 v3, vcc, v7, v3
	v_addc_co_u32_e32 v4, vcc, v8, v4, vcc
	global_load_dwordx2 v[3:4], v[3:4], off glc
	s_waitcnt vmcnt(0)
	global_atomic_cmpswap_x2 v[8:9], v2, v[3:6], s[44:45] offset:24 glc
	s_waitcnt vmcnt(0)
	buffer_wbinvl1_vol
	v_cmp_ne_u64_e32 vcc, v[8:9], v[5:6]
	s_and_saveexec_b64 s[10:11], vcc
	s_cbranch_execz .LBB6_1681
; %bb.1678:
	s_mov_b64 s[16:17], 0
.LBB6_1679:                             ; =>This Inner Loop Header: Depth=1
	s_sleep 1
	global_load_dwordx2 v[3:4], v2, s[44:45] offset:40
	global_load_dwordx2 v[10:11], v2, s[44:45]
	v_mov_b32_e32 v5, v8
	v_mov_b32_e32 v6, v9
	s_waitcnt vmcnt(1)
	v_and_b32_e32 v3, v3, v5
	s_waitcnt vmcnt(0)
	v_mad_u64_u32 v[7:8], s[18:19], v3, 24, v[10:11]
	v_and_b32_e32 v4, v4, v6
	v_mov_b32_e32 v3, v8
	v_mad_u64_u32 v[3:4], s[18:19], v4, 24, v[3:4]
	v_mov_b32_e32 v8, v3
	global_load_dwordx2 v[3:4], v[7:8], off glc
	s_waitcnt vmcnt(0)
	global_atomic_cmpswap_x2 v[8:9], v2, v[3:6], s[44:45] offset:24 glc
	s_waitcnt vmcnt(0)
	buffer_wbinvl1_vol
	v_cmp_eq_u64_e32 vcc, v[8:9], v[5:6]
	s_or_b64 s[16:17], vcc, s[16:17]
	s_andn2_b64 exec, exec, s[16:17]
	s_cbranch_execnz .LBB6_1679
; %bb.1680:
	s_or_b64 exec, exec, s[16:17]
.LBB6_1681:
	s_or_b64 exec, exec, s[10:11]
.LBB6_1682:
	s_or_b64 exec, exec, s[6:7]
	s_waitcnt vmcnt(0)
	v_mov_b32_e32 v2, 0
	global_load_dwordx2 v[10:11], v2, s[44:45] offset:40
	global_load_dwordx4 v[4:7], v2, s[44:45]
	v_readfirstlane_b32 s6, v8
	v_readfirstlane_b32 s7, v9
	s_mov_b64 s[10:11], exec
	s_waitcnt vmcnt(1)
	v_readfirstlane_b32 s16, v10
	v_readfirstlane_b32 s17, v11
	s_and_b64 s[16:17], s[6:7], s[16:17]
	s_mul_i32 s15, s17, 24
	s_mul_hi_u32 s18, s16, 24
	s_mul_i32 s19, s16, 24
	s_add_i32 s15, s18, s15
	v_mov_b32_e32 v3, s15
	s_waitcnt vmcnt(0)
	v_add_co_u32_e32 v8, vcc, s19, v4
	v_addc_co_u32_e32 v9, vcc, v5, v3, vcc
	s_and_saveexec_b64 s[18:19], s[4:5]
	s_cbranch_execz .LBB6_1684
; %bb.1683:
	v_mov_b32_e32 v10, s10
	v_mov_b32_e32 v11, s11
	;; [unrolled: 1-line block ×4, first 2 shown]
	global_store_dwordx4 v[8:9], v[10:13], off offset:8
.LBB6_1684:
	s_or_b64 exec, exec, s[18:19]
	s_lshl_b64 s[10:11], s[16:17], 12
	v_mov_b32_e32 v3, s11
	v_add_co_u32_e32 v10, vcc, s10, v6
	v_addc_co_u32_e32 v11, vcc, v7, v3, vcc
	s_movk_i32 s10, 0xff1f
	v_and_or_b32 v0, v0, s10, 32
	s_mov_b32 s16, 0
	v_mov_b32_e32 v3, v2
	v_readfirstlane_b32 s10, v10
	v_readfirstlane_b32 s11, v11
	v_add_co_u32_e32 v6, vcc, v10, v50
	s_mov_b32 s17, s16
	s_mov_b32 s18, s16
	;; [unrolled: 1-line block ×3, first 2 shown]
	s_nop 0
	global_store_dwordx4 v50, v[0:3], s[10:11]
	v_addc_co_u32_e32 v7, vcc, 0, v11, vcc
	v_mov_b32_e32 v0, s16
	v_mov_b32_e32 v1, s17
	v_mov_b32_e32 v2, s18
	v_mov_b32_e32 v3, s19
	global_store_dwordx4 v50, v[0:3], s[10:11] offset:16
	global_store_dwordx4 v50, v[0:3], s[10:11] offset:32
	;; [unrolled: 1-line block ×3, first 2 shown]
	s_and_saveexec_b64 s[10:11], s[4:5]
	s_cbranch_execz .LBB6_1692
; %bb.1685:
	v_mov_b32_e32 v10, 0
	global_load_dwordx2 v[13:14], v10, s[44:45] offset:32 glc
	global_load_dwordx2 v[0:1], v10, s[44:45] offset:40
	v_mov_b32_e32 v11, s6
	v_mov_b32_e32 v12, s7
	s_waitcnt vmcnt(0)
	v_readfirstlane_b32 s16, v0
	v_readfirstlane_b32 s17, v1
	s_and_b64 s[16:17], s[16:17], s[6:7]
	s_mul_i32 s15, s17, 24
	s_mul_hi_u32 s17, s16, 24
	s_mul_i32 s16, s16, 24
	s_add_i32 s15, s17, s15
	v_mov_b32_e32 v0, s15
	v_add_co_u32_e32 v4, vcc, s16, v4
	v_addc_co_u32_e32 v5, vcc, v5, v0, vcc
	global_store_dwordx2 v[4:5], v[13:14], off
	s_waitcnt vmcnt(0)
	global_atomic_cmpswap_x2 v[2:3], v10, v[11:14], s[44:45] offset:32 glc
	s_waitcnt vmcnt(0)
	v_cmp_ne_u64_e32 vcc, v[2:3], v[13:14]
	s_and_saveexec_b64 s[16:17], vcc
	s_cbranch_execz .LBB6_1688
; %bb.1686:
	s_mov_b64 s[18:19], 0
.LBB6_1687:                             ; =>This Inner Loop Header: Depth=1
	s_sleep 1
	global_store_dwordx2 v[4:5], v[2:3], off
	v_mov_b32_e32 v0, s6
	v_mov_b32_e32 v1, s7
	s_waitcnt vmcnt(0)
	global_atomic_cmpswap_x2 v[0:1], v10, v[0:3], s[44:45] offset:32 glc
	s_waitcnt vmcnt(0)
	v_cmp_eq_u64_e32 vcc, v[0:1], v[2:3]
	v_mov_b32_e32 v3, v1
	s_or_b64 s[18:19], vcc, s[18:19]
	v_mov_b32_e32 v2, v0
	s_andn2_b64 exec, exec, s[18:19]
	s_cbranch_execnz .LBB6_1687
.LBB6_1688:
	s_or_b64 exec, exec, s[16:17]
	v_mov_b32_e32 v3, 0
	global_load_dwordx2 v[0:1], v3, s[44:45] offset:16
	s_mov_b64 s[16:17], exec
	v_mbcnt_lo_u32_b32 v2, s16, 0
	v_mbcnt_hi_u32_b32 v2, s17, v2
	v_cmp_eq_u32_e32 vcc, 0, v2
	s_and_saveexec_b64 s[18:19], vcc
	s_cbranch_execz .LBB6_1690
; %bb.1689:
	s_bcnt1_i32_b64 s15, s[16:17]
	v_mov_b32_e32 v2, s15
	s_waitcnt vmcnt(0)
	global_atomic_add_x2 v[0:1], v[2:3], off offset:8
.LBB6_1690:
	s_or_b64 exec, exec, s[18:19]
	s_waitcnt vmcnt(0)
	global_load_dwordx2 v[2:3], v[0:1], off offset:16
	s_waitcnt vmcnt(0)
	v_cmp_eq_u64_e32 vcc, 0, v[2:3]
	s_cbranch_vccnz .LBB6_1692
; %bb.1691:
	global_load_dword v0, v[0:1], off offset:24
	v_mov_b32_e32 v1, 0
	s_waitcnt vmcnt(0)
	global_store_dwordx2 v[2:3], v[0:1], off
	v_and_b32_e32 v0, 0xffffff, v0
	v_readfirstlane_b32 m0, v0
	s_sendmsg sendmsg(MSG_INTERRUPT)
.LBB6_1692:
	s_or_b64 exec, exec, s[10:11]
	s_branch .LBB6_1696
.LBB6_1693:                             ;   in Loop: Header=BB6_1696 Depth=1
	s_or_b64 exec, exec, s[10:11]
	v_readfirstlane_b32 s10, v0
	s_cmp_eq_u32 s10, 0
	s_cbranch_scc1 .LBB6_1695
; %bb.1694:                             ;   in Loop: Header=BB6_1696 Depth=1
	s_sleep 1
	s_cbranch_execnz .LBB6_1696
	s_branch .LBB6_1698
.LBB6_1695:
	s_branch .LBB6_1698
.LBB6_1696:                             ; =>This Inner Loop Header: Depth=1
	v_mov_b32_e32 v0, 1
	s_and_saveexec_b64 s[10:11], s[4:5]
	s_cbranch_execz .LBB6_1693
; %bb.1697:                             ;   in Loop: Header=BB6_1696 Depth=1
	global_load_dword v0, v[8:9], off offset:20 glc
	s_waitcnt vmcnt(0)
	buffer_wbinvl1_vol
	v_and_b32_e32 v0, 1, v0
	s_branch .LBB6_1693
.LBB6_1698:
	global_load_dwordx2 v[2:3], v[6:7], off
	s_and_saveexec_b64 s[10:11], s[4:5]
	s_cbranch_execz .LBB6_1701
; %bb.1699:
	v_mov_b32_e32 v8, 0
	global_load_dwordx2 v[0:1], v8, s[44:45] offset:40
	global_load_dwordx2 v[9:10], v8, s[44:45] offset:24 glc
	global_load_dwordx2 v[11:12], v8, s[44:45]
	v_mov_b32_e32 v5, s7
	s_mov_b64 s[4:5], 0
	s_waitcnt vmcnt(2)
	v_add_co_u32_e32 v6, vcc, 1, v0
	v_addc_co_u32_e32 v7, vcc, 0, v1, vcc
	v_add_co_u32_e32 v4, vcc, s6, v6
	v_addc_co_u32_e32 v5, vcc, v7, v5, vcc
	v_cmp_eq_u64_e32 vcc, 0, v[4:5]
	v_cndmask_b32_e32 v5, v5, v7, vcc
	v_cndmask_b32_e32 v4, v4, v6, vcc
	v_and_b32_e32 v1, v5, v1
	v_and_b32_e32 v0, v4, v0
	v_mul_lo_u32 v1, v1, 24
	v_mul_hi_u32 v7, v0, 24
	v_mul_lo_u32 v0, v0, 24
	s_waitcnt vmcnt(1)
	v_mov_b32_e32 v6, v9
	v_add_u32_e32 v1, v7, v1
	s_waitcnt vmcnt(0)
	v_add_co_u32_e32 v0, vcc, v11, v0
	v_addc_co_u32_e32 v1, vcc, v12, v1, vcc
	global_store_dwordx2 v[0:1], v[9:10], off
	v_mov_b32_e32 v7, v10
	s_waitcnt vmcnt(0)
	global_atomic_cmpswap_x2 v[6:7], v8, v[4:7], s[44:45] offset:24 glc
	s_waitcnt vmcnt(0)
	v_cmp_ne_u64_e32 vcc, v[6:7], v[9:10]
	s_and_b64 exec, exec, vcc
	s_cbranch_execz .LBB6_1701
.LBB6_1700:                             ; =>This Inner Loop Header: Depth=1
	s_sleep 1
	global_store_dwordx2 v[0:1], v[6:7], off
	s_waitcnt vmcnt(0)
	global_atomic_cmpswap_x2 v[9:10], v8, v[4:7], s[44:45] offset:24 glc
	s_waitcnt vmcnt(0)
	v_cmp_eq_u64_e32 vcc, v[9:10], v[6:7]
	v_mov_b32_e32 v6, v9
	s_or_b64 s[4:5], vcc, s[4:5]
	v_mov_b32_e32 v7, v10
	s_andn2_b64 exec, exec, s[4:5]
	s_cbranch_execnz .LBB6_1700
.LBB6_1701:
	s_or_b64 exec, exec, s[10:11]
.LBB6_1702:
	v_readfirstlane_b32 s4, v51
	s_waitcnt vmcnt(0)
	v_mov_b32_e32 v0, 0
	v_mov_b32_e32 v1, 0
	v_cmp_eq_u32_e64 s[4:5], s4, v51
	s_and_saveexec_b64 s[6:7], s[4:5]
	s_cbranch_execz .LBB6_1708
; %bb.1703:
	v_mov_b32_e32 v4, 0
	global_load_dwordx2 v[7:8], v4, s[44:45] offset:24 glc
	s_waitcnt vmcnt(0)
	buffer_wbinvl1_vol
	global_load_dwordx2 v[0:1], v4, s[44:45] offset:40
	global_load_dwordx2 v[5:6], v4, s[44:45]
	s_waitcnt vmcnt(1)
	v_and_b32_e32 v0, v0, v7
	v_and_b32_e32 v1, v1, v8
	v_mul_lo_u32 v1, v1, 24
	v_mul_hi_u32 v9, v0, 24
	v_mul_lo_u32 v0, v0, 24
	v_add_u32_e32 v1, v9, v1
	s_waitcnt vmcnt(0)
	v_add_co_u32_e32 v0, vcc, v5, v0
	v_addc_co_u32_e32 v1, vcc, v6, v1, vcc
	global_load_dwordx2 v[5:6], v[0:1], off glc
	s_waitcnt vmcnt(0)
	global_atomic_cmpswap_x2 v[0:1], v4, v[5:8], s[44:45] offset:24 glc
	s_waitcnt vmcnt(0)
	buffer_wbinvl1_vol
	v_cmp_ne_u64_e32 vcc, v[0:1], v[7:8]
	s_and_saveexec_b64 s[10:11], vcc
	s_cbranch_execz .LBB6_1707
; %bb.1704:
	s_mov_b64 s[16:17], 0
.LBB6_1705:                             ; =>This Inner Loop Header: Depth=1
	s_sleep 1
	global_load_dwordx2 v[5:6], v4, s[44:45] offset:40
	global_load_dwordx2 v[9:10], v4, s[44:45]
	v_mov_b32_e32 v8, v1
	v_mov_b32_e32 v7, v0
	s_waitcnt vmcnt(1)
	v_and_b32_e32 v0, v5, v7
	s_waitcnt vmcnt(0)
	v_mad_u64_u32 v[0:1], s[18:19], v0, 24, v[9:10]
	v_and_b32_e32 v5, v6, v8
	v_mad_u64_u32 v[5:6], s[18:19], v5, 24, v[1:2]
	v_mov_b32_e32 v1, v5
	global_load_dwordx2 v[5:6], v[0:1], off glc
	s_waitcnt vmcnt(0)
	global_atomic_cmpswap_x2 v[0:1], v4, v[5:8], s[44:45] offset:24 glc
	s_waitcnt vmcnt(0)
	buffer_wbinvl1_vol
	v_cmp_eq_u64_e32 vcc, v[0:1], v[7:8]
	s_or_b64 s[16:17], vcc, s[16:17]
	s_andn2_b64 exec, exec, s[16:17]
	s_cbranch_execnz .LBB6_1705
; %bb.1706:
	s_or_b64 exec, exec, s[16:17]
.LBB6_1707:
	s_or_b64 exec, exec, s[10:11]
.LBB6_1708:
	s_or_b64 exec, exec, s[6:7]
	v_mov_b32_e32 v5, 0
	global_load_dwordx2 v[10:11], v5, s[44:45] offset:40
	global_load_dwordx4 v[6:9], v5, s[44:45]
	v_readfirstlane_b32 s6, v0
	v_readfirstlane_b32 s7, v1
	s_mov_b64 s[10:11], exec
	s_waitcnt vmcnt(1)
	v_readfirstlane_b32 s16, v10
	v_readfirstlane_b32 s17, v11
	s_and_b64 s[16:17], s[6:7], s[16:17]
	s_mul_i32 s15, s17, 24
	s_mul_hi_u32 s18, s16, 24
	s_mul_i32 s19, s16, 24
	s_add_i32 s15, s18, s15
	v_mov_b32_e32 v0, s15
	s_waitcnt vmcnt(0)
	v_add_co_u32_e32 v10, vcc, s19, v6
	v_addc_co_u32_e32 v11, vcc, v7, v0, vcc
	s_and_saveexec_b64 s[18:19], s[4:5]
	s_cbranch_execz .LBB6_1710
; %bb.1709:
	v_mov_b32_e32 v13, s11
	v_mov_b32_e32 v12, s10
	;; [unrolled: 1-line block ×4, first 2 shown]
	global_store_dwordx4 v[10:11], v[12:15], off offset:8
.LBB6_1710:
	s_or_b64 exec, exec, s[18:19]
	s_lshl_b64 s[10:11], s[16:17], 12
	v_mov_b32_e32 v0, s11
	v_add_co_u32_e32 v1, vcc, s10, v8
	v_addc_co_u32_e32 v0, vcc, v9, v0, vcc
	s_movk_i32 s10, 0xff1d
	v_and_or_b32 v2, v2, s10, 34
	s_mov_b32 s16, 0
	v_mov_b32_e32 v4, 10
	v_readfirstlane_b32 s10, v1
	v_readfirstlane_b32 s11, v0
	s_mov_b32 s17, s16
	s_mov_b32 s18, s16
	;; [unrolled: 1-line block ×3, first 2 shown]
	s_nop 1
	global_store_dwordx4 v50, v[2:5], s[10:11]
	v_mov_b32_e32 v0, s16
	v_mov_b32_e32 v1, s17
	;; [unrolled: 1-line block ×4, first 2 shown]
	global_store_dwordx4 v50, v[0:3], s[10:11] offset:16
	global_store_dwordx4 v50, v[0:3], s[10:11] offset:32
	;; [unrolled: 1-line block ×3, first 2 shown]
	s_and_saveexec_b64 s[10:11], s[4:5]
	s_cbranch_execz .LBB6_1718
; %bb.1711:
	v_mov_b32_e32 v8, 0
	global_load_dwordx2 v[14:15], v8, s[44:45] offset:32 glc
	global_load_dwordx2 v[0:1], v8, s[44:45] offset:40
	v_mov_b32_e32 v12, s6
	v_mov_b32_e32 v13, s7
	s_waitcnt vmcnt(0)
	v_readfirstlane_b32 s16, v0
	v_readfirstlane_b32 s17, v1
	s_and_b64 s[16:17], s[16:17], s[6:7]
	s_mul_i32 s15, s17, 24
	s_mul_hi_u32 s17, s16, 24
	s_mul_i32 s16, s16, 24
	s_add_i32 s15, s17, s15
	v_mov_b32_e32 v0, s15
	v_add_co_u32_e32 v4, vcc, s16, v6
	v_addc_co_u32_e32 v5, vcc, v7, v0, vcc
	global_store_dwordx2 v[4:5], v[14:15], off
	s_waitcnt vmcnt(0)
	global_atomic_cmpswap_x2 v[2:3], v8, v[12:15], s[44:45] offset:32 glc
	s_waitcnt vmcnt(0)
	v_cmp_ne_u64_e32 vcc, v[2:3], v[14:15]
	s_and_saveexec_b64 s[16:17], vcc
	s_cbranch_execz .LBB6_1714
; %bb.1712:
	s_mov_b64 s[18:19], 0
.LBB6_1713:                             ; =>This Inner Loop Header: Depth=1
	s_sleep 1
	global_store_dwordx2 v[4:5], v[2:3], off
	v_mov_b32_e32 v0, s6
	v_mov_b32_e32 v1, s7
	s_waitcnt vmcnt(0)
	global_atomic_cmpswap_x2 v[0:1], v8, v[0:3], s[44:45] offset:32 glc
	s_waitcnt vmcnt(0)
	v_cmp_eq_u64_e32 vcc, v[0:1], v[2:3]
	v_mov_b32_e32 v3, v1
	s_or_b64 s[18:19], vcc, s[18:19]
	v_mov_b32_e32 v2, v0
	s_andn2_b64 exec, exec, s[18:19]
	s_cbranch_execnz .LBB6_1713
.LBB6_1714:
	s_or_b64 exec, exec, s[16:17]
	v_mov_b32_e32 v3, 0
	global_load_dwordx2 v[0:1], v3, s[44:45] offset:16
	s_mov_b64 s[16:17], exec
	v_mbcnt_lo_u32_b32 v2, s16, 0
	v_mbcnt_hi_u32_b32 v2, s17, v2
	v_cmp_eq_u32_e32 vcc, 0, v2
	s_and_saveexec_b64 s[18:19], vcc
	s_cbranch_execz .LBB6_1716
; %bb.1715:
	s_bcnt1_i32_b64 s15, s[16:17]
	v_mov_b32_e32 v2, s15
	s_waitcnt vmcnt(0)
	global_atomic_add_x2 v[0:1], v[2:3], off offset:8
.LBB6_1716:
	s_or_b64 exec, exec, s[18:19]
	s_waitcnt vmcnt(0)
	global_load_dwordx2 v[2:3], v[0:1], off offset:16
	s_waitcnt vmcnt(0)
	v_cmp_eq_u64_e32 vcc, 0, v[2:3]
	s_cbranch_vccnz .LBB6_1718
; %bb.1717:
	global_load_dword v0, v[0:1], off offset:24
	v_mov_b32_e32 v1, 0
	s_waitcnt vmcnt(0)
	global_store_dwordx2 v[2:3], v[0:1], off
	v_and_b32_e32 v0, 0xffffff, v0
	v_readfirstlane_b32 m0, v0
	s_sendmsg sendmsg(MSG_INTERRUPT)
.LBB6_1718:
	s_or_b64 exec, exec, s[10:11]
	s_branch .LBB6_1722
.LBB6_1719:                             ;   in Loop: Header=BB6_1722 Depth=1
	s_or_b64 exec, exec, s[10:11]
	v_readfirstlane_b32 s10, v0
	s_cmp_eq_u32 s10, 0
	s_cbranch_scc1 .LBB6_1721
; %bb.1720:                             ;   in Loop: Header=BB6_1722 Depth=1
	s_sleep 1
	s_cbranch_execnz .LBB6_1722
	s_branch .LBB6_1724
.LBB6_1721:
	s_branch .LBB6_1724
.LBB6_1722:                             ; =>This Inner Loop Header: Depth=1
	v_mov_b32_e32 v0, 1
	s_and_saveexec_b64 s[10:11], s[4:5]
	s_cbranch_execz .LBB6_1719
; %bb.1723:                             ;   in Loop: Header=BB6_1722 Depth=1
	global_load_dword v0, v[10:11], off offset:20 glc
	s_waitcnt vmcnt(0)
	buffer_wbinvl1_vol
	v_and_b32_e32 v0, 1, v0
	s_branch .LBB6_1719
.LBB6_1724:
	s_and_saveexec_b64 s[10:11], s[4:5]
	s_cbranch_execz .LBB6_1727
; %bb.1725:
	v_mov_b32_e32 v6, 0
	global_load_dwordx2 v[2:3], v6, s[44:45] offset:40
	global_load_dwordx2 v[7:8], v6, s[44:45] offset:24 glc
	global_load_dwordx2 v[4:5], v6, s[44:45]
	v_mov_b32_e32 v1, s7
	s_mov_b64 s[4:5], 0
	s_waitcnt vmcnt(2)
	v_add_co_u32_e32 v9, vcc, 1, v2
	v_addc_co_u32_e32 v10, vcc, 0, v3, vcc
	v_add_co_u32_e32 v0, vcc, s6, v9
	v_addc_co_u32_e32 v1, vcc, v10, v1, vcc
	v_cmp_eq_u64_e32 vcc, 0, v[0:1]
	v_cndmask_b32_e32 v1, v1, v10, vcc
	v_cndmask_b32_e32 v0, v0, v9, vcc
	v_and_b32_e32 v3, v1, v3
	v_and_b32_e32 v2, v0, v2
	v_mul_lo_u32 v3, v3, 24
	v_mul_hi_u32 v9, v2, 24
	v_mul_lo_u32 v10, v2, 24
	s_waitcnt vmcnt(1)
	v_mov_b32_e32 v2, v7
	v_add_u32_e32 v3, v9, v3
	s_waitcnt vmcnt(0)
	v_add_co_u32_e32 v4, vcc, v4, v10
	v_addc_co_u32_e32 v5, vcc, v5, v3, vcc
	global_store_dwordx2 v[4:5], v[7:8], off
	v_mov_b32_e32 v3, v8
	s_waitcnt vmcnt(0)
	global_atomic_cmpswap_x2 v[2:3], v6, v[0:3], s[44:45] offset:24 glc
	s_waitcnt vmcnt(0)
	v_cmp_ne_u64_e32 vcc, v[2:3], v[7:8]
	s_and_b64 exec, exec, vcc
	s_cbranch_execz .LBB6_1727
.LBB6_1726:                             ; =>This Inner Loop Header: Depth=1
	s_sleep 1
	global_store_dwordx2 v[4:5], v[2:3], off
	s_waitcnt vmcnt(0)
	global_atomic_cmpswap_x2 v[7:8], v6, v[0:3], s[44:45] offset:24 glc
	s_waitcnt vmcnt(0)
	v_cmp_eq_u64_e32 vcc, v[7:8], v[2:3]
	v_mov_b32_e32 v2, v7
	s_or_b64 s[4:5], vcc, s[4:5]
	v_mov_b32_e32 v3, v8
	s_andn2_b64 exec, exec, s[4:5]
	s_cbranch_execnz .LBB6_1726
.LBB6_1727:
	s_or_b64 exec, exec, s[10:11]
	flat_load_dwordx2 v[0:1], v[48:49]
	s_waitcnt vmcnt(0) lgkmcnt(0)
	flat_load_dword v2, v[0:1]
	s_waitcnt vmcnt(0) lgkmcnt(0)
	v_add_u32_e32 v2, 1, v2
	flat_store_dword v[0:1], v2
.LBB6_1728:
	s_or_b64 exec, exec, s[42:43]
	s_getpc_b64 s[4:5]
	s_add_u32 s4, s4, _ZN8migraphx4test4failEv@rel32@lo+4
	s_addc_u32 s5, s5, _ZN8migraphx4test4failEv@rel32@hi+12
	s_swappc_b64 s[30:31], s[4:5]
	; divergent unreachable
.LBB6_1729:
	s_or_b64 exec, exec, s[40:41]
	v_readlane_b32 s30, v41, 0
	v_readlane_b32 s31, v41, 1
	;; [unrolled: 1-line block ×3, first 2 shown]
	s_or_saveexec_b64 s[6:7], -1
	buffer_load_dword v41, off, s[0:3], s33 ; 4-byte Folded Reload
	s_mov_b64 exec, s[6:7]
	s_addk_i32 s32, 0xfc00
	s_mov_b32 s33, s4
	s_waitcnt vmcnt(0)
	s_setpc_b64 s[30:31]
.Lfunc_end6:
	.size	_ZN8migraphx4test12test_manager6failedINS0_10expressionINS0_14lhs_expressionIRiNS0_3nopEEEiNS0_5equalEEEPFvvEEEvRKT_PKcSG_SG_iT0_, .Lfunc_end6-_ZN8migraphx4test12test_manager6failedINS0_10expressionINS0_14lhs_expressionIRiNS0_3nopEEEiNS0_5equalEEEPFvvEEEvRKT_PKcSG_SG_iT0_
                                        ; -- End function
	.section	.AMDGPU.csdata,"",@progbits
; Function info:
; codeLenInByte = 59692
; NumSgprs: 58
; NumVgprs: 52
; ScratchSize: 32
; MemoryBound: 0
	.text
	.p2align	2                               ; -- Begin function _ZN8migraphx4testlsIKNS_13basic_printerIZNS_4coutEvEUlT_E_EEEERS3_S7_RKNS0_10expressionINS0_14lhs_expressionINS_17integral_constantIjLj1EEENS0_3nopEEEiNS0_5equalEEE
	.type	_ZN8migraphx4testlsIKNS_13basic_printerIZNS_4coutEvEUlT_E_EEEERS3_S7_RKNS0_10expressionINS0_14lhs_expressionINS_17integral_constantIjLj1EEENS0_3nopEEEiNS0_5equalEEE,@function
_ZN8migraphx4testlsIKNS_13basic_printerIZNS_4coutEvEUlT_E_EEEERS3_S7_RKNS0_10expressionINS0_14lhs_expressionINS_17integral_constantIjLj1EEENS0_3nopEEEiNS0_5equalEEE: ; @_ZN8migraphx4testlsIKNS_13basic_printerIZNS_4coutEvEUlT_E_EEEERS3_S7_RKNS0_10expressionINS0_14lhs_expressionINS_17integral_constantIjLj1EEENS0_3nopEEEiNS0_5equalEEE
; %bb.0:
	s_waitcnt vmcnt(0) expcnt(0) lgkmcnt(0)
	s_mov_b32 s23, s33
	s_mov_b32 s33, s32
	s_or_saveexec_b64 s[4:5], -1
	buffer_store_dword v40, off, s[0:3], s33 ; 4-byte Folded Spill
	s_mov_b64 exec, s[4:5]
	s_addk_i32 s32, 0x400
	v_writelane_b32 v40, s34, 0
	v_writelane_b32 v40, s35, 1
	;; [unrolled: 1-line block ×4, first 2 shown]
	s_load_dwordx2 s[26:27], s[8:9], 0x50
	v_mov_b32_e32 v36, v0
	v_mbcnt_lo_u32_b32 v0, -1, 0
	v_mbcnt_hi_u32_b32 v39, -1, v0
	v_readfirstlane_b32 s4, v39
	v_mov_b32_e32 v5, 0
	v_mov_b32_e32 v37, v1
	s_mov_b64 s[24:25], s[8:9]
	v_mov_b32_e32 v6, 0
	v_cmp_eq_u32_e64 s[4:5], s4, v39
	s_and_saveexec_b64 s[6:7], s[4:5]
	s_cbranch_execz .LBB7_6
; %bb.1:
	v_mov_b32_e32 v0, 0
	s_waitcnt lgkmcnt(0)
	global_load_dwordx2 v[3:4], v0, s[26:27] offset:24 glc
	s_waitcnt vmcnt(0)
	buffer_wbinvl1_vol
	global_load_dwordx2 v[1:2], v0, s[26:27] offset:40
	global_load_dwordx2 v[5:6], v0, s[26:27]
	s_waitcnt vmcnt(1)
	v_and_b32_e32 v1, v1, v3
	v_and_b32_e32 v2, v2, v4
	v_mul_lo_u32 v2, v2, 24
	v_mul_hi_u32 v7, v1, 24
	v_mul_lo_u32 v1, v1, 24
	v_add_u32_e32 v2, v7, v2
	s_waitcnt vmcnt(0)
	v_add_co_u32_e32 v1, vcc, v5, v1
	v_addc_co_u32_e32 v2, vcc, v6, v2, vcc
	global_load_dwordx2 v[1:2], v[1:2], off glc
	s_waitcnt vmcnt(0)
	global_atomic_cmpswap_x2 v[5:6], v0, v[1:4], s[26:27] offset:24 glc
	s_waitcnt vmcnt(0)
	buffer_wbinvl1_vol
	v_cmp_ne_u64_e32 vcc, v[5:6], v[3:4]
	s_and_saveexec_b64 s[10:11], vcc
	s_cbranch_execz .LBB7_5
; %bb.2:
	s_mov_b64 s[12:13], 0
.LBB7_3:                                ; =>This Inner Loop Header: Depth=1
	s_sleep 1
	global_load_dwordx2 v[1:2], v0, s[26:27] offset:40
	global_load_dwordx2 v[7:8], v0, s[26:27]
	v_mov_b32_e32 v3, v5
	v_mov_b32_e32 v4, v6
	s_waitcnt vmcnt(1)
	v_and_b32_e32 v1, v1, v3
	s_waitcnt vmcnt(0)
	v_mad_u64_u32 v[5:6], s[14:15], v1, 24, v[7:8]
	v_and_b32_e32 v2, v2, v4
	v_mov_b32_e32 v1, v6
	v_mad_u64_u32 v[1:2], s[14:15], v2, 24, v[1:2]
	v_mov_b32_e32 v6, v1
	global_load_dwordx2 v[1:2], v[5:6], off glc
	s_waitcnt vmcnt(0)
	global_atomic_cmpswap_x2 v[5:6], v0, v[1:4], s[26:27] offset:24 glc
	s_waitcnt vmcnt(0)
	buffer_wbinvl1_vol
	v_cmp_eq_u64_e32 vcc, v[5:6], v[3:4]
	s_or_b64 s[12:13], vcc, s[12:13]
	s_andn2_b64 exec, exec, s[12:13]
	s_cbranch_execnz .LBB7_3
; %bb.4:
	s_or_b64 exec, exec, s[12:13]
.LBB7_5:
	s_or_b64 exec, exec, s[10:11]
.LBB7_6:
	s_or_b64 exec, exec, s[6:7]
	v_mov_b32_e32 v4, 0
	s_waitcnt lgkmcnt(0)
	global_load_dwordx2 v[7:8], v4, s[26:27] offset:40
	global_load_dwordx4 v[0:3], v4, s[26:27]
	v_readfirstlane_b32 s6, v5
	v_readfirstlane_b32 s7, v6
	s_mov_b64 s[10:11], exec
	s_waitcnt vmcnt(1)
	v_readfirstlane_b32 s12, v7
	v_readfirstlane_b32 s13, v8
	s_and_b64 s[12:13], s[6:7], s[12:13]
	s_mul_i32 s14, s13, 24
	s_mul_hi_u32 s15, s12, 24
	s_mul_i32 s16, s12, 24
	s_add_i32 s14, s15, s14
	v_mov_b32_e32 v5, s14
	s_waitcnt vmcnt(0)
	v_add_co_u32_e32 v7, vcc, s16, v0
	v_addc_co_u32_e32 v8, vcc, v1, v5, vcc
	s_and_saveexec_b64 s[14:15], s[4:5]
	s_cbranch_execz .LBB7_8
; %bb.7:
	v_mov_b32_e32 v9, s10
	v_mov_b32_e32 v10, s11
	;; [unrolled: 1-line block ×4, first 2 shown]
	global_store_dwordx4 v[7:8], v[9:12], off offset:8
.LBB7_8:
	s_or_b64 exec, exec, s[14:15]
	s_lshl_b64 s[10:11], s[12:13], 12
	v_mov_b32_e32 v5, s11
	v_add_co_u32_e32 v2, vcc, s10, v2
	v_addc_co_u32_e32 v11, vcc, v3, v5, vcc
	s_mov_b32 s12, 0
	v_lshlrev_b32_e32 v38, 6, v39
	v_mov_b32_e32 v3, 33
	v_mov_b32_e32 v5, v4
	;; [unrolled: 1-line block ×3, first 2 shown]
	v_readfirstlane_b32 s10, v2
	v_readfirstlane_b32 s11, v11
	v_add_co_u32_e32 v9, vcc, v2, v38
	s_mov_b32 s13, s12
	s_mov_b32 s14, s12
	;; [unrolled: 1-line block ×3, first 2 shown]
	s_nop 0
	global_store_dwordx4 v38, v[3:6], s[10:11]
	v_mov_b32_e32 v2, s12
	v_addc_co_u32_e32 v10, vcc, 0, v11, vcc
	v_mov_b32_e32 v3, s13
	v_mov_b32_e32 v4, s14
	v_mov_b32_e32 v5, s15
	global_store_dwordx4 v38, v[2:5], s[10:11] offset:16
	global_store_dwordx4 v38, v[2:5], s[10:11] offset:32
	;; [unrolled: 1-line block ×3, first 2 shown]
	s_and_saveexec_b64 s[10:11], s[4:5]
	s_cbranch_execz .LBB7_16
; %bb.9:
	v_mov_b32_e32 v6, 0
	global_load_dwordx2 v[13:14], v6, s[26:27] offset:32 glc
	global_load_dwordx2 v[2:3], v6, s[26:27] offset:40
	v_mov_b32_e32 v11, s6
	v_mov_b32_e32 v12, s7
	s_waitcnt vmcnt(0)
	v_and_b32_e32 v2, s6, v2
	v_and_b32_e32 v3, s7, v3
	v_mul_lo_u32 v3, v3, 24
	v_mul_hi_u32 v4, v2, 24
	v_mul_lo_u32 v2, v2, 24
	v_add_u32_e32 v3, v4, v3
	v_add_co_u32_e32 v4, vcc, v0, v2
	v_addc_co_u32_e32 v5, vcc, v1, v3, vcc
	global_store_dwordx2 v[4:5], v[13:14], off
	s_waitcnt vmcnt(0)
	global_atomic_cmpswap_x2 v[2:3], v6, v[11:14], s[26:27] offset:32 glc
	s_waitcnt vmcnt(0)
	v_cmp_ne_u64_e32 vcc, v[2:3], v[13:14]
	s_and_saveexec_b64 s[12:13], vcc
	s_cbranch_execz .LBB7_12
; %bb.10:
	s_mov_b64 s[14:15], 0
.LBB7_11:                               ; =>This Inner Loop Header: Depth=1
	s_sleep 1
	global_store_dwordx2 v[4:5], v[2:3], off
	v_mov_b32_e32 v0, s6
	v_mov_b32_e32 v1, s7
	s_waitcnt vmcnt(0)
	global_atomic_cmpswap_x2 v[0:1], v6, v[0:3], s[26:27] offset:32 glc
	s_waitcnt vmcnt(0)
	v_cmp_eq_u64_e32 vcc, v[0:1], v[2:3]
	v_mov_b32_e32 v3, v1
	s_or_b64 s[14:15], vcc, s[14:15]
	v_mov_b32_e32 v2, v0
	s_andn2_b64 exec, exec, s[14:15]
	s_cbranch_execnz .LBB7_11
.LBB7_12:
	s_or_b64 exec, exec, s[12:13]
	v_mov_b32_e32 v3, 0
	global_load_dwordx2 v[0:1], v3, s[26:27] offset:16
	s_mov_b64 s[12:13], exec
	v_mbcnt_lo_u32_b32 v2, s12, 0
	v_mbcnt_hi_u32_b32 v2, s13, v2
	v_cmp_eq_u32_e32 vcc, 0, v2
	s_and_saveexec_b64 s[14:15], vcc
	s_cbranch_execz .LBB7_14
; %bb.13:
	s_bcnt1_i32_b64 s12, s[12:13]
	v_mov_b32_e32 v2, s12
	s_waitcnt vmcnt(0)
	global_atomic_add_x2 v[0:1], v[2:3], off offset:8
.LBB7_14:
	s_or_b64 exec, exec, s[14:15]
	s_waitcnt vmcnt(0)
	global_load_dwordx2 v[2:3], v[0:1], off offset:16
	s_waitcnt vmcnt(0)
	v_cmp_eq_u64_e32 vcc, 0, v[2:3]
	s_cbranch_vccnz .LBB7_16
; %bb.15:
	global_load_dword v0, v[0:1], off offset:24
	v_mov_b32_e32 v1, 0
	s_waitcnt vmcnt(0)
	global_store_dwordx2 v[2:3], v[0:1], off
	v_and_b32_e32 v0, 0xffffff, v0
	v_readfirstlane_b32 m0, v0
	s_sendmsg sendmsg(MSG_INTERRUPT)
.LBB7_16:
	s_or_b64 exec, exec, s[10:11]
	s_branch .LBB7_20
.LBB7_17:                               ;   in Loop: Header=BB7_20 Depth=1
	s_or_b64 exec, exec, s[10:11]
	v_readfirstlane_b32 s10, v0
	s_cmp_eq_u32 s10, 0
	s_cbranch_scc1 .LBB7_19
; %bb.18:                               ;   in Loop: Header=BB7_20 Depth=1
	s_sleep 1
	s_cbranch_execnz .LBB7_20
	s_branch .LBB7_22
.LBB7_19:
	s_branch .LBB7_22
.LBB7_20:                               ; =>This Inner Loop Header: Depth=1
	v_mov_b32_e32 v0, 1
	s_and_saveexec_b64 s[10:11], s[4:5]
	s_cbranch_execz .LBB7_17
; %bb.21:                               ;   in Loop: Header=BB7_20 Depth=1
	global_load_dword v0, v[7:8], off offset:20 glc
	s_waitcnt vmcnt(0)
	buffer_wbinvl1_vol
	v_and_b32_e32 v0, 1, v0
	s_branch .LBB7_17
.LBB7_22:
	global_load_dwordx2 v[0:1], v[9:10], off
	s_and_saveexec_b64 s[10:11], s[4:5]
	s_cbranch_execz .LBB7_25
; %bb.23:
	v_mov_b32_e32 v8, 0
	global_load_dwordx2 v[4:5], v8, s[26:27] offset:40
	global_load_dwordx2 v[9:10], v8, s[26:27] offset:24 glc
	global_load_dwordx2 v[6:7], v8, s[26:27]
	v_mov_b32_e32 v3, s7
	s_mov_b64 s[4:5], 0
	s_waitcnt vmcnt(2)
	v_add_co_u32_e32 v11, vcc, 1, v4
	v_addc_co_u32_e32 v12, vcc, 0, v5, vcc
	v_add_co_u32_e32 v2, vcc, s6, v11
	v_addc_co_u32_e32 v3, vcc, v12, v3, vcc
	v_cmp_eq_u64_e32 vcc, 0, v[2:3]
	v_cndmask_b32_e32 v3, v3, v12, vcc
	v_cndmask_b32_e32 v2, v2, v11, vcc
	v_and_b32_e32 v5, v3, v5
	v_and_b32_e32 v4, v2, v4
	v_mul_lo_u32 v5, v5, 24
	v_mul_hi_u32 v11, v4, 24
	v_mul_lo_u32 v12, v4, 24
	s_waitcnt vmcnt(1)
	v_mov_b32_e32 v4, v9
	v_add_u32_e32 v5, v11, v5
	s_waitcnt vmcnt(0)
	v_add_co_u32_e32 v6, vcc, v6, v12
	v_addc_co_u32_e32 v7, vcc, v7, v5, vcc
	global_store_dwordx2 v[6:7], v[9:10], off
	v_mov_b32_e32 v5, v10
	s_waitcnt vmcnt(0)
	global_atomic_cmpswap_x2 v[4:5], v8, v[2:5], s[26:27] offset:24 glc
	s_waitcnt vmcnt(0)
	v_cmp_ne_u64_e32 vcc, v[4:5], v[9:10]
	s_and_b64 exec, exec, vcc
	s_cbranch_execz .LBB7_25
.LBB7_24:                               ; =>This Inner Loop Header: Depth=1
	s_sleep 1
	global_store_dwordx2 v[6:7], v[4:5], off
	s_waitcnt vmcnt(0)
	global_atomic_cmpswap_x2 v[9:10], v8, v[2:5], s[26:27] offset:24 glc
	s_waitcnt vmcnt(0)
	v_cmp_eq_u64_e32 vcc, v[9:10], v[4:5]
	v_mov_b32_e32 v4, v9
	s_or_b64 s[4:5], vcc, s[4:5]
	v_mov_b32_e32 v5, v10
	s_andn2_b64 exec, exec, s[4:5]
	s_cbranch_execnz .LBB7_24
.LBB7_25:
	s_or_b64 exec, exec, s[10:11]
	s_getpc_b64 s[6:7]
	s_add_u32 s6, s6, .str.22@rel32@lo+4
	s_addc_u32 s7, s7, .str.22@rel32@hi+12
	s_cmp_lg_u64 s[6:7], 0
	s_cbranch_scc0 .LBB7_110
; %bb.26:
	s_waitcnt vmcnt(0)
	v_and_b32_e32 v31, 2, v0
	v_mov_b32_e32 v28, 0
	v_and_b32_e32 v2, -3, v0
	v_mov_b32_e32 v3, v1
	s_mov_b64 s[10:11], 4
	v_mov_b32_e32 v6, 2
	v_mov_b32_e32 v7, 1
	s_branch .LBB7_28
.LBB7_27:                               ;   in Loop: Header=BB7_28 Depth=1
	s_or_b64 exec, exec, s[16:17]
	s_sub_u32 s10, s10, s12
	s_subb_u32 s11, s11, s13
	s_add_u32 s6, s6, s12
	s_addc_u32 s7, s7, s13
	s_cmp_lg_u64 s[10:11], 0
	s_cbranch_scc0 .LBB7_109
.LBB7_28:                               ; =>This Loop Header: Depth=1
                                        ;     Child Loop BB7_31 Depth 2
                                        ;     Child Loop BB7_38 Depth 2
	;; [unrolled: 1-line block ×11, first 2 shown]
	v_cmp_lt_u64_e64 s[4:5], s[10:11], 56
	v_cmp_gt_u64_e64 s[14:15], s[10:11], 7
	s_and_b64 s[4:5], s[4:5], exec
	s_cselect_b32 s13, s11, 0
	s_cselect_b32 s12, s10, 56
	s_and_b64 vcc, exec, s[14:15]
	s_cbranch_vccnz .LBB7_33
; %bb.29:                               ;   in Loop: Header=BB7_28 Depth=1
	v_mov_b32_e32 v10, 0
	s_cmp_eq_u64 s[10:11], 0
	v_mov_b32_e32 v11, 0
	s_mov_b64 s[4:5], 0
	s_cbranch_scc1 .LBB7_32
; %bb.30:                               ;   in Loop: Header=BB7_28 Depth=1
	v_mov_b32_e32 v10, 0
	s_lshl_b64 s[14:15], s[12:13], 3
	s_mov_b64 s[16:17], 0
	v_mov_b32_e32 v11, 0
	s_mov_b64 s[18:19], s[6:7]
.LBB7_31:                               ;   Parent Loop BB7_28 Depth=1
                                        ; =>  This Inner Loop Header: Depth=2
	global_load_ubyte v4, v28, s[18:19]
	s_waitcnt vmcnt(0)
	v_and_b32_e32 v27, 0xffff, v4
	v_lshlrev_b64 v[4:5], s16, v[27:28]
	s_add_u32 s16, s16, 8
	s_addc_u32 s17, s17, 0
	s_add_u32 s18, s18, 1
	s_addc_u32 s19, s19, 0
	v_or_b32_e32 v10, v4, v10
	s_cmp_lg_u32 s14, s16
	v_or_b32_e32 v11, v5, v11
	s_cbranch_scc1 .LBB7_31
.LBB7_32:                               ;   in Loop: Header=BB7_28 Depth=1
	s_mov_b32 s18, 0
	s_andn2_b64 vcc, exec, s[4:5]
	s_mov_b64 s[4:5], s[6:7]
	s_cbranch_vccz .LBB7_34
	s_branch .LBB7_35
.LBB7_33:                               ;   in Loop: Header=BB7_28 Depth=1
                                        ; implicit-def: $vgpr10_vgpr11
                                        ; implicit-def: $sgpr18
	s_mov_b64 s[4:5], s[6:7]
.LBB7_34:                               ;   in Loop: Header=BB7_28 Depth=1
	global_load_dwordx2 v[10:11], v28, s[6:7]
	s_add_i32 s18, s12, -8
	s_add_u32 s4, s6, 8
	s_addc_u32 s5, s7, 0
.LBB7_35:                               ;   in Loop: Header=BB7_28 Depth=1
	s_cmp_gt_u32 s18, 7
	s_cbranch_scc1 .LBB7_39
; %bb.36:                               ;   in Loop: Header=BB7_28 Depth=1
	s_cmp_eq_u32 s18, 0
	s_cbranch_scc1 .LBB7_40
; %bb.37:                               ;   in Loop: Header=BB7_28 Depth=1
	v_mov_b32_e32 v12, 0
	s_mov_b64 s[14:15], 0
	v_mov_b32_e32 v13, 0
	s_mov_b64 s[16:17], 0
.LBB7_38:                               ;   Parent Loop BB7_28 Depth=1
                                        ; =>  This Inner Loop Header: Depth=2
	s_add_u32 s20, s4, s16
	s_addc_u32 s21, s5, s17
	global_load_ubyte v4, v28, s[20:21]
	s_add_u32 s16, s16, 1
	s_addc_u32 s17, s17, 0
	s_waitcnt vmcnt(0)
	v_and_b32_e32 v27, 0xffff, v4
	v_lshlrev_b64 v[4:5], s14, v[27:28]
	s_add_u32 s14, s14, 8
	s_addc_u32 s15, s15, 0
	v_or_b32_e32 v12, v4, v12
	s_cmp_lg_u32 s18, s16
	v_or_b32_e32 v13, v5, v13
	s_cbranch_scc1 .LBB7_38
	s_branch .LBB7_41
.LBB7_39:                               ;   in Loop: Header=BB7_28 Depth=1
                                        ; implicit-def: $vgpr12_vgpr13
                                        ; implicit-def: $sgpr19
	s_branch .LBB7_42
.LBB7_40:                               ;   in Loop: Header=BB7_28 Depth=1
	v_mov_b32_e32 v12, 0
	v_mov_b32_e32 v13, 0
.LBB7_41:                               ;   in Loop: Header=BB7_28 Depth=1
	s_mov_b32 s19, 0
	s_cbranch_execnz .LBB7_43
.LBB7_42:                               ;   in Loop: Header=BB7_28 Depth=1
	global_load_dwordx2 v[12:13], v28, s[4:5]
	s_add_i32 s19, s18, -8
	s_add_u32 s4, s4, 8
	s_addc_u32 s5, s5, 0
.LBB7_43:                               ;   in Loop: Header=BB7_28 Depth=1
	s_cmp_gt_u32 s19, 7
	s_cbranch_scc1 .LBB7_47
; %bb.44:                               ;   in Loop: Header=BB7_28 Depth=1
	s_cmp_eq_u32 s19, 0
	s_cbranch_scc1 .LBB7_48
; %bb.45:                               ;   in Loop: Header=BB7_28 Depth=1
	v_mov_b32_e32 v14, 0
	s_mov_b64 s[14:15], 0
	v_mov_b32_e32 v15, 0
	s_mov_b64 s[16:17], 0
.LBB7_46:                               ;   Parent Loop BB7_28 Depth=1
                                        ; =>  This Inner Loop Header: Depth=2
	s_add_u32 s20, s4, s16
	s_addc_u32 s21, s5, s17
	global_load_ubyte v4, v28, s[20:21]
	s_add_u32 s16, s16, 1
	s_addc_u32 s17, s17, 0
	s_waitcnt vmcnt(0)
	v_and_b32_e32 v27, 0xffff, v4
	v_lshlrev_b64 v[4:5], s14, v[27:28]
	s_add_u32 s14, s14, 8
	s_addc_u32 s15, s15, 0
	v_or_b32_e32 v14, v4, v14
	s_cmp_lg_u32 s19, s16
	v_or_b32_e32 v15, v5, v15
	s_cbranch_scc1 .LBB7_46
	s_branch .LBB7_49
.LBB7_47:                               ;   in Loop: Header=BB7_28 Depth=1
                                        ; implicit-def: $sgpr18
	s_branch .LBB7_50
.LBB7_48:                               ;   in Loop: Header=BB7_28 Depth=1
	v_mov_b32_e32 v14, 0
	v_mov_b32_e32 v15, 0
.LBB7_49:                               ;   in Loop: Header=BB7_28 Depth=1
	s_mov_b32 s18, 0
	s_cbranch_execnz .LBB7_51
.LBB7_50:                               ;   in Loop: Header=BB7_28 Depth=1
	global_load_dwordx2 v[14:15], v28, s[4:5]
	s_add_i32 s18, s19, -8
	s_add_u32 s4, s4, 8
	s_addc_u32 s5, s5, 0
.LBB7_51:                               ;   in Loop: Header=BB7_28 Depth=1
	s_cmp_gt_u32 s18, 7
	s_cbranch_scc1 .LBB7_55
; %bb.52:                               ;   in Loop: Header=BB7_28 Depth=1
	s_cmp_eq_u32 s18, 0
	s_cbranch_scc1 .LBB7_56
; %bb.53:                               ;   in Loop: Header=BB7_28 Depth=1
	v_mov_b32_e32 v16, 0
	s_mov_b64 s[14:15], 0
	v_mov_b32_e32 v17, 0
	s_mov_b64 s[16:17], 0
.LBB7_54:                               ;   Parent Loop BB7_28 Depth=1
                                        ; =>  This Inner Loop Header: Depth=2
	s_add_u32 s20, s4, s16
	s_addc_u32 s21, s5, s17
	global_load_ubyte v4, v28, s[20:21]
	s_add_u32 s16, s16, 1
	s_addc_u32 s17, s17, 0
	s_waitcnt vmcnt(0)
	v_and_b32_e32 v27, 0xffff, v4
	v_lshlrev_b64 v[4:5], s14, v[27:28]
	s_add_u32 s14, s14, 8
	s_addc_u32 s15, s15, 0
	v_or_b32_e32 v16, v4, v16
	s_cmp_lg_u32 s18, s16
	v_or_b32_e32 v17, v5, v17
	s_cbranch_scc1 .LBB7_54
	s_branch .LBB7_57
.LBB7_55:                               ;   in Loop: Header=BB7_28 Depth=1
                                        ; implicit-def: $vgpr16_vgpr17
                                        ; implicit-def: $sgpr19
	s_branch .LBB7_58
.LBB7_56:                               ;   in Loop: Header=BB7_28 Depth=1
	v_mov_b32_e32 v16, 0
	v_mov_b32_e32 v17, 0
.LBB7_57:                               ;   in Loop: Header=BB7_28 Depth=1
	s_mov_b32 s19, 0
	s_cbranch_execnz .LBB7_59
.LBB7_58:                               ;   in Loop: Header=BB7_28 Depth=1
	global_load_dwordx2 v[16:17], v28, s[4:5]
	s_add_i32 s19, s18, -8
	s_add_u32 s4, s4, 8
	s_addc_u32 s5, s5, 0
.LBB7_59:                               ;   in Loop: Header=BB7_28 Depth=1
	s_cmp_gt_u32 s19, 7
	s_cbranch_scc1 .LBB7_63
; %bb.60:                               ;   in Loop: Header=BB7_28 Depth=1
	s_cmp_eq_u32 s19, 0
	s_cbranch_scc1 .LBB7_64
; %bb.61:                               ;   in Loop: Header=BB7_28 Depth=1
	v_mov_b32_e32 v18, 0
	s_mov_b64 s[14:15], 0
	v_mov_b32_e32 v19, 0
	s_mov_b64 s[16:17], 0
.LBB7_62:                               ;   Parent Loop BB7_28 Depth=1
                                        ; =>  This Inner Loop Header: Depth=2
	s_add_u32 s20, s4, s16
	s_addc_u32 s21, s5, s17
	global_load_ubyte v4, v28, s[20:21]
	s_add_u32 s16, s16, 1
	s_addc_u32 s17, s17, 0
	s_waitcnt vmcnt(0)
	v_and_b32_e32 v27, 0xffff, v4
	v_lshlrev_b64 v[4:5], s14, v[27:28]
	s_add_u32 s14, s14, 8
	s_addc_u32 s15, s15, 0
	v_or_b32_e32 v18, v4, v18
	s_cmp_lg_u32 s19, s16
	v_or_b32_e32 v19, v5, v19
	s_cbranch_scc1 .LBB7_62
	s_branch .LBB7_65
.LBB7_63:                               ;   in Loop: Header=BB7_28 Depth=1
                                        ; implicit-def: $sgpr18
	s_branch .LBB7_66
.LBB7_64:                               ;   in Loop: Header=BB7_28 Depth=1
	v_mov_b32_e32 v18, 0
	v_mov_b32_e32 v19, 0
.LBB7_65:                               ;   in Loop: Header=BB7_28 Depth=1
	s_mov_b32 s18, 0
	s_cbranch_execnz .LBB7_67
.LBB7_66:                               ;   in Loop: Header=BB7_28 Depth=1
	global_load_dwordx2 v[18:19], v28, s[4:5]
	s_add_i32 s18, s19, -8
	s_add_u32 s4, s4, 8
	s_addc_u32 s5, s5, 0
.LBB7_67:                               ;   in Loop: Header=BB7_28 Depth=1
	s_cmp_gt_u32 s18, 7
	s_cbranch_scc1 .LBB7_71
; %bb.68:                               ;   in Loop: Header=BB7_28 Depth=1
	s_cmp_eq_u32 s18, 0
	s_cbranch_scc1 .LBB7_72
; %bb.69:                               ;   in Loop: Header=BB7_28 Depth=1
	v_mov_b32_e32 v20, 0
	s_mov_b64 s[14:15], 0
	v_mov_b32_e32 v21, 0
	s_mov_b64 s[16:17], 0
.LBB7_70:                               ;   Parent Loop BB7_28 Depth=1
                                        ; =>  This Inner Loop Header: Depth=2
	s_add_u32 s20, s4, s16
	s_addc_u32 s21, s5, s17
	global_load_ubyte v4, v28, s[20:21]
	s_add_u32 s16, s16, 1
	s_addc_u32 s17, s17, 0
	s_waitcnt vmcnt(0)
	v_and_b32_e32 v27, 0xffff, v4
	v_lshlrev_b64 v[4:5], s14, v[27:28]
	s_add_u32 s14, s14, 8
	s_addc_u32 s15, s15, 0
	v_or_b32_e32 v20, v4, v20
	s_cmp_lg_u32 s18, s16
	v_or_b32_e32 v21, v5, v21
	s_cbranch_scc1 .LBB7_70
	s_branch .LBB7_73
.LBB7_71:                               ;   in Loop: Header=BB7_28 Depth=1
                                        ; implicit-def: $vgpr20_vgpr21
                                        ; implicit-def: $sgpr19
	s_branch .LBB7_74
.LBB7_72:                               ;   in Loop: Header=BB7_28 Depth=1
	v_mov_b32_e32 v20, 0
	v_mov_b32_e32 v21, 0
.LBB7_73:                               ;   in Loop: Header=BB7_28 Depth=1
	s_mov_b32 s19, 0
	s_cbranch_execnz .LBB7_75
.LBB7_74:                               ;   in Loop: Header=BB7_28 Depth=1
	global_load_dwordx2 v[20:21], v28, s[4:5]
	s_add_i32 s19, s18, -8
	s_add_u32 s4, s4, 8
	s_addc_u32 s5, s5, 0
.LBB7_75:                               ;   in Loop: Header=BB7_28 Depth=1
	s_cmp_gt_u32 s19, 7
	s_cbranch_scc1 .LBB7_79
; %bb.76:                               ;   in Loop: Header=BB7_28 Depth=1
	s_cmp_eq_u32 s19, 0
	s_cbranch_scc1 .LBB7_80
; %bb.77:                               ;   in Loop: Header=BB7_28 Depth=1
	v_mov_b32_e32 v22, 0
	s_mov_b64 s[14:15], 0
	v_mov_b32_e32 v23, 0
	s_mov_b64 s[16:17], s[4:5]
.LBB7_78:                               ;   Parent Loop BB7_28 Depth=1
                                        ; =>  This Inner Loop Header: Depth=2
	global_load_ubyte v4, v28, s[16:17]
	s_add_i32 s19, s19, -1
	s_waitcnt vmcnt(0)
	v_and_b32_e32 v27, 0xffff, v4
	v_lshlrev_b64 v[4:5], s14, v[27:28]
	s_add_u32 s14, s14, 8
	s_addc_u32 s15, s15, 0
	s_add_u32 s16, s16, 1
	s_addc_u32 s17, s17, 0
	v_or_b32_e32 v22, v4, v22
	s_cmp_lg_u32 s19, 0
	v_or_b32_e32 v23, v5, v23
	s_cbranch_scc1 .LBB7_78
	s_branch .LBB7_81
.LBB7_79:                               ;   in Loop: Header=BB7_28 Depth=1
	s_branch .LBB7_82
.LBB7_80:                               ;   in Loop: Header=BB7_28 Depth=1
	v_mov_b32_e32 v22, 0
	v_mov_b32_e32 v23, 0
.LBB7_81:                               ;   in Loop: Header=BB7_28 Depth=1
	s_cbranch_execnz .LBB7_83
.LBB7_82:                               ;   in Loop: Header=BB7_28 Depth=1
	global_load_dwordx2 v[22:23], v28, s[4:5]
.LBB7_83:                               ;   in Loop: Header=BB7_28 Depth=1
	v_readfirstlane_b32 s4, v39
	s_waitcnt vmcnt(0)
	v_mov_b32_e32 v4, 0
	v_mov_b32_e32 v5, 0
	v_cmp_eq_u32_e64 s[4:5], s4, v39
	s_and_saveexec_b64 s[14:15], s[4:5]
	s_cbranch_execz .LBB7_89
; %bb.84:                               ;   in Loop: Header=BB7_28 Depth=1
	global_load_dwordx2 v[26:27], v28, s[26:27] offset:24 glc
	s_waitcnt vmcnt(0)
	buffer_wbinvl1_vol
	global_load_dwordx2 v[4:5], v28, s[26:27] offset:40
	global_load_dwordx2 v[8:9], v28, s[26:27]
	s_waitcnt vmcnt(1)
	v_and_b32_e32 v4, v4, v26
	v_and_b32_e32 v5, v5, v27
	v_mul_lo_u32 v5, v5, 24
	v_mul_hi_u32 v24, v4, 24
	v_mul_lo_u32 v4, v4, 24
	v_add_u32_e32 v5, v24, v5
	s_waitcnt vmcnt(0)
	v_add_co_u32_e32 v4, vcc, v8, v4
	v_addc_co_u32_e32 v5, vcc, v9, v5, vcc
	global_load_dwordx2 v[24:25], v[4:5], off glc
	s_waitcnt vmcnt(0)
	global_atomic_cmpswap_x2 v[4:5], v28, v[24:27], s[26:27] offset:24 glc
	s_waitcnt vmcnt(0)
	buffer_wbinvl1_vol
	v_cmp_ne_u64_e32 vcc, v[4:5], v[26:27]
	s_and_saveexec_b64 s[16:17], vcc
	s_cbranch_execz .LBB7_88
; %bb.85:                               ;   in Loop: Header=BB7_28 Depth=1
	s_mov_b64 s[18:19], 0
.LBB7_86:                               ;   Parent Loop BB7_28 Depth=1
                                        ; =>  This Inner Loop Header: Depth=2
	s_sleep 1
	global_load_dwordx2 v[8:9], v28, s[26:27] offset:40
	global_load_dwordx2 v[24:25], v28, s[26:27]
	v_mov_b32_e32 v27, v5
	v_mov_b32_e32 v26, v4
	s_waitcnt vmcnt(1)
	v_and_b32_e32 v4, v8, v26
	s_waitcnt vmcnt(0)
	v_mad_u64_u32 v[4:5], s[20:21], v4, 24, v[24:25]
	v_and_b32_e32 v8, v9, v27
	v_mad_u64_u32 v[8:9], s[20:21], v8, 24, v[5:6]
	v_mov_b32_e32 v5, v8
	global_load_dwordx2 v[24:25], v[4:5], off glc
	s_waitcnt vmcnt(0)
	global_atomic_cmpswap_x2 v[4:5], v28, v[24:27], s[26:27] offset:24 glc
	s_waitcnt vmcnt(0)
	buffer_wbinvl1_vol
	v_cmp_eq_u64_e32 vcc, v[4:5], v[26:27]
	s_or_b64 s[18:19], vcc, s[18:19]
	s_andn2_b64 exec, exec, s[18:19]
	s_cbranch_execnz .LBB7_86
; %bb.87:                               ;   in Loop: Header=BB7_28 Depth=1
	s_or_b64 exec, exec, s[18:19]
.LBB7_88:                               ;   in Loop: Header=BB7_28 Depth=1
	s_or_b64 exec, exec, s[16:17]
.LBB7_89:                               ;   in Loop: Header=BB7_28 Depth=1
	s_or_b64 exec, exec, s[14:15]
	global_load_dwordx2 v[8:9], v28, s[26:27] offset:40
	global_load_dwordx4 v[24:27], v28, s[26:27]
	v_readfirstlane_b32 s14, v4
	v_readfirstlane_b32 s15, v5
	s_mov_b64 s[16:17], exec
	s_waitcnt vmcnt(1)
	v_readfirstlane_b32 s18, v8
	v_readfirstlane_b32 s19, v9
	s_and_b64 s[18:19], s[14:15], s[18:19]
	s_mul_i32 s20, s19, 24
	s_mul_hi_u32 s21, s18, 24
	s_mul_i32 s22, s18, 24
	s_add_i32 s20, s21, s20
	v_mov_b32_e32 v4, s20
	s_waitcnt vmcnt(0)
	v_add_co_u32_e32 v29, vcc, s22, v24
	v_addc_co_u32_e32 v30, vcc, v25, v4, vcc
	s_and_saveexec_b64 s[20:21], s[4:5]
	s_cbranch_execz .LBB7_91
; %bb.90:                               ;   in Loop: Header=BB7_28 Depth=1
	v_mov_b32_e32 v4, s16
	v_mov_b32_e32 v5, s17
	global_store_dwordx4 v[29:30], v[4:7], off offset:8
.LBB7_91:                               ;   in Loop: Header=BB7_28 Depth=1
	s_or_b64 exec, exec, s[20:21]
	s_lshl_b64 s[16:17], s[18:19], 12
	v_mov_b32_e32 v4, s17
	v_add_co_u32_e32 v26, vcc, s16, v26
	v_addc_co_u32_e32 v32, vcc, v27, v4, vcc
	v_cmp_gt_u64_e64 vcc, s[10:11], 56
	v_or_b32_e32 v5, v2, v31
	s_lshl_b32 s16, s12, 2
	v_cndmask_b32_e32 v2, v5, v2, vcc
	s_add_i32 s16, s16, 28
	v_or_b32_e32 v4, 0, v3
	s_and_b32 s16, s16, 0x1e0
	v_and_b32_e32 v2, 0xffffff1f, v2
	v_cndmask_b32_e32 v9, v4, v3, vcc
	v_or_b32_e32 v8, s16, v2
	v_readfirstlane_b32 s16, v26
	v_readfirstlane_b32 s17, v32
	s_nop 4
	global_store_dwordx4 v38, v[8:11], s[16:17]
	global_store_dwordx4 v38, v[12:15], s[16:17] offset:16
	global_store_dwordx4 v38, v[16:19], s[16:17] offset:32
	;; [unrolled: 1-line block ×3, first 2 shown]
	s_and_saveexec_b64 s[16:17], s[4:5]
	s_cbranch_execz .LBB7_99
; %bb.92:                               ;   in Loop: Header=BB7_28 Depth=1
	global_load_dwordx2 v[12:13], v28, s[26:27] offset:32 glc
	global_load_dwordx2 v[2:3], v28, s[26:27] offset:40
	v_mov_b32_e32 v10, s14
	v_mov_b32_e32 v11, s15
	s_waitcnt vmcnt(0)
	v_readfirstlane_b32 s18, v2
	v_readfirstlane_b32 s19, v3
	s_and_b64 s[18:19], s[18:19], s[14:15]
	s_mul_i32 s19, s19, 24
	s_mul_hi_u32 s20, s18, 24
	s_mul_i32 s18, s18, 24
	s_add_i32 s19, s20, s19
	v_mov_b32_e32 v2, s19
	v_add_co_u32_e32 v8, vcc, s18, v24
	v_addc_co_u32_e32 v9, vcc, v25, v2, vcc
	global_store_dwordx2 v[8:9], v[12:13], off
	s_waitcnt vmcnt(0)
	global_atomic_cmpswap_x2 v[4:5], v28, v[10:13], s[26:27] offset:32 glc
	s_waitcnt vmcnt(0)
	v_cmp_ne_u64_e32 vcc, v[4:5], v[12:13]
	s_and_saveexec_b64 s[18:19], vcc
	s_cbranch_execz .LBB7_95
; %bb.93:                               ;   in Loop: Header=BB7_28 Depth=1
	s_mov_b64 s[20:21], 0
.LBB7_94:                               ;   Parent Loop BB7_28 Depth=1
                                        ; =>  This Inner Loop Header: Depth=2
	s_sleep 1
	global_store_dwordx2 v[8:9], v[4:5], off
	v_mov_b32_e32 v2, s14
	v_mov_b32_e32 v3, s15
	s_waitcnt vmcnt(0)
	global_atomic_cmpswap_x2 v[2:3], v28, v[2:5], s[26:27] offset:32 glc
	s_waitcnt vmcnt(0)
	v_cmp_eq_u64_e32 vcc, v[2:3], v[4:5]
	v_mov_b32_e32 v5, v3
	s_or_b64 s[20:21], vcc, s[20:21]
	v_mov_b32_e32 v4, v2
	s_andn2_b64 exec, exec, s[20:21]
	s_cbranch_execnz .LBB7_94
.LBB7_95:                               ;   in Loop: Header=BB7_28 Depth=1
	s_or_b64 exec, exec, s[18:19]
	global_load_dwordx2 v[2:3], v28, s[26:27] offset:16
	s_mov_b64 s[20:21], exec
	v_mbcnt_lo_u32_b32 v4, s20, 0
	v_mbcnt_hi_u32_b32 v4, s21, v4
	v_cmp_eq_u32_e32 vcc, 0, v4
	s_and_saveexec_b64 s[18:19], vcc
	s_cbranch_execz .LBB7_97
; %bb.96:                               ;   in Loop: Header=BB7_28 Depth=1
	s_bcnt1_i32_b64 s20, s[20:21]
	v_mov_b32_e32 v27, s20
	s_waitcnt vmcnt(0)
	global_atomic_add_x2 v[2:3], v[27:28], off offset:8
.LBB7_97:                               ;   in Loop: Header=BB7_28 Depth=1
	s_or_b64 exec, exec, s[18:19]
	s_waitcnt vmcnt(0)
	global_load_dwordx2 v[4:5], v[2:3], off offset:16
	s_waitcnt vmcnt(0)
	v_cmp_eq_u64_e32 vcc, 0, v[4:5]
	s_cbranch_vccnz .LBB7_99
; %bb.98:                               ;   in Loop: Header=BB7_28 Depth=1
	global_load_dword v27, v[2:3], off offset:24
	s_waitcnt vmcnt(0)
	v_and_b32_e32 v2, 0xffffff, v27
	v_readfirstlane_b32 m0, v2
	global_store_dwordx2 v[4:5], v[27:28], off
	s_sendmsg sendmsg(MSG_INTERRUPT)
.LBB7_99:                               ;   in Loop: Header=BB7_28 Depth=1
	s_or_b64 exec, exec, s[16:17]
	v_add_co_u32_e32 v2, vcc, v26, v38
	v_addc_co_u32_e32 v3, vcc, 0, v32, vcc
	s_branch .LBB7_103
.LBB7_100:                              ;   in Loop: Header=BB7_103 Depth=2
	s_or_b64 exec, exec, s[16:17]
	v_readfirstlane_b32 s16, v4
	s_cmp_eq_u32 s16, 0
	s_cbranch_scc1 .LBB7_102
; %bb.101:                              ;   in Loop: Header=BB7_103 Depth=2
	s_sleep 1
	s_cbranch_execnz .LBB7_103
	s_branch .LBB7_105
.LBB7_102:                              ;   in Loop: Header=BB7_28 Depth=1
	s_branch .LBB7_105
.LBB7_103:                              ;   Parent Loop BB7_28 Depth=1
                                        ; =>  This Inner Loop Header: Depth=2
	v_mov_b32_e32 v4, 1
	s_and_saveexec_b64 s[16:17], s[4:5]
	s_cbranch_execz .LBB7_100
; %bb.104:                              ;   in Loop: Header=BB7_103 Depth=2
	global_load_dword v4, v[29:30], off offset:20 glc
	s_waitcnt vmcnt(0)
	buffer_wbinvl1_vol
	v_and_b32_e32 v4, 1, v4
	s_branch .LBB7_100
.LBB7_105:                              ;   in Loop: Header=BB7_28 Depth=1
	global_load_dwordx4 v[2:5], v[2:3], off
	s_and_saveexec_b64 s[16:17], s[4:5]
	s_cbranch_execz .LBB7_27
; %bb.106:                              ;   in Loop: Header=BB7_28 Depth=1
	global_load_dwordx2 v[4:5], v28, s[26:27] offset:40
	global_load_dwordx2 v[12:13], v28, s[26:27] offset:24 glc
	global_load_dwordx2 v[14:15], v28, s[26:27]
	v_mov_b32_e32 v9, s15
	s_waitcnt vmcnt(2)
	v_add_co_u32_e32 v10, vcc, 1, v4
	v_addc_co_u32_e32 v11, vcc, 0, v5, vcc
	v_add_co_u32_e32 v8, vcc, s14, v10
	v_addc_co_u32_e32 v9, vcc, v11, v9, vcc
	v_cmp_eq_u64_e32 vcc, 0, v[8:9]
	v_cndmask_b32_e32 v9, v9, v11, vcc
	v_cndmask_b32_e32 v8, v8, v10, vcc
	v_and_b32_e32 v5, v9, v5
	v_and_b32_e32 v4, v8, v4
	v_mul_lo_u32 v5, v5, 24
	v_mul_hi_u32 v11, v4, 24
	v_mul_lo_u32 v4, v4, 24
	s_waitcnt vmcnt(1)
	v_mov_b32_e32 v10, v12
	v_add_u32_e32 v5, v11, v5
	s_waitcnt vmcnt(0)
	v_add_co_u32_e32 v4, vcc, v14, v4
	v_addc_co_u32_e32 v5, vcc, v15, v5, vcc
	global_store_dwordx2 v[4:5], v[12:13], off
	v_mov_b32_e32 v11, v13
	s_waitcnt vmcnt(0)
	global_atomic_cmpswap_x2 v[10:11], v28, v[8:11], s[26:27] offset:24 glc
	s_waitcnt vmcnt(0)
	v_cmp_ne_u64_e32 vcc, v[10:11], v[12:13]
	s_and_b64 exec, exec, vcc
	s_cbranch_execz .LBB7_27
; %bb.107:                              ;   in Loop: Header=BB7_28 Depth=1
	s_mov_b64 s[4:5], 0
.LBB7_108:                              ;   Parent Loop BB7_28 Depth=1
                                        ; =>  This Inner Loop Header: Depth=2
	s_sleep 1
	global_store_dwordx2 v[4:5], v[10:11], off
	s_waitcnt vmcnt(0)
	global_atomic_cmpswap_x2 v[12:13], v28, v[8:11], s[26:27] offset:24 glc
	s_waitcnt vmcnt(0)
	v_cmp_eq_u64_e32 vcc, v[12:13], v[10:11]
	v_mov_b32_e32 v10, v12
	s_or_b64 s[4:5], vcc, s[4:5]
	v_mov_b32_e32 v11, v13
	s_andn2_b64 exec, exec, s[4:5]
	s_cbranch_execnz .LBB7_108
	s_branch .LBB7_27
.LBB7_109:
	s_branch .LBB7_137
.LBB7_110:
                                        ; implicit-def: $vgpr2_vgpr3
	s_cbranch_execz .LBB7_137
; %bb.111:
	v_readfirstlane_b32 s4, v39
	v_mov_b32_e32 v8, 0
	v_mov_b32_e32 v9, 0
	v_cmp_eq_u32_e64 s[4:5], s4, v39
	s_and_saveexec_b64 s[6:7], s[4:5]
	s_cbranch_execz .LBB7_117
; %bb.112:
	s_waitcnt vmcnt(0)
	v_mov_b32_e32 v2, 0
	global_load_dwordx2 v[5:6], v2, s[26:27] offset:24 glc
	s_waitcnt vmcnt(0)
	buffer_wbinvl1_vol
	global_load_dwordx2 v[3:4], v2, s[26:27] offset:40
	global_load_dwordx2 v[7:8], v2, s[26:27]
	s_waitcnt vmcnt(1)
	v_and_b32_e32 v3, v3, v5
	v_and_b32_e32 v4, v4, v6
	v_mul_lo_u32 v4, v4, 24
	v_mul_hi_u32 v9, v3, 24
	v_mul_lo_u32 v3, v3, 24
	v_add_u32_e32 v4, v9, v4
	s_waitcnt vmcnt(0)
	v_add_co_u32_e32 v3, vcc, v7, v3
	v_addc_co_u32_e32 v4, vcc, v8, v4, vcc
	global_load_dwordx2 v[3:4], v[3:4], off glc
	s_waitcnt vmcnt(0)
	global_atomic_cmpswap_x2 v[8:9], v2, v[3:6], s[26:27] offset:24 glc
	s_waitcnt vmcnt(0)
	buffer_wbinvl1_vol
	v_cmp_ne_u64_e32 vcc, v[8:9], v[5:6]
	s_and_saveexec_b64 s[10:11], vcc
	s_cbranch_execz .LBB7_116
; %bb.113:
	s_mov_b64 s[12:13], 0
.LBB7_114:                              ; =>This Inner Loop Header: Depth=1
	s_sleep 1
	global_load_dwordx2 v[3:4], v2, s[26:27] offset:40
	global_load_dwordx2 v[10:11], v2, s[26:27]
	v_mov_b32_e32 v5, v8
	v_mov_b32_e32 v6, v9
	s_waitcnt vmcnt(1)
	v_and_b32_e32 v3, v3, v5
	s_waitcnt vmcnt(0)
	v_mad_u64_u32 v[7:8], s[14:15], v3, 24, v[10:11]
	v_and_b32_e32 v4, v4, v6
	v_mov_b32_e32 v3, v8
	v_mad_u64_u32 v[3:4], s[14:15], v4, 24, v[3:4]
	v_mov_b32_e32 v8, v3
	global_load_dwordx2 v[3:4], v[7:8], off glc
	s_waitcnt vmcnt(0)
	global_atomic_cmpswap_x2 v[8:9], v2, v[3:6], s[26:27] offset:24 glc
	s_waitcnt vmcnt(0)
	buffer_wbinvl1_vol
	v_cmp_eq_u64_e32 vcc, v[8:9], v[5:6]
	s_or_b64 s[12:13], vcc, s[12:13]
	s_andn2_b64 exec, exec, s[12:13]
	s_cbranch_execnz .LBB7_114
; %bb.115:
	s_or_b64 exec, exec, s[12:13]
.LBB7_116:
	s_or_b64 exec, exec, s[10:11]
.LBB7_117:
	s_or_b64 exec, exec, s[6:7]
	s_waitcnt vmcnt(0)
	v_mov_b32_e32 v2, 0
	global_load_dwordx2 v[10:11], v2, s[26:27] offset:40
	global_load_dwordx4 v[4:7], v2, s[26:27]
	v_readfirstlane_b32 s6, v8
	v_readfirstlane_b32 s7, v9
	s_mov_b64 s[10:11], exec
	s_waitcnt vmcnt(1)
	v_readfirstlane_b32 s12, v10
	v_readfirstlane_b32 s13, v11
	s_and_b64 s[12:13], s[6:7], s[12:13]
	s_mul_i32 s14, s13, 24
	s_mul_hi_u32 s15, s12, 24
	s_mul_i32 s16, s12, 24
	s_add_i32 s14, s15, s14
	v_mov_b32_e32 v3, s14
	s_waitcnt vmcnt(0)
	v_add_co_u32_e32 v8, vcc, s16, v4
	v_addc_co_u32_e32 v9, vcc, v5, v3, vcc
	s_and_saveexec_b64 s[14:15], s[4:5]
	s_cbranch_execz .LBB7_119
; %bb.118:
	v_mov_b32_e32 v10, s10
	v_mov_b32_e32 v11, s11
	;; [unrolled: 1-line block ×4, first 2 shown]
	global_store_dwordx4 v[8:9], v[10:13], off offset:8
.LBB7_119:
	s_or_b64 exec, exec, s[14:15]
	s_lshl_b64 s[10:11], s[12:13], 12
	v_mov_b32_e32 v3, s11
	v_add_co_u32_e32 v10, vcc, s10, v6
	v_addc_co_u32_e32 v11, vcc, v7, v3, vcc
	s_movk_i32 s10, 0xff1f
	v_and_or_b32 v0, v0, s10, 32
	s_mov_b32 s12, 0
	v_mov_b32_e32 v3, v2
	v_readfirstlane_b32 s10, v10
	v_readfirstlane_b32 s11, v11
	v_add_co_u32_e32 v6, vcc, v10, v38
	s_mov_b32 s13, s12
	s_mov_b32 s14, s12
	;; [unrolled: 1-line block ×3, first 2 shown]
	s_nop 0
	global_store_dwordx4 v38, v[0:3], s[10:11]
	v_addc_co_u32_e32 v7, vcc, 0, v11, vcc
	v_mov_b32_e32 v0, s12
	v_mov_b32_e32 v1, s13
	;; [unrolled: 1-line block ×4, first 2 shown]
	global_store_dwordx4 v38, v[0:3], s[10:11] offset:16
	global_store_dwordx4 v38, v[0:3], s[10:11] offset:32
	;; [unrolled: 1-line block ×3, first 2 shown]
	s_and_saveexec_b64 s[10:11], s[4:5]
	s_cbranch_execz .LBB7_127
; %bb.120:
	v_mov_b32_e32 v10, 0
	global_load_dwordx2 v[13:14], v10, s[26:27] offset:32 glc
	global_load_dwordx2 v[0:1], v10, s[26:27] offset:40
	v_mov_b32_e32 v11, s6
	v_mov_b32_e32 v12, s7
	s_waitcnt vmcnt(0)
	v_readfirstlane_b32 s12, v0
	v_readfirstlane_b32 s13, v1
	s_and_b64 s[12:13], s[12:13], s[6:7]
	s_mul_i32 s13, s13, 24
	s_mul_hi_u32 s14, s12, 24
	s_mul_i32 s12, s12, 24
	s_add_i32 s13, s14, s13
	v_mov_b32_e32 v0, s13
	v_add_co_u32_e32 v4, vcc, s12, v4
	v_addc_co_u32_e32 v5, vcc, v5, v0, vcc
	global_store_dwordx2 v[4:5], v[13:14], off
	s_waitcnt vmcnt(0)
	global_atomic_cmpswap_x2 v[2:3], v10, v[11:14], s[26:27] offset:32 glc
	s_waitcnt vmcnt(0)
	v_cmp_ne_u64_e32 vcc, v[2:3], v[13:14]
	s_and_saveexec_b64 s[12:13], vcc
	s_cbranch_execz .LBB7_123
; %bb.121:
	s_mov_b64 s[14:15], 0
.LBB7_122:                              ; =>This Inner Loop Header: Depth=1
	s_sleep 1
	global_store_dwordx2 v[4:5], v[2:3], off
	v_mov_b32_e32 v0, s6
	v_mov_b32_e32 v1, s7
	s_waitcnt vmcnt(0)
	global_atomic_cmpswap_x2 v[0:1], v10, v[0:3], s[26:27] offset:32 glc
	s_waitcnt vmcnt(0)
	v_cmp_eq_u64_e32 vcc, v[0:1], v[2:3]
	v_mov_b32_e32 v3, v1
	s_or_b64 s[14:15], vcc, s[14:15]
	v_mov_b32_e32 v2, v0
	s_andn2_b64 exec, exec, s[14:15]
	s_cbranch_execnz .LBB7_122
.LBB7_123:
	s_or_b64 exec, exec, s[12:13]
	v_mov_b32_e32 v3, 0
	global_load_dwordx2 v[0:1], v3, s[26:27] offset:16
	s_mov_b64 s[12:13], exec
	v_mbcnt_lo_u32_b32 v2, s12, 0
	v_mbcnt_hi_u32_b32 v2, s13, v2
	v_cmp_eq_u32_e32 vcc, 0, v2
	s_and_saveexec_b64 s[14:15], vcc
	s_cbranch_execz .LBB7_125
; %bb.124:
	s_bcnt1_i32_b64 s12, s[12:13]
	v_mov_b32_e32 v2, s12
	s_waitcnt vmcnt(0)
	global_atomic_add_x2 v[0:1], v[2:3], off offset:8
.LBB7_125:
	s_or_b64 exec, exec, s[14:15]
	s_waitcnt vmcnt(0)
	global_load_dwordx2 v[2:3], v[0:1], off offset:16
	s_waitcnt vmcnt(0)
	v_cmp_eq_u64_e32 vcc, 0, v[2:3]
	s_cbranch_vccnz .LBB7_127
; %bb.126:
	global_load_dword v0, v[0:1], off offset:24
	v_mov_b32_e32 v1, 0
	s_waitcnt vmcnt(0)
	global_store_dwordx2 v[2:3], v[0:1], off
	v_and_b32_e32 v0, 0xffffff, v0
	v_readfirstlane_b32 m0, v0
	s_sendmsg sendmsg(MSG_INTERRUPT)
.LBB7_127:
	s_or_b64 exec, exec, s[10:11]
	s_branch .LBB7_131
.LBB7_128:                              ;   in Loop: Header=BB7_131 Depth=1
	s_or_b64 exec, exec, s[10:11]
	v_readfirstlane_b32 s10, v0
	s_cmp_eq_u32 s10, 0
	s_cbranch_scc1 .LBB7_130
; %bb.129:                              ;   in Loop: Header=BB7_131 Depth=1
	s_sleep 1
	s_cbranch_execnz .LBB7_131
	s_branch .LBB7_133
.LBB7_130:
	s_branch .LBB7_133
.LBB7_131:                              ; =>This Inner Loop Header: Depth=1
	v_mov_b32_e32 v0, 1
	s_and_saveexec_b64 s[10:11], s[4:5]
	s_cbranch_execz .LBB7_128
; %bb.132:                              ;   in Loop: Header=BB7_131 Depth=1
	global_load_dword v0, v[8:9], off offset:20 glc
	s_waitcnt vmcnt(0)
	buffer_wbinvl1_vol
	v_and_b32_e32 v0, 1, v0
	s_branch .LBB7_128
.LBB7_133:
	global_load_dwordx2 v[2:3], v[6:7], off
	s_and_saveexec_b64 s[10:11], s[4:5]
	s_cbranch_execz .LBB7_136
; %bb.134:
	v_mov_b32_e32 v8, 0
	global_load_dwordx2 v[0:1], v8, s[26:27] offset:40
	global_load_dwordx2 v[9:10], v8, s[26:27] offset:24 glc
	global_load_dwordx2 v[11:12], v8, s[26:27]
	v_mov_b32_e32 v5, s7
	s_mov_b64 s[4:5], 0
	s_waitcnt vmcnt(2)
	v_add_co_u32_e32 v6, vcc, 1, v0
	v_addc_co_u32_e32 v7, vcc, 0, v1, vcc
	v_add_co_u32_e32 v4, vcc, s6, v6
	v_addc_co_u32_e32 v5, vcc, v7, v5, vcc
	v_cmp_eq_u64_e32 vcc, 0, v[4:5]
	v_cndmask_b32_e32 v5, v5, v7, vcc
	v_cndmask_b32_e32 v4, v4, v6, vcc
	v_and_b32_e32 v1, v5, v1
	v_and_b32_e32 v0, v4, v0
	v_mul_lo_u32 v1, v1, 24
	v_mul_hi_u32 v7, v0, 24
	v_mul_lo_u32 v0, v0, 24
	s_waitcnt vmcnt(1)
	v_mov_b32_e32 v6, v9
	v_add_u32_e32 v1, v7, v1
	s_waitcnt vmcnt(0)
	v_add_co_u32_e32 v0, vcc, v11, v0
	v_addc_co_u32_e32 v1, vcc, v12, v1, vcc
	global_store_dwordx2 v[0:1], v[9:10], off
	v_mov_b32_e32 v7, v10
	s_waitcnt vmcnt(0)
	global_atomic_cmpswap_x2 v[6:7], v8, v[4:7], s[26:27] offset:24 glc
	s_waitcnt vmcnt(0)
	v_cmp_ne_u64_e32 vcc, v[6:7], v[9:10]
	s_and_b64 exec, exec, vcc
	s_cbranch_execz .LBB7_136
.LBB7_135:                              ; =>This Inner Loop Header: Depth=1
	s_sleep 1
	global_store_dwordx2 v[0:1], v[6:7], off
	s_waitcnt vmcnt(0)
	global_atomic_cmpswap_x2 v[9:10], v8, v[4:7], s[26:27] offset:24 glc
	s_waitcnt vmcnt(0)
	v_cmp_eq_u64_e32 vcc, v[9:10], v[6:7]
	v_mov_b32_e32 v6, v9
	s_or_b64 s[4:5], vcc, s[4:5]
	v_mov_b32_e32 v7, v10
	s_andn2_b64 exec, exec, s[4:5]
	s_cbranch_execnz .LBB7_135
.LBB7_136:
	s_or_b64 exec, exec, s[10:11]
.LBB7_137:
	v_readfirstlane_b32 s4, v39
	s_waitcnt vmcnt(0)
	v_mov_b32_e32 v0, 0
	v_mov_b32_e32 v1, 0
	v_cmp_eq_u32_e64 s[4:5], s4, v39
	s_and_saveexec_b64 s[6:7], s[4:5]
	s_cbranch_execz .LBB7_143
; %bb.138:
	v_mov_b32_e32 v4, 0
	global_load_dwordx2 v[7:8], v4, s[26:27] offset:24 glc
	s_waitcnt vmcnt(0)
	buffer_wbinvl1_vol
	global_load_dwordx2 v[0:1], v4, s[26:27] offset:40
	global_load_dwordx2 v[5:6], v4, s[26:27]
	s_waitcnt vmcnt(1)
	v_and_b32_e32 v0, v0, v7
	v_and_b32_e32 v1, v1, v8
	v_mul_lo_u32 v1, v1, 24
	v_mul_hi_u32 v9, v0, 24
	v_mul_lo_u32 v0, v0, 24
	v_add_u32_e32 v1, v9, v1
	s_waitcnt vmcnt(0)
	v_add_co_u32_e32 v0, vcc, v5, v0
	v_addc_co_u32_e32 v1, vcc, v6, v1, vcc
	global_load_dwordx2 v[5:6], v[0:1], off glc
	s_waitcnt vmcnt(0)
	global_atomic_cmpswap_x2 v[0:1], v4, v[5:8], s[26:27] offset:24 glc
	s_waitcnt vmcnt(0)
	buffer_wbinvl1_vol
	v_cmp_ne_u64_e32 vcc, v[0:1], v[7:8]
	s_and_saveexec_b64 s[10:11], vcc
	s_cbranch_execz .LBB7_142
; %bb.139:
	s_mov_b64 s[12:13], 0
.LBB7_140:                              ; =>This Inner Loop Header: Depth=1
	s_sleep 1
	global_load_dwordx2 v[5:6], v4, s[26:27] offset:40
	global_load_dwordx2 v[9:10], v4, s[26:27]
	v_mov_b32_e32 v8, v1
	v_mov_b32_e32 v7, v0
	s_waitcnt vmcnt(1)
	v_and_b32_e32 v0, v5, v7
	s_waitcnt vmcnt(0)
	v_mad_u64_u32 v[0:1], s[14:15], v0, 24, v[9:10]
	v_and_b32_e32 v5, v6, v8
	v_mad_u64_u32 v[5:6], s[14:15], v5, 24, v[1:2]
	v_mov_b32_e32 v1, v5
	global_load_dwordx2 v[5:6], v[0:1], off glc
	s_waitcnt vmcnt(0)
	global_atomic_cmpswap_x2 v[0:1], v4, v[5:8], s[26:27] offset:24 glc
	s_waitcnt vmcnt(0)
	buffer_wbinvl1_vol
	v_cmp_eq_u64_e32 vcc, v[0:1], v[7:8]
	s_or_b64 s[12:13], vcc, s[12:13]
	s_andn2_b64 exec, exec, s[12:13]
	s_cbranch_execnz .LBB7_140
; %bb.141:
	s_or_b64 exec, exec, s[12:13]
.LBB7_142:
	s_or_b64 exec, exec, s[10:11]
.LBB7_143:
	s_or_b64 exec, exec, s[6:7]
	v_mov_b32_e32 v5, 0
	global_load_dwordx2 v[10:11], v5, s[26:27] offset:40
	global_load_dwordx4 v[6:9], v5, s[26:27]
	v_readfirstlane_b32 s6, v0
	v_readfirstlane_b32 s7, v1
	s_mov_b64 s[10:11], exec
	s_waitcnt vmcnt(1)
	v_readfirstlane_b32 s12, v10
	v_readfirstlane_b32 s13, v11
	s_and_b64 s[12:13], s[6:7], s[12:13]
	s_mul_i32 s14, s13, 24
	s_mul_hi_u32 s15, s12, 24
	s_mul_i32 s16, s12, 24
	s_add_i32 s14, s15, s14
	v_mov_b32_e32 v0, s14
	s_waitcnt vmcnt(0)
	v_add_co_u32_e32 v10, vcc, s16, v6
	v_addc_co_u32_e32 v11, vcc, v7, v0, vcc
	s_and_saveexec_b64 s[14:15], s[4:5]
	s_cbranch_execz .LBB7_145
; %bb.144:
	v_mov_b32_e32 v13, s11
	v_mov_b32_e32 v12, s10
	;; [unrolled: 1-line block ×4, first 2 shown]
	global_store_dwordx4 v[10:11], v[12:15], off offset:8
.LBB7_145:
	s_or_b64 exec, exec, s[14:15]
	s_lshl_b64 s[10:11], s[12:13], 12
	v_mov_b32_e32 v0, s11
	v_add_co_u32_e32 v1, vcc, s10, v8
	v_addc_co_u32_e32 v0, vcc, v9, v0, vcc
	s_movk_i32 s10, 0xff1d
	v_and_or_b32 v2, v2, s10, 34
	s_mov_b32 s12, 0
	v_mov_b32_e32 v4, 1
	v_readfirstlane_b32 s10, v1
	v_readfirstlane_b32 s11, v0
	s_mov_b32 s13, s12
	s_mov_b32 s14, s12
	;; [unrolled: 1-line block ×3, first 2 shown]
	s_nop 1
	global_store_dwordx4 v38, v[2:5], s[10:11]
	v_mov_b32_e32 v0, s12
	v_mov_b32_e32 v1, s13
	;; [unrolled: 1-line block ×4, first 2 shown]
	global_store_dwordx4 v38, v[0:3], s[10:11] offset:16
	global_store_dwordx4 v38, v[0:3], s[10:11] offset:32
	;; [unrolled: 1-line block ×3, first 2 shown]
	s_and_saveexec_b64 s[10:11], s[4:5]
	s_cbranch_execz .LBB7_153
; %bb.146:
	v_mov_b32_e32 v8, 0
	global_load_dwordx2 v[14:15], v8, s[26:27] offset:32 glc
	global_load_dwordx2 v[0:1], v8, s[26:27] offset:40
	v_mov_b32_e32 v12, s6
	v_mov_b32_e32 v13, s7
	s_waitcnt vmcnt(0)
	v_readfirstlane_b32 s12, v0
	v_readfirstlane_b32 s13, v1
	s_and_b64 s[12:13], s[12:13], s[6:7]
	s_mul_i32 s13, s13, 24
	s_mul_hi_u32 s14, s12, 24
	s_mul_i32 s12, s12, 24
	s_add_i32 s13, s14, s13
	v_mov_b32_e32 v0, s13
	v_add_co_u32_e32 v4, vcc, s12, v6
	v_addc_co_u32_e32 v5, vcc, v7, v0, vcc
	global_store_dwordx2 v[4:5], v[14:15], off
	s_waitcnt vmcnt(0)
	global_atomic_cmpswap_x2 v[2:3], v8, v[12:15], s[26:27] offset:32 glc
	s_waitcnt vmcnt(0)
	v_cmp_ne_u64_e32 vcc, v[2:3], v[14:15]
	s_and_saveexec_b64 s[12:13], vcc
	s_cbranch_execz .LBB7_149
; %bb.147:
	s_mov_b64 s[14:15], 0
.LBB7_148:                              ; =>This Inner Loop Header: Depth=1
	s_sleep 1
	global_store_dwordx2 v[4:5], v[2:3], off
	v_mov_b32_e32 v0, s6
	v_mov_b32_e32 v1, s7
	s_waitcnt vmcnt(0)
	global_atomic_cmpswap_x2 v[0:1], v8, v[0:3], s[26:27] offset:32 glc
	s_waitcnt vmcnt(0)
	v_cmp_eq_u64_e32 vcc, v[0:1], v[2:3]
	v_mov_b32_e32 v3, v1
	s_or_b64 s[14:15], vcc, s[14:15]
	v_mov_b32_e32 v2, v0
	s_andn2_b64 exec, exec, s[14:15]
	s_cbranch_execnz .LBB7_148
.LBB7_149:
	s_or_b64 exec, exec, s[12:13]
	v_mov_b32_e32 v3, 0
	global_load_dwordx2 v[0:1], v3, s[26:27] offset:16
	s_mov_b64 s[12:13], exec
	v_mbcnt_lo_u32_b32 v2, s12, 0
	v_mbcnt_hi_u32_b32 v2, s13, v2
	v_cmp_eq_u32_e32 vcc, 0, v2
	s_and_saveexec_b64 s[14:15], vcc
	s_cbranch_execz .LBB7_151
; %bb.150:
	s_bcnt1_i32_b64 s12, s[12:13]
	v_mov_b32_e32 v2, s12
	s_waitcnt vmcnt(0)
	global_atomic_add_x2 v[0:1], v[2:3], off offset:8
.LBB7_151:
	s_or_b64 exec, exec, s[14:15]
	s_waitcnt vmcnt(0)
	global_load_dwordx2 v[2:3], v[0:1], off offset:16
	s_waitcnt vmcnt(0)
	v_cmp_eq_u64_e32 vcc, 0, v[2:3]
	s_cbranch_vccnz .LBB7_153
; %bb.152:
	global_load_dword v0, v[0:1], off offset:24
	v_mov_b32_e32 v1, 0
	s_waitcnt vmcnt(0)
	global_store_dwordx2 v[2:3], v[0:1], off
	v_and_b32_e32 v0, 0xffffff, v0
	v_readfirstlane_b32 m0, v0
	s_sendmsg sendmsg(MSG_INTERRUPT)
.LBB7_153:
	s_or_b64 exec, exec, s[10:11]
	s_branch .LBB7_157
.LBB7_154:                              ;   in Loop: Header=BB7_157 Depth=1
	s_or_b64 exec, exec, s[10:11]
	v_readfirstlane_b32 s10, v0
	s_cmp_eq_u32 s10, 0
	s_cbranch_scc1 .LBB7_156
; %bb.155:                              ;   in Loop: Header=BB7_157 Depth=1
	s_sleep 1
	s_cbranch_execnz .LBB7_157
	s_branch .LBB7_159
.LBB7_156:
	s_branch .LBB7_159
.LBB7_157:                              ; =>This Inner Loop Header: Depth=1
	v_mov_b32_e32 v0, 1
	s_and_saveexec_b64 s[10:11], s[4:5]
	s_cbranch_execz .LBB7_154
; %bb.158:                              ;   in Loop: Header=BB7_157 Depth=1
	global_load_dword v0, v[10:11], off offset:20 glc
	s_waitcnt vmcnt(0)
	buffer_wbinvl1_vol
	v_and_b32_e32 v0, 1, v0
	s_branch .LBB7_154
.LBB7_159:
	s_and_saveexec_b64 s[10:11], s[4:5]
	s_cbranch_execz .LBB7_162
; %bb.160:
	v_mov_b32_e32 v6, 0
	global_load_dwordx2 v[2:3], v6, s[26:27] offset:40
	global_load_dwordx2 v[7:8], v6, s[26:27] offset:24 glc
	global_load_dwordx2 v[4:5], v6, s[26:27]
	v_mov_b32_e32 v1, s7
	s_mov_b64 s[4:5], 0
	s_waitcnt vmcnt(2)
	v_add_co_u32_e32 v9, vcc, 1, v2
	v_addc_co_u32_e32 v10, vcc, 0, v3, vcc
	v_add_co_u32_e32 v0, vcc, s6, v9
	v_addc_co_u32_e32 v1, vcc, v10, v1, vcc
	v_cmp_eq_u64_e32 vcc, 0, v[0:1]
	v_cndmask_b32_e32 v1, v1, v10, vcc
	v_cndmask_b32_e32 v0, v0, v9, vcc
	v_and_b32_e32 v3, v1, v3
	v_and_b32_e32 v2, v0, v2
	v_mul_lo_u32 v3, v3, 24
	v_mul_hi_u32 v9, v2, 24
	v_mul_lo_u32 v10, v2, 24
	s_waitcnt vmcnt(1)
	v_mov_b32_e32 v2, v7
	v_add_u32_e32 v3, v9, v3
	s_waitcnt vmcnt(0)
	v_add_co_u32_e32 v4, vcc, v4, v10
	v_addc_co_u32_e32 v5, vcc, v5, v3, vcc
	global_store_dwordx2 v[4:5], v[7:8], off
	v_mov_b32_e32 v3, v8
	s_waitcnt vmcnt(0)
	global_atomic_cmpswap_x2 v[2:3], v6, v[0:3], s[26:27] offset:24 glc
	s_waitcnt vmcnt(0)
	v_cmp_ne_u64_e32 vcc, v[2:3], v[7:8]
	s_and_b64 exec, exec, vcc
	s_cbranch_execz .LBB7_162
.LBB7_161:                              ; =>This Inner Loop Header: Depth=1
	s_sleep 1
	global_store_dwordx2 v[4:5], v[2:3], off
	s_waitcnt vmcnt(0)
	global_atomic_cmpswap_x2 v[7:8], v6, v[0:3], s[26:27] offset:24 glc
	s_waitcnt vmcnt(0)
	v_cmp_eq_u64_e32 vcc, v[7:8], v[2:3]
	v_mov_b32_e32 v2, v7
	s_or_b64 s[4:5], vcc, s[4:5]
	v_mov_b32_e32 v3, v8
	s_andn2_b64 exec, exec, s[4:5]
	s_cbranch_execnz .LBB7_161
.LBB7_162:
	s_or_b64 exec, exec, s[10:11]
	s_getpc_b64 s[28:29]
	s_add_u32 s28, s28, .str.10@rel32@lo+4
	s_addc_u32 s29, s29, .str.10@rel32@hi+12
	s_mov_b64 s[8:9], s[24:25]
	v_mov_b32_e32 v0, s28
	v_mov_b32_e32 v1, s29
	s_getpc_b64 s[34:35]
	s_add_u32 s34, s34, _ZNK8migraphx13basic_printerIZNS_4coutEvEUlT_E_ElsEPKc@rel32@lo+4
	s_addc_u32 s35, s35, _ZNK8migraphx13basic_printerIZNS_4coutEvEUlT_E_ElsEPKc@rel32@hi+12
	s_swappc_b64 s[30:31], s[34:35]
	s_getpc_b64 s[4:5]
	s_add_u32 s4, s4, .str.14@rel32@lo+4
	s_addc_u32 s5, s5, .str.14@rel32@hi+12
	s_mov_b64 s[8:9], s[24:25]
	v_mov_b32_e32 v0, s4
	v_mov_b32_e32 v1, s5
	s_swappc_b64 s[30:31], s[34:35]
	s_mov_b64 s[8:9], s[24:25]
	v_mov_b32_e32 v0, s28
	v_mov_b32_e32 v1, s29
	s_swappc_b64 s[30:31], s[34:35]
	flat_load_dword v31, v[36:37] offset:4
	v_readfirstlane_b32 s4, v39
	v_mov_b32_e32 v5, 0
	v_mov_b32_e32 v6, 0
	v_cmp_eq_u32_e64 s[4:5], s4, v39
	s_and_saveexec_b64 s[6:7], s[4:5]
	s_cbranch_execz .LBB7_168
; %bb.163:
	v_mov_b32_e32 v0, 0
	global_load_dwordx2 v[3:4], v0, s[26:27] offset:24 glc
	s_waitcnt vmcnt(0)
	buffer_wbinvl1_vol
	global_load_dwordx2 v[1:2], v0, s[26:27] offset:40
	global_load_dwordx2 v[5:6], v0, s[26:27]
	s_waitcnt vmcnt(0)
	v_and_b32_e32 v1, v1, v3
	v_and_b32_e32 v2, v2, v4
	v_mul_lo_u32 v2, v2, 24
	v_mul_hi_u32 v7, v1, 24
	v_mul_lo_u32 v1, v1, 24
	v_add_u32_e32 v2, v7, v2
	v_add_co_u32_e32 v1, vcc, v5, v1
	v_addc_co_u32_e32 v2, vcc, v6, v2, vcc
	global_load_dwordx2 v[1:2], v[1:2], off glc
	s_waitcnt vmcnt(0)
	global_atomic_cmpswap_x2 v[5:6], v0, v[1:4], s[26:27] offset:24 glc
	s_waitcnt vmcnt(0)
	buffer_wbinvl1_vol
	v_cmp_ne_u64_e32 vcc, v[5:6], v[3:4]
	s_and_saveexec_b64 s[8:9], vcc
	s_cbranch_execz .LBB7_167
; %bb.164:
	s_mov_b64 s[10:11], 0
.LBB7_165:                              ; =>This Inner Loop Header: Depth=1
	s_sleep 1
	global_load_dwordx2 v[1:2], v0, s[26:27] offset:40
	global_load_dwordx2 v[7:8], v0, s[26:27]
	v_mov_b32_e32 v3, v5
	v_mov_b32_e32 v4, v6
	s_waitcnt vmcnt(0)
	v_and_b32_e32 v1, v1, v3
	v_mad_u64_u32 v[5:6], s[12:13], v1, 24, v[7:8]
	v_and_b32_e32 v2, v2, v4
	v_mov_b32_e32 v1, v6
	v_mad_u64_u32 v[1:2], s[12:13], v2, 24, v[1:2]
	v_mov_b32_e32 v6, v1
	global_load_dwordx2 v[1:2], v[5:6], off glc
	s_waitcnt vmcnt(0)
	global_atomic_cmpswap_x2 v[5:6], v0, v[1:4], s[26:27] offset:24 glc
	s_waitcnt vmcnt(0)
	buffer_wbinvl1_vol
	v_cmp_eq_u64_e32 vcc, v[5:6], v[3:4]
	s_or_b64 s[10:11], vcc, s[10:11]
	s_andn2_b64 exec, exec, s[10:11]
	s_cbranch_execnz .LBB7_165
; %bb.166:
	s_or_b64 exec, exec, s[10:11]
.LBB7_167:
	s_or_b64 exec, exec, s[8:9]
.LBB7_168:
	s_or_b64 exec, exec, s[6:7]
	v_mov_b32_e32 v4, 0
	global_load_dwordx2 v[7:8], v4, s[26:27] offset:40
	global_load_dwordx4 v[0:3], v4, s[26:27]
	v_readfirstlane_b32 s6, v5
	v_readfirstlane_b32 s7, v6
	s_mov_b64 s[8:9], exec
	s_waitcnt vmcnt(0)
	v_readfirstlane_b32 s10, v7
	v_readfirstlane_b32 s11, v8
	s_and_b64 s[10:11], s[6:7], s[10:11]
	s_mul_i32 s12, s11, 24
	s_mul_hi_u32 s13, s10, 24
	s_mul_i32 s14, s10, 24
	s_add_i32 s12, s13, s12
	v_mov_b32_e32 v5, s12
	v_add_co_u32_e32 v7, vcc, s14, v0
	v_addc_co_u32_e32 v8, vcc, v1, v5, vcc
	s_and_saveexec_b64 s[12:13], s[4:5]
	s_cbranch_execz .LBB7_170
; %bb.169:
	v_mov_b32_e32 v10, s9
	v_mov_b32_e32 v9, s8
	;; [unrolled: 1-line block ×4, first 2 shown]
	global_store_dwordx4 v[7:8], v[9:12], off offset:8
.LBB7_170:
	s_or_b64 exec, exec, s[12:13]
	s_lshl_b64 s[8:9], s[10:11], 12
	v_mov_b32_e32 v5, s9
	v_add_co_u32_e32 v2, vcc, s8, v2
	v_addc_co_u32_e32 v11, vcc, v3, v5, vcc
	s_mov_b32 s8, 0
	v_mov_b32_e32 v3, 33
	v_mov_b32_e32 v5, v4
	;; [unrolled: 1-line block ×3, first 2 shown]
	v_readfirstlane_b32 s12, v2
	v_readfirstlane_b32 s13, v11
	v_add_co_u32_e32 v9, vcc, v2, v38
	s_mov_b32 s9, s8
	s_mov_b32 s10, s8
	;; [unrolled: 1-line block ×3, first 2 shown]
	s_nop 0
	global_store_dwordx4 v38, v[3:6], s[12:13]
	v_mov_b32_e32 v2, s8
	v_addc_co_u32_e32 v10, vcc, 0, v11, vcc
	v_mov_b32_e32 v3, s9
	v_mov_b32_e32 v4, s10
	;; [unrolled: 1-line block ×3, first 2 shown]
	global_store_dwordx4 v38, v[2:5], s[12:13] offset:16
	global_store_dwordx4 v38, v[2:5], s[12:13] offset:32
	global_store_dwordx4 v38, v[2:5], s[12:13] offset:48
	s_and_saveexec_b64 s[8:9], s[4:5]
	s_cbranch_execz .LBB7_178
; %bb.171:
	v_mov_b32_e32 v6, 0
	global_load_dwordx2 v[13:14], v6, s[26:27] offset:32 glc
	global_load_dwordx2 v[2:3], v6, s[26:27] offset:40
	v_mov_b32_e32 v11, s6
	v_mov_b32_e32 v12, s7
	s_waitcnt vmcnt(0)
	v_readfirstlane_b32 s10, v2
	v_readfirstlane_b32 s11, v3
	s_and_b64 s[10:11], s[10:11], s[6:7]
	s_mul_i32 s11, s11, 24
	s_mul_hi_u32 s12, s10, 24
	s_mul_i32 s10, s10, 24
	s_add_i32 s11, s12, s11
	v_mov_b32_e32 v2, s11
	v_add_co_u32_e32 v4, vcc, s10, v0
	v_addc_co_u32_e32 v5, vcc, v1, v2, vcc
	global_store_dwordx2 v[4:5], v[13:14], off
	s_waitcnt vmcnt(0)
	global_atomic_cmpswap_x2 v[2:3], v6, v[11:14], s[26:27] offset:32 glc
	s_waitcnt vmcnt(0)
	v_cmp_ne_u64_e32 vcc, v[2:3], v[13:14]
	s_and_saveexec_b64 s[10:11], vcc
	s_cbranch_execz .LBB7_174
; %bb.172:
	s_mov_b64 s[12:13], 0
.LBB7_173:                              ; =>This Inner Loop Header: Depth=1
	s_sleep 1
	global_store_dwordx2 v[4:5], v[2:3], off
	v_mov_b32_e32 v0, s6
	v_mov_b32_e32 v1, s7
	s_waitcnt vmcnt(0)
	global_atomic_cmpswap_x2 v[0:1], v6, v[0:3], s[26:27] offset:32 glc
	s_waitcnt vmcnt(0)
	v_cmp_eq_u64_e32 vcc, v[0:1], v[2:3]
	v_mov_b32_e32 v3, v1
	s_or_b64 s[12:13], vcc, s[12:13]
	v_mov_b32_e32 v2, v0
	s_andn2_b64 exec, exec, s[12:13]
	s_cbranch_execnz .LBB7_173
.LBB7_174:
	s_or_b64 exec, exec, s[10:11]
	v_mov_b32_e32 v3, 0
	global_load_dwordx2 v[0:1], v3, s[26:27] offset:16
	s_mov_b64 s[10:11], exec
	v_mbcnt_lo_u32_b32 v2, s10, 0
	v_mbcnt_hi_u32_b32 v2, s11, v2
	v_cmp_eq_u32_e32 vcc, 0, v2
	s_and_saveexec_b64 s[12:13], vcc
	s_cbranch_execz .LBB7_176
; %bb.175:
	s_bcnt1_i32_b64 s10, s[10:11]
	v_mov_b32_e32 v2, s10
	s_waitcnt vmcnt(0)
	global_atomic_add_x2 v[0:1], v[2:3], off offset:8
.LBB7_176:
	s_or_b64 exec, exec, s[12:13]
	s_waitcnt vmcnt(0)
	global_load_dwordx2 v[2:3], v[0:1], off offset:16
	s_waitcnt vmcnt(0)
	v_cmp_eq_u64_e32 vcc, 0, v[2:3]
	s_cbranch_vccnz .LBB7_178
; %bb.177:
	global_load_dword v0, v[0:1], off offset:24
	v_mov_b32_e32 v1, 0
	s_waitcnt vmcnt(0)
	global_store_dwordx2 v[2:3], v[0:1], off
	v_and_b32_e32 v0, 0xffffff, v0
	v_readfirstlane_b32 m0, v0
	s_sendmsg sendmsg(MSG_INTERRUPT)
.LBB7_178:
	s_or_b64 exec, exec, s[8:9]
	s_branch .LBB7_182
.LBB7_179:                              ;   in Loop: Header=BB7_182 Depth=1
	s_or_b64 exec, exec, s[8:9]
	v_readfirstlane_b32 s8, v0
	s_cmp_eq_u32 s8, 0
	s_cbranch_scc1 .LBB7_181
; %bb.180:                              ;   in Loop: Header=BB7_182 Depth=1
	s_sleep 1
	s_cbranch_execnz .LBB7_182
	s_branch .LBB7_184
.LBB7_181:
	s_branch .LBB7_184
.LBB7_182:                              ; =>This Inner Loop Header: Depth=1
	v_mov_b32_e32 v0, 1
	s_and_saveexec_b64 s[8:9], s[4:5]
	s_cbranch_execz .LBB7_179
; %bb.183:                              ;   in Loop: Header=BB7_182 Depth=1
	global_load_dword v0, v[7:8], off offset:20 glc
	s_waitcnt vmcnt(0)
	buffer_wbinvl1_vol
	v_and_b32_e32 v0, 1, v0
	s_branch .LBB7_179
.LBB7_184:
	global_load_dwordx2 v[0:1], v[9:10], off
	s_and_saveexec_b64 s[8:9], s[4:5]
	s_cbranch_execz .LBB7_187
; %bb.185:
	v_mov_b32_e32 v8, 0
	global_load_dwordx2 v[4:5], v8, s[26:27] offset:40
	global_load_dwordx2 v[9:10], v8, s[26:27] offset:24 glc
	global_load_dwordx2 v[6:7], v8, s[26:27]
	v_mov_b32_e32 v3, s7
	s_mov_b64 s[4:5], 0
	s_waitcnt vmcnt(0)
	v_add_co_u32_e32 v11, vcc, 1, v4
	v_addc_co_u32_e32 v12, vcc, 0, v5, vcc
	v_add_co_u32_e32 v2, vcc, s6, v11
	v_addc_co_u32_e32 v3, vcc, v12, v3, vcc
	v_cmp_eq_u64_e32 vcc, 0, v[2:3]
	v_cndmask_b32_e32 v3, v3, v12, vcc
	v_cndmask_b32_e32 v2, v2, v11, vcc
	v_and_b32_e32 v5, v3, v5
	v_and_b32_e32 v4, v2, v4
	v_mul_lo_u32 v5, v5, 24
	v_mul_hi_u32 v11, v4, 24
	v_mul_lo_u32 v12, v4, 24
	v_mov_b32_e32 v4, v9
	v_add_u32_e32 v5, v11, v5
	v_add_co_u32_e32 v6, vcc, v6, v12
	v_addc_co_u32_e32 v7, vcc, v7, v5, vcc
	global_store_dwordx2 v[6:7], v[9:10], off
	v_mov_b32_e32 v5, v10
	s_waitcnt vmcnt(0)
	global_atomic_cmpswap_x2 v[4:5], v8, v[2:5], s[26:27] offset:24 glc
	s_waitcnt vmcnt(0)
	v_cmp_ne_u64_e32 vcc, v[4:5], v[9:10]
	s_and_b64 exec, exec, vcc
	s_cbranch_execz .LBB7_187
.LBB7_186:                              ; =>This Inner Loop Header: Depth=1
	s_sleep 1
	global_store_dwordx2 v[6:7], v[4:5], off
	s_waitcnt vmcnt(0)
	global_atomic_cmpswap_x2 v[9:10], v8, v[2:5], s[26:27] offset:24 glc
	s_waitcnt vmcnt(0)
	v_cmp_eq_u64_e32 vcc, v[9:10], v[4:5]
	v_mov_b32_e32 v4, v9
	s_or_b64 s[4:5], vcc, s[4:5]
	v_mov_b32_e32 v5, v10
	s_andn2_b64 exec, exec, s[4:5]
	s_cbranch_execnz .LBB7_186
.LBB7_187:
	s_or_b64 exec, exec, s[8:9]
	s_getpc_b64 s[6:7]
	s_add_u32 s6, s6, .str.9@rel32@lo+4
	s_addc_u32 s7, s7, .str.9@rel32@hi+12
	s_cmp_lg_u64 s[6:7], 0
	s_cbranch_scc0 .LBB7_272
; %bb.188:
	s_waitcnt vmcnt(0)
	v_and_b32_e32 v32, 2, v0
	v_mov_b32_e32 v28, 0
	v_and_b32_e32 v2, -3, v0
	v_mov_b32_e32 v3, v1
	s_mov_b64 s[8:9], 4
	v_mov_b32_e32 v6, 2
	v_mov_b32_e32 v7, 1
	s_branch .LBB7_190
.LBB7_189:                              ;   in Loop: Header=BB7_190 Depth=1
	s_or_b64 exec, exec, s[14:15]
	s_sub_u32 s8, s8, s10
	s_subb_u32 s9, s9, s11
	s_add_u32 s6, s6, s10
	s_addc_u32 s7, s7, s11
	s_cmp_lg_u64 s[8:9], 0
	s_cbranch_scc0 .LBB7_271
.LBB7_190:                              ; =>This Loop Header: Depth=1
                                        ;     Child Loop BB7_193 Depth 2
                                        ;     Child Loop BB7_200 Depth 2
	;; [unrolled: 1-line block ×11, first 2 shown]
	v_cmp_lt_u64_e64 s[4:5], s[8:9], 56
	v_cmp_gt_u64_e64 s[12:13], s[8:9], 7
	s_and_b64 s[4:5], s[4:5], exec
	s_cselect_b32 s11, s9, 0
	s_cselect_b32 s10, s8, 56
	s_and_b64 vcc, exec, s[12:13]
	s_cbranch_vccnz .LBB7_195
; %bb.191:                              ;   in Loop: Header=BB7_190 Depth=1
	v_mov_b32_e32 v10, 0
	s_cmp_eq_u64 s[8:9], 0
	v_mov_b32_e32 v11, 0
	s_mov_b64 s[4:5], 0
	s_cbranch_scc1 .LBB7_194
; %bb.192:                              ;   in Loop: Header=BB7_190 Depth=1
	v_mov_b32_e32 v10, 0
	s_lshl_b64 s[12:13], s[10:11], 3
	s_mov_b64 s[14:15], 0
	v_mov_b32_e32 v11, 0
	s_mov_b64 s[16:17], s[6:7]
.LBB7_193:                              ;   Parent Loop BB7_190 Depth=1
                                        ; =>  This Inner Loop Header: Depth=2
	global_load_ubyte v4, v28, s[16:17]
	s_waitcnt vmcnt(0)
	v_and_b32_e32 v27, 0xffff, v4
	v_lshlrev_b64 v[4:5], s14, v[27:28]
	s_add_u32 s14, s14, 8
	s_addc_u32 s15, s15, 0
	s_add_u32 s16, s16, 1
	s_addc_u32 s17, s17, 0
	v_or_b32_e32 v10, v4, v10
	s_cmp_lg_u32 s12, s14
	v_or_b32_e32 v11, v5, v11
	s_cbranch_scc1 .LBB7_193
.LBB7_194:                              ;   in Loop: Header=BB7_190 Depth=1
	s_mov_b32 s16, 0
	s_andn2_b64 vcc, exec, s[4:5]
	s_mov_b64 s[4:5], s[6:7]
	s_cbranch_vccz .LBB7_196
	s_branch .LBB7_197
.LBB7_195:                              ;   in Loop: Header=BB7_190 Depth=1
                                        ; implicit-def: $vgpr10_vgpr11
                                        ; implicit-def: $sgpr16
	s_mov_b64 s[4:5], s[6:7]
.LBB7_196:                              ;   in Loop: Header=BB7_190 Depth=1
	global_load_dwordx2 v[10:11], v28, s[6:7]
	s_add_i32 s16, s10, -8
	s_add_u32 s4, s6, 8
	s_addc_u32 s5, s7, 0
.LBB7_197:                              ;   in Loop: Header=BB7_190 Depth=1
	s_cmp_gt_u32 s16, 7
	s_cbranch_scc1 .LBB7_201
; %bb.198:                              ;   in Loop: Header=BB7_190 Depth=1
	s_cmp_eq_u32 s16, 0
	s_cbranch_scc1 .LBB7_202
; %bb.199:                              ;   in Loop: Header=BB7_190 Depth=1
	v_mov_b32_e32 v12, 0
	s_mov_b64 s[12:13], 0
	v_mov_b32_e32 v13, 0
	s_mov_b64 s[14:15], 0
.LBB7_200:                              ;   Parent Loop BB7_190 Depth=1
                                        ; =>  This Inner Loop Header: Depth=2
	s_add_u32 s18, s4, s14
	s_addc_u32 s19, s5, s15
	global_load_ubyte v4, v28, s[18:19]
	s_add_u32 s14, s14, 1
	s_addc_u32 s15, s15, 0
	s_waitcnt vmcnt(0)
	v_and_b32_e32 v27, 0xffff, v4
	v_lshlrev_b64 v[4:5], s12, v[27:28]
	s_add_u32 s12, s12, 8
	s_addc_u32 s13, s13, 0
	v_or_b32_e32 v12, v4, v12
	s_cmp_lg_u32 s16, s14
	v_or_b32_e32 v13, v5, v13
	s_cbranch_scc1 .LBB7_200
	s_branch .LBB7_203
.LBB7_201:                              ;   in Loop: Header=BB7_190 Depth=1
                                        ; implicit-def: $vgpr12_vgpr13
                                        ; implicit-def: $sgpr17
	s_branch .LBB7_204
.LBB7_202:                              ;   in Loop: Header=BB7_190 Depth=1
	v_mov_b32_e32 v12, 0
	v_mov_b32_e32 v13, 0
.LBB7_203:                              ;   in Loop: Header=BB7_190 Depth=1
	s_mov_b32 s17, 0
	s_cbranch_execnz .LBB7_205
.LBB7_204:                              ;   in Loop: Header=BB7_190 Depth=1
	global_load_dwordx2 v[12:13], v28, s[4:5]
	s_add_i32 s17, s16, -8
	s_add_u32 s4, s4, 8
	s_addc_u32 s5, s5, 0
.LBB7_205:                              ;   in Loop: Header=BB7_190 Depth=1
	s_cmp_gt_u32 s17, 7
	s_cbranch_scc1 .LBB7_209
; %bb.206:                              ;   in Loop: Header=BB7_190 Depth=1
	s_cmp_eq_u32 s17, 0
	s_cbranch_scc1 .LBB7_210
; %bb.207:                              ;   in Loop: Header=BB7_190 Depth=1
	v_mov_b32_e32 v14, 0
	s_mov_b64 s[12:13], 0
	v_mov_b32_e32 v15, 0
	s_mov_b64 s[14:15], 0
.LBB7_208:                              ;   Parent Loop BB7_190 Depth=1
                                        ; =>  This Inner Loop Header: Depth=2
	s_add_u32 s18, s4, s14
	s_addc_u32 s19, s5, s15
	global_load_ubyte v4, v28, s[18:19]
	s_add_u32 s14, s14, 1
	s_addc_u32 s15, s15, 0
	s_waitcnt vmcnt(0)
	v_and_b32_e32 v27, 0xffff, v4
	v_lshlrev_b64 v[4:5], s12, v[27:28]
	s_add_u32 s12, s12, 8
	s_addc_u32 s13, s13, 0
	v_or_b32_e32 v14, v4, v14
	s_cmp_lg_u32 s17, s14
	v_or_b32_e32 v15, v5, v15
	s_cbranch_scc1 .LBB7_208
	s_branch .LBB7_211
.LBB7_209:                              ;   in Loop: Header=BB7_190 Depth=1
                                        ; implicit-def: $sgpr16
	s_branch .LBB7_212
.LBB7_210:                              ;   in Loop: Header=BB7_190 Depth=1
	v_mov_b32_e32 v14, 0
	v_mov_b32_e32 v15, 0
.LBB7_211:                              ;   in Loop: Header=BB7_190 Depth=1
	s_mov_b32 s16, 0
	s_cbranch_execnz .LBB7_213
.LBB7_212:                              ;   in Loop: Header=BB7_190 Depth=1
	global_load_dwordx2 v[14:15], v28, s[4:5]
	s_add_i32 s16, s17, -8
	s_add_u32 s4, s4, 8
	s_addc_u32 s5, s5, 0
.LBB7_213:                              ;   in Loop: Header=BB7_190 Depth=1
	s_cmp_gt_u32 s16, 7
	s_cbranch_scc1 .LBB7_217
; %bb.214:                              ;   in Loop: Header=BB7_190 Depth=1
	s_cmp_eq_u32 s16, 0
	s_cbranch_scc1 .LBB7_218
; %bb.215:                              ;   in Loop: Header=BB7_190 Depth=1
	v_mov_b32_e32 v16, 0
	s_mov_b64 s[12:13], 0
	v_mov_b32_e32 v17, 0
	s_mov_b64 s[14:15], 0
.LBB7_216:                              ;   Parent Loop BB7_190 Depth=1
                                        ; =>  This Inner Loop Header: Depth=2
	s_add_u32 s18, s4, s14
	s_addc_u32 s19, s5, s15
	global_load_ubyte v4, v28, s[18:19]
	s_add_u32 s14, s14, 1
	s_addc_u32 s15, s15, 0
	s_waitcnt vmcnt(0)
	v_and_b32_e32 v27, 0xffff, v4
	v_lshlrev_b64 v[4:5], s12, v[27:28]
	s_add_u32 s12, s12, 8
	s_addc_u32 s13, s13, 0
	v_or_b32_e32 v16, v4, v16
	s_cmp_lg_u32 s16, s14
	v_or_b32_e32 v17, v5, v17
	s_cbranch_scc1 .LBB7_216
	s_branch .LBB7_219
.LBB7_217:                              ;   in Loop: Header=BB7_190 Depth=1
                                        ; implicit-def: $vgpr16_vgpr17
                                        ; implicit-def: $sgpr17
	s_branch .LBB7_220
.LBB7_218:                              ;   in Loop: Header=BB7_190 Depth=1
	v_mov_b32_e32 v16, 0
	v_mov_b32_e32 v17, 0
.LBB7_219:                              ;   in Loop: Header=BB7_190 Depth=1
	s_mov_b32 s17, 0
	s_cbranch_execnz .LBB7_221
.LBB7_220:                              ;   in Loop: Header=BB7_190 Depth=1
	global_load_dwordx2 v[16:17], v28, s[4:5]
	s_add_i32 s17, s16, -8
	s_add_u32 s4, s4, 8
	s_addc_u32 s5, s5, 0
.LBB7_221:                              ;   in Loop: Header=BB7_190 Depth=1
	s_cmp_gt_u32 s17, 7
	s_cbranch_scc1 .LBB7_225
; %bb.222:                              ;   in Loop: Header=BB7_190 Depth=1
	s_cmp_eq_u32 s17, 0
	s_cbranch_scc1 .LBB7_226
; %bb.223:                              ;   in Loop: Header=BB7_190 Depth=1
	v_mov_b32_e32 v18, 0
	s_mov_b64 s[12:13], 0
	v_mov_b32_e32 v19, 0
	s_mov_b64 s[14:15], 0
.LBB7_224:                              ;   Parent Loop BB7_190 Depth=1
                                        ; =>  This Inner Loop Header: Depth=2
	s_add_u32 s18, s4, s14
	s_addc_u32 s19, s5, s15
	global_load_ubyte v4, v28, s[18:19]
	s_add_u32 s14, s14, 1
	s_addc_u32 s15, s15, 0
	s_waitcnt vmcnt(0)
	v_and_b32_e32 v27, 0xffff, v4
	v_lshlrev_b64 v[4:5], s12, v[27:28]
	s_add_u32 s12, s12, 8
	s_addc_u32 s13, s13, 0
	v_or_b32_e32 v18, v4, v18
	s_cmp_lg_u32 s17, s14
	v_or_b32_e32 v19, v5, v19
	s_cbranch_scc1 .LBB7_224
	s_branch .LBB7_227
.LBB7_225:                              ;   in Loop: Header=BB7_190 Depth=1
                                        ; implicit-def: $sgpr16
	s_branch .LBB7_228
.LBB7_226:                              ;   in Loop: Header=BB7_190 Depth=1
	v_mov_b32_e32 v18, 0
	v_mov_b32_e32 v19, 0
.LBB7_227:                              ;   in Loop: Header=BB7_190 Depth=1
	s_mov_b32 s16, 0
	s_cbranch_execnz .LBB7_229
.LBB7_228:                              ;   in Loop: Header=BB7_190 Depth=1
	global_load_dwordx2 v[18:19], v28, s[4:5]
	s_add_i32 s16, s17, -8
	s_add_u32 s4, s4, 8
	s_addc_u32 s5, s5, 0
.LBB7_229:                              ;   in Loop: Header=BB7_190 Depth=1
	s_cmp_gt_u32 s16, 7
	s_cbranch_scc1 .LBB7_233
; %bb.230:                              ;   in Loop: Header=BB7_190 Depth=1
	s_cmp_eq_u32 s16, 0
	s_cbranch_scc1 .LBB7_234
; %bb.231:                              ;   in Loop: Header=BB7_190 Depth=1
	v_mov_b32_e32 v20, 0
	s_mov_b64 s[12:13], 0
	v_mov_b32_e32 v21, 0
	s_mov_b64 s[14:15], 0
.LBB7_232:                              ;   Parent Loop BB7_190 Depth=1
                                        ; =>  This Inner Loop Header: Depth=2
	s_add_u32 s18, s4, s14
	s_addc_u32 s19, s5, s15
	global_load_ubyte v4, v28, s[18:19]
	s_add_u32 s14, s14, 1
	s_addc_u32 s15, s15, 0
	s_waitcnt vmcnt(0)
	v_and_b32_e32 v27, 0xffff, v4
	v_lshlrev_b64 v[4:5], s12, v[27:28]
	s_add_u32 s12, s12, 8
	s_addc_u32 s13, s13, 0
	v_or_b32_e32 v20, v4, v20
	s_cmp_lg_u32 s16, s14
	v_or_b32_e32 v21, v5, v21
	s_cbranch_scc1 .LBB7_232
	s_branch .LBB7_235
.LBB7_233:                              ;   in Loop: Header=BB7_190 Depth=1
                                        ; implicit-def: $vgpr20_vgpr21
                                        ; implicit-def: $sgpr17
	s_branch .LBB7_236
.LBB7_234:                              ;   in Loop: Header=BB7_190 Depth=1
	v_mov_b32_e32 v20, 0
	v_mov_b32_e32 v21, 0
.LBB7_235:                              ;   in Loop: Header=BB7_190 Depth=1
	s_mov_b32 s17, 0
	s_cbranch_execnz .LBB7_237
.LBB7_236:                              ;   in Loop: Header=BB7_190 Depth=1
	global_load_dwordx2 v[20:21], v28, s[4:5]
	s_add_i32 s17, s16, -8
	s_add_u32 s4, s4, 8
	s_addc_u32 s5, s5, 0
.LBB7_237:                              ;   in Loop: Header=BB7_190 Depth=1
	s_cmp_gt_u32 s17, 7
	s_cbranch_scc1 .LBB7_241
; %bb.238:                              ;   in Loop: Header=BB7_190 Depth=1
	s_cmp_eq_u32 s17, 0
	s_cbranch_scc1 .LBB7_242
; %bb.239:                              ;   in Loop: Header=BB7_190 Depth=1
	v_mov_b32_e32 v22, 0
	s_mov_b64 s[12:13], 0
	v_mov_b32_e32 v23, 0
	s_mov_b64 s[14:15], s[4:5]
.LBB7_240:                              ;   Parent Loop BB7_190 Depth=1
                                        ; =>  This Inner Loop Header: Depth=2
	global_load_ubyte v4, v28, s[14:15]
	s_add_i32 s17, s17, -1
	s_waitcnt vmcnt(0)
	v_and_b32_e32 v27, 0xffff, v4
	v_lshlrev_b64 v[4:5], s12, v[27:28]
	s_add_u32 s12, s12, 8
	s_addc_u32 s13, s13, 0
	s_add_u32 s14, s14, 1
	s_addc_u32 s15, s15, 0
	v_or_b32_e32 v22, v4, v22
	s_cmp_lg_u32 s17, 0
	v_or_b32_e32 v23, v5, v23
	s_cbranch_scc1 .LBB7_240
	s_branch .LBB7_243
.LBB7_241:                              ;   in Loop: Header=BB7_190 Depth=1
	s_branch .LBB7_244
.LBB7_242:                              ;   in Loop: Header=BB7_190 Depth=1
	v_mov_b32_e32 v22, 0
	v_mov_b32_e32 v23, 0
.LBB7_243:                              ;   in Loop: Header=BB7_190 Depth=1
	s_cbranch_execnz .LBB7_245
.LBB7_244:                              ;   in Loop: Header=BB7_190 Depth=1
	global_load_dwordx2 v[22:23], v28, s[4:5]
.LBB7_245:                              ;   in Loop: Header=BB7_190 Depth=1
	v_readfirstlane_b32 s4, v39
	s_waitcnt vmcnt(0)
	v_mov_b32_e32 v4, 0
	v_mov_b32_e32 v5, 0
	v_cmp_eq_u32_e64 s[4:5], s4, v39
	s_and_saveexec_b64 s[12:13], s[4:5]
	s_cbranch_execz .LBB7_251
; %bb.246:                              ;   in Loop: Header=BB7_190 Depth=1
	global_load_dwordx2 v[26:27], v28, s[26:27] offset:24 glc
	s_waitcnt vmcnt(0)
	buffer_wbinvl1_vol
	global_load_dwordx2 v[4:5], v28, s[26:27] offset:40
	global_load_dwordx2 v[8:9], v28, s[26:27]
	s_waitcnt vmcnt(0)
	v_and_b32_e32 v4, v4, v26
	v_and_b32_e32 v5, v5, v27
	v_mul_lo_u32 v5, v5, 24
	v_mul_hi_u32 v24, v4, 24
	v_mul_lo_u32 v4, v4, 24
	v_add_u32_e32 v5, v24, v5
	v_add_co_u32_e32 v4, vcc, v8, v4
	v_addc_co_u32_e32 v5, vcc, v9, v5, vcc
	global_load_dwordx2 v[24:25], v[4:5], off glc
	s_waitcnt vmcnt(0)
	global_atomic_cmpswap_x2 v[4:5], v28, v[24:27], s[26:27] offset:24 glc
	s_waitcnt vmcnt(0)
	buffer_wbinvl1_vol
	v_cmp_ne_u64_e32 vcc, v[4:5], v[26:27]
	s_and_saveexec_b64 s[14:15], vcc
	s_cbranch_execz .LBB7_250
; %bb.247:                              ;   in Loop: Header=BB7_190 Depth=1
	s_mov_b64 s[16:17], 0
.LBB7_248:                              ;   Parent Loop BB7_190 Depth=1
                                        ; =>  This Inner Loop Header: Depth=2
	s_sleep 1
	global_load_dwordx2 v[8:9], v28, s[26:27] offset:40
	global_load_dwordx2 v[24:25], v28, s[26:27]
	v_mov_b32_e32 v27, v5
	v_mov_b32_e32 v26, v4
	s_waitcnt vmcnt(0)
	v_and_b32_e32 v4, v8, v26
	v_mad_u64_u32 v[4:5], s[18:19], v4, 24, v[24:25]
	v_and_b32_e32 v8, v9, v27
	v_mad_u64_u32 v[8:9], s[18:19], v8, 24, v[5:6]
	v_mov_b32_e32 v5, v8
	global_load_dwordx2 v[24:25], v[4:5], off glc
	s_waitcnt vmcnt(0)
	global_atomic_cmpswap_x2 v[4:5], v28, v[24:27], s[26:27] offset:24 glc
	s_waitcnt vmcnt(0)
	buffer_wbinvl1_vol
	v_cmp_eq_u64_e32 vcc, v[4:5], v[26:27]
	s_or_b64 s[16:17], vcc, s[16:17]
	s_andn2_b64 exec, exec, s[16:17]
	s_cbranch_execnz .LBB7_248
; %bb.249:                              ;   in Loop: Header=BB7_190 Depth=1
	s_or_b64 exec, exec, s[16:17]
.LBB7_250:                              ;   in Loop: Header=BB7_190 Depth=1
	s_or_b64 exec, exec, s[14:15]
.LBB7_251:                              ;   in Loop: Header=BB7_190 Depth=1
	s_or_b64 exec, exec, s[12:13]
	global_load_dwordx2 v[8:9], v28, s[26:27] offset:40
	global_load_dwordx4 v[24:27], v28, s[26:27]
	v_readfirstlane_b32 s12, v4
	v_readfirstlane_b32 s13, v5
	s_mov_b64 s[14:15], exec
	s_waitcnt vmcnt(0)
	v_readfirstlane_b32 s16, v8
	v_readfirstlane_b32 s17, v9
	s_and_b64 s[16:17], s[12:13], s[16:17]
	s_mul_i32 s18, s17, 24
	s_mul_hi_u32 s19, s16, 24
	s_mul_i32 s20, s16, 24
	s_add_i32 s18, s19, s18
	v_mov_b32_e32 v4, s18
	v_add_co_u32_e32 v29, vcc, s20, v24
	v_addc_co_u32_e32 v30, vcc, v25, v4, vcc
	s_and_saveexec_b64 s[18:19], s[4:5]
	s_cbranch_execz .LBB7_253
; %bb.252:                              ;   in Loop: Header=BB7_190 Depth=1
	v_mov_b32_e32 v4, s14
	v_mov_b32_e32 v5, s15
	global_store_dwordx4 v[29:30], v[4:7], off offset:8
.LBB7_253:                              ;   in Loop: Header=BB7_190 Depth=1
	s_or_b64 exec, exec, s[18:19]
	s_lshl_b64 s[14:15], s[16:17], 12
	v_mov_b32_e32 v4, s15
	v_add_co_u32_e32 v26, vcc, s14, v26
	v_addc_co_u32_e32 v33, vcc, v27, v4, vcc
	v_cmp_gt_u64_e64 vcc, s[8:9], 56
	v_or_b32_e32 v5, v2, v32
	s_lshl_b32 s14, s10, 2
	v_cndmask_b32_e32 v2, v5, v2, vcc
	s_add_i32 s14, s14, 28
	v_or_b32_e32 v4, 0, v3
	s_and_b32 s14, s14, 0x1e0
	v_and_b32_e32 v2, 0xffffff1f, v2
	v_cndmask_b32_e32 v9, v4, v3, vcc
	v_or_b32_e32 v8, s14, v2
	v_readfirstlane_b32 s14, v26
	v_readfirstlane_b32 s15, v33
	s_nop 4
	global_store_dwordx4 v38, v[8:11], s[14:15]
	global_store_dwordx4 v38, v[12:15], s[14:15] offset:16
	global_store_dwordx4 v38, v[16:19], s[14:15] offset:32
	;; [unrolled: 1-line block ×3, first 2 shown]
	s_and_saveexec_b64 s[14:15], s[4:5]
	s_cbranch_execz .LBB7_261
; %bb.254:                              ;   in Loop: Header=BB7_190 Depth=1
	global_load_dwordx2 v[12:13], v28, s[26:27] offset:32 glc
	global_load_dwordx2 v[2:3], v28, s[26:27] offset:40
	v_mov_b32_e32 v10, s12
	v_mov_b32_e32 v11, s13
	s_waitcnt vmcnt(0)
	v_readfirstlane_b32 s16, v2
	v_readfirstlane_b32 s17, v3
	s_and_b64 s[16:17], s[16:17], s[12:13]
	s_mul_i32 s17, s17, 24
	s_mul_hi_u32 s18, s16, 24
	s_mul_i32 s16, s16, 24
	s_add_i32 s17, s18, s17
	v_mov_b32_e32 v2, s17
	v_add_co_u32_e32 v8, vcc, s16, v24
	v_addc_co_u32_e32 v9, vcc, v25, v2, vcc
	global_store_dwordx2 v[8:9], v[12:13], off
	s_waitcnt vmcnt(0)
	global_atomic_cmpswap_x2 v[4:5], v28, v[10:13], s[26:27] offset:32 glc
	s_waitcnt vmcnt(0)
	v_cmp_ne_u64_e32 vcc, v[4:5], v[12:13]
	s_and_saveexec_b64 s[16:17], vcc
	s_cbranch_execz .LBB7_257
; %bb.255:                              ;   in Loop: Header=BB7_190 Depth=1
	s_mov_b64 s[18:19], 0
.LBB7_256:                              ;   Parent Loop BB7_190 Depth=1
                                        ; =>  This Inner Loop Header: Depth=2
	s_sleep 1
	global_store_dwordx2 v[8:9], v[4:5], off
	v_mov_b32_e32 v2, s12
	v_mov_b32_e32 v3, s13
	s_waitcnt vmcnt(0)
	global_atomic_cmpswap_x2 v[2:3], v28, v[2:5], s[26:27] offset:32 glc
	s_waitcnt vmcnt(0)
	v_cmp_eq_u64_e32 vcc, v[2:3], v[4:5]
	v_mov_b32_e32 v5, v3
	s_or_b64 s[18:19], vcc, s[18:19]
	v_mov_b32_e32 v4, v2
	s_andn2_b64 exec, exec, s[18:19]
	s_cbranch_execnz .LBB7_256
.LBB7_257:                              ;   in Loop: Header=BB7_190 Depth=1
	s_or_b64 exec, exec, s[16:17]
	global_load_dwordx2 v[2:3], v28, s[26:27] offset:16
	s_mov_b64 s[18:19], exec
	v_mbcnt_lo_u32_b32 v4, s18, 0
	v_mbcnt_hi_u32_b32 v4, s19, v4
	v_cmp_eq_u32_e32 vcc, 0, v4
	s_and_saveexec_b64 s[16:17], vcc
	s_cbranch_execz .LBB7_259
; %bb.258:                              ;   in Loop: Header=BB7_190 Depth=1
	s_bcnt1_i32_b64 s18, s[18:19]
	v_mov_b32_e32 v27, s18
	s_waitcnt vmcnt(0)
	global_atomic_add_x2 v[2:3], v[27:28], off offset:8
.LBB7_259:                              ;   in Loop: Header=BB7_190 Depth=1
	s_or_b64 exec, exec, s[16:17]
	s_waitcnt vmcnt(0)
	global_load_dwordx2 v[4:5], v[2:3], off offset:16
	s_waitcnt vmcnt(0)
	v_cmp_eq_u64_e32 vcc, 0, v[4:5]
	s_cbranch_vccnz .LBB7_261
; %bb.260:                              ;   in Loop: Header=BB7_190 Depth=1
	global_load_dword v27, v[2:3], off offset:24
	s_waitcnt vmcnt(0)
	v_and_b32_e32 v2, 0xffffff, v27
	v_readfirstlane_b32 m0, v2
	global_store_dwordx2 v[4:5], v[27:28], off
	s_sendmsg sendmsg(MSG_INTERRUPT)
.LBB7_261:                              ;   in Loop: Header=BB7_190 Depth=1
	s_or_b64 exec, exec, s[14:15]
	v_add_co_u32_e32 v2, vcc, v26, v38
	v_addc_co_u32_e32 v3, vcc, 0, v33, vcc
	s_branch .LBB7_265
.LBB7_262:                              ;   in Loop: Header=BB7_265 Depth=2
	s_or_b64 exec, exec, s[14:15]
	v_readfirstlane_b32 s14, v4
	s_cmp_eq_u32 s14, 0
	s_cbranch_scc1 .LBB7_264
; %bb.263:                              ;   in Loop: Header=BB7_265 Depth=2
	s_sleep 1
	s_cbranch_execnz .LBB7_265
	s_branch .LBB7_267
.LBB7_264:                              ;   in Loop: Header=BB7_190 Depth=1
	s_branch .LBB7_267
.LBB7_265:                              ;   Parent Loop BB7_190 Depth=1
                                        ; =>  This Inner Loop Header: Depth=2
	v_mov_b32_e32 v4, 1
	s_and_saveexec_b64 s[14:15], s[4:5]
	s_cbranch_execz .LBB7_262
; %bb.266:                              ;   in Loop: Header=BB7_265 Depth=2
	global_load_dword v4, v[29:30], off offset:20 glc
	s_waitcnt vmcnt(0)
	buffer_wbinvl1_vol
	v_and_b32_e32 v4, 1, v4
	s_branch .LBB7_262
.LBB7_267:                              ;   in Loop: Header=BB7_190 Depth=1
	global_load_dwordx4 v[2:5], v[2:3], off
	s_and_saveexec_b64 s[14:15], s[4:5]
	s_cbranch_execz .LBB7_189
; %bb.268:                              ;   in Loop: Header=BB7_190 Depth=1
	global_load_dwordx2 v[4:5], v28, s[26:27] offset:40
	global_load_dwordx2 v[12:13], v28, s[26:27] offset:24 glc
	global_load_dwordx2 v[14:15], v28, s[26:27]
	v_mov_b32_e32 v9, s13
	s_waitcnt vmcnt(0)
	v_add_co_u32_e32 v10, vcc, 1, v4
	v_addc_co_u32_e32 v11, vcc, 0, v5, vcc
	v_add_co_u32_e32 v8, vcc, s12, v10
	v_addc_co_u32_e32 v9, vcc, v11, v9, vcc
	v_cmp_eq_u64_e32 vcc, 0, v[8:9]
	v_cndmask_b32_e32 v9, v9, v11, vcc
	v_cndmask_b32_e32 v8, v8, v10, vcc
	v_and_b32_e32 v5, v9, v5
	v_and_b32_e32 v4, v8, v4
	v_mul_lo_u32 v5, v5, 24
	v_mul_hi_u32 v11, v4, 24
	v_mul_lo_u32 v4, v4, 24
	v_mov_b32_e32 v10, v12
	v_add_u32_e32 v5, v11, v5
	v_add_co_u32_e32 v4, vcc, v14, v4
	v_addc_co_u32_e32 v5, vcc, v15, v5, vcc
	global_store_dwordx2 v[4:5], v[12:13], off
	v_mov_b32_e32 v11, v13
	s_waitcnt vmcnt(0)
	global_atomic_cmpswap_x2 v[10:11], v28, v[8:11], s[26:27] offset:24 glc
	s_waitcnt vmcnt(0)
	v_cmp_ne_u64_e32 vcc, v[10:11], v[12:13]
	s_and_b64 exec, exec, vcc
	s_cbranch_execz .LBB7_189
; %bb.269:                              ;   in Loop: Header=BB7_190 Depth=1
	s_mov_b64 s[4:5], 0
.LBB7_270:                              ;   Parent Loop BB7_190 Depth=1
                                        ; =>  This Inner Loop Header: Depth=2
	s_sleep 1
	global_store_dwordx2 v[4:5], v[10:11], off
	s_waitcnt vmcnt(0)
	global_atomic_cmpswap_x2 v[12:13], v28, v[8:11], s[26:27] offset:24 glc
	s_waitcnt vmcnt(0)
	v_cmp_eq_u64_e32 vcc, v[12:13], v[10:11]
	v_mov_b32_e32 v10, v12
	s_or_b64 s[4:5], vcc, s[4:5]
	v_mov_b32_e32 v11, v13
	s_andn2_b64 exec, exec, s[4:5]
	s_cbranch_execnz .LBB7_270
	s_branch .LBB7_189
.LBB7_271:
	s_branch .LBB7_299
.LBB7_272:
                                        ; implicit-def: $vgpr2_vgpr3
	s_cbranch_execz .LBB7_299
; %bb.273:
	v_readfirstlane_b32 s4, v39
	v_mov_b32_e32 v8, 0
	v_mov_b32_e32 v9, 0
	v_cmp_eq_u32_e64 s[4:5], s4, v39
	s_and_saveexec_b64 s[6:7], s[4:5]
	s_cbranch_execz .LBB7_279
; %bb.274:
	s_waitcnt vmcnt(0)
	v_mov_b32_e32 v2, 0
	global_load_dwordx2 v[5:6], v2, s[26:27] offset:24 glc
	s_waitcnt vmcnt(0)
	buffer_wbinvl1_vol
	global_load_dwordx2 v[3:4], v2, s[26:27] offset:40
	global_load_dwordx2 v[7:8], v2, s[26:27]
	s_waitcnt vmcnt(0)
	v_and_b32_e32 v3, v3, v5
	v_and_b32_e32 v4, v4, v6
	v_mul_lo_u32 v4, v4, 24
	v_mul_hi_u32 v9, v3, 24
	v_mul_lo_u32 v3, v3, 24
	v_add_u32_e32 v4, v9, v4
	v_add_co_u32_e32 v3, vcc, v7, v3
	v_addc_co_u32_e32 v4, vcc, v8, v4, vcc
	global_load_dwordx2 v[3:4], v[3:4], off glc
	s_waitcnt vmcnt(0)
	global_atomic_cmpswap_x2 v[8:9], v2, v[3:6], s[26:27] offset:24 glc
	s_waitcnt vmcnt(0)
	buffer_wbinvl1_vol
	v_cmp_ne_u64_e32 vcc, v[8:9], v[5:6]
	s_and_saveexec_b64 s[8:9], vcc
	s_cbranch_execz .LBB7_278
; %bb.275:
	s_mov_b64 s[10:11], 0
.LBB7_276:                              ; =>This Inner Loop Header: Depth=1
	s_sleep 1
	global_load_dwordx2 v[3:4], v2, s[26:27] offset:40
	global_load_dwordx2 v[10:11], v2, s[26:27]
	v_mov_b32_e32 v5, v8
	v_mov_b32_e32 v6, v9
	s_waitcnt vmcnt(0)
	v_and_b32_e32 v3, v3, v5
	v_mad_u64_u32 v[7:8], s[12:13], v3, 24, v[10:11]
	v_and_b32_e32 v4, v4, v6
	v_mov_b32_e32 v3, v8
	v_mad_u64_u32 v[3:4], s[12:13], v4, 24, v[3:4]
	v_mov_b32_e32 v8, v3
	global_load_dwordx2 v[3:4], v[7:8], off glc
	s_waitcnt vmcnt(0)
	global_atomic_cmpswap_x2 v[8:9], v2, v[3:6], s[26:27] offset:24 glc
	s_waitcnt vmcnt(0)
	buffer_wbinvl1_vol
	v_cmp_eq_u64_e32 vcc, v[8:9], v[5:6]
	s_or_b64 s[10:11], vcc, s[10:11]
	s_andn2_b64 exec, exec, s[10:11]
	s_cbranch_execnz .LBB7_276
; %bb.277:
	s_or_b64 exec, exec, s[10:11]
.LBB7_278:
	s_or_b64 exec, exec, s[8:9]
.LBB7_279:
	s_or_b64 exec, exec, s[6:7]
	s_waitcnt vmcnt(0)
	v_mov_b32_e32 v2, 0
	global_load_dwordx2 v[10:11], v2, s[26:27] offset:40
	global_load_dwordx4 v[4:7], v2, s[26:27]
	v_readfirstlane_b32 s6, v8
	v_readfirstlane_b32 s7, v9
	s_mov_b64 s[8:9], exec
	s_waitcnt vmcnt(0)
	v_readfirstlane_b32 s10, v10
	v_readfirstlane_b32 s11, v11
	s_and_b64 s[10:11], s[6:7], s[10:11]
	s_mul_i32 s12, s11, 24
	s_mul_hi_u32 s13, s10, 24
	s_mul_i32 s14, s10, 24
	s_add_i32 s12, s13, s12
	v_mov_b32_e32 v3, s12
	v_add_co_u32_e32 v8, vcc, s14, v4
	v_addc_co_u32_e32 v9, vcc, v5, v3, vcc
	s_and_saveexec_b64 s[12:13], s[4:5]
	s_cbranch_execz .LBB7_281
; %bb.280:
	v_mov_b32_e32 v11, s9
	v_mov_b32_e32 v10, s8
	;; [unrolled: 1-line block ×4, first 2 shown]
	global_store_dwordx4 v[8:9], v[10:13], off offset:8
.LBB7_281:
	s_or_b64 exec, exec, s[12:13]
	s_lshl_b64 s[8:9], s[10:11], 12
	v_mov_b32_e32 v3, s9
	v_add_co_u32_e32 v10, vcc, s8, v6
	v_addc_co_u32_e32 v11, vcc, v7, v3, vcc
	s_movk_i32 s8, 0xff1f
	v_and_or_b32 v0, v0, s8, 32
	s_mov_b32 s8, 0
	v_mov_b32_e32 v3, v2
	v_readfirstlane_b32 s12, v10
	v_readfirstlane_b32 s13, v11
	v_add_co_u32_e32 v6, vcc, v10, v38
	s_mov_b32 s9, s8
	s_mov_b32 s10, s8
	;; [unrolled: 1-line block ×3, first 2 shown]
	s_nop 0
	global_store_dwordx4 v38, v[0:3], s[12:13]
	v_addc_co_u32_e32 v7, vcc, 0, v11, vcc
	v_mov_b32_e32 v0, s8
	v_mov_b32_e32 v1, s9
	;; [unrolled: 1-line block ×4, first 2 shown]
	global_store_dwordx4 v38, v[0:3], s[12:13] offset:16
	global_store_dwordx4 v38, v[0:3], s[12:13] offset:32
	;; [unrolled: 1-line block ×3, first 2 shown]
	s_and_saveexec_b64 s[8:9], s[4:5]
	s_cbranch_execz .LBB7_289
; %bb.282:
	v_mov_b32_e32 v10, 0
	global_load_dwordx2 v[13:14], v10, s[26:27] offset:32 glc
	global_load_dwordx2 v[0:1], v10, s[26:27] offset:40
	v_mov_b32_e32 v11, s6
	v_mov_b32_e32 v12, s7
	s_waitcnt vmcnt(0)
	v_readfirstlane_b32 s10, v0
	v_readfirstlane_b32 s11, v1
	s_and_b64 s[10:11], s[10:11], s[6:7]
	s_mul_i32 s11, s11, 24
	s_mul_hi_u32 s12, s10, 24
	s_mul_i32 s10, s10, 24
	s_add_i32 s11, s12, s11
	v_mov_b32_e32 v0, s11
	v_add_co_u32_e32 v4, vcc, s10, v4
	v_addc_co_u32_e32 v5, vcc, v5, v0, vcc
	global_store_dwordx2 v[4:5], v[13:14], off
	s_waitcnt vmcnt(0)
	global_atomic_cmpswap_x2 v[2:3], v10, v[11:14], s[26:27] offset:32 glc
	s_waitcnt vmcnt(0)
	v_cmp_ne_u64_e32 vcc, v[2:3], v[13:14]
	s_and_saveexec_b64 s[10:11], vcc
	s_cbranch_execz .LBB7_285
; %bb.283:
	s_mov_b64 s[12:13], 0
.LBB7_284:                              ; =>This Inner Loop Header: Depth=1
	s_sleep 1
	global_store_dwordx2 v[4:5], v[2:3], off
	v_mov_b32_e32 v0, s6
	v_mov_b32_e32 v1, s7
	s_waitcnt vmcnt(0)
	global_atomic_cmpswap_x2 v[0:1], v10, v[0:3], s[26:27] offset:32 glc
	s_waitcnt vmcnt(0)
	v_cmp_eq_u64_e32 vcc, v[0:1], v[2:3]
	v_mov_b32_e32 v3, v1
	s_or_b64 s[12:13], vcc, s[12:13]
	v_mov_b32_e32 v2, v0
	s_andn2_b64 exec, exec, s[12:13]
	s_cbranch_execnz .LBB7_284
.LBB7_285:
	s_or_b64 exec, exec, s[10:11]
	v_mov_b32_e32 v3, 0
	global_load_dwordx2 v[0:1], v3, s[26:27] offset:16
	s_mov_b64 s[10:11], exec
	v_mbcnt_lo_u32_b32 v2, s10, 0
	v_mbcnt_hi_u32_b32 v2, s11, v2
	v_cmp_eq_u32_e32 vcc, 0, v2
	s_and_saveexec_b64 s[12:13], vcc
	s_cbranch_execz .LBB7_287
; %bb.286:
	s_bcnt1_i32_b64 s10, s[10:11]
	v_mov_b32_e32 v2, s10
	s_waitcnt vmcnt(0)
	global_atomic_add_x2 v[0:1], v[2:3], off offset:8
.LBB7_287:
	s_or_b64 exec, exec, s[12:13]
	s_waitcnt vmcnt(0)
	global_load_dwordx2 v[2:3], v[0:1], off offset:16
	s_waitcnt vmcnt(0)
	v_cmp_eq_u64_e32 vcc, 0, v[2:3]
	s_cbranch_vccnz .LBB7_289
; %bb.288:
	global_load_dword v0, v[0:1], off offset:24
	v_mov_b32_e32 v1, 0
	s_waitcnt vmcnt(0)
	global_store_dwordx2 v[2:3], v[0:1], off
	v_and_b32_e32 v0, 0xffffff, v0
	v_readfirstlane_b32 m0, v0
	s_sendmsg sendmsg(MSG_INTERRUPT)
.LBB7_289:
	s_or_b64 exec, exec, s[8:9]
	s_branch .LBB7_293
.LBB7_290:                              ;   in Loop: Header=BB7_293 Depth=1
	s_or_b64 exec, exec, s[8:9]
	v_readfirstlane_b32 s8, v0
	s_cmp_eq_u32 s8, 0
	s_cbranch_scc1 .LBB7_292
; %bb.291:                              ;   in Loop: Header=BB7_293 Depth=1
	s_sleep 1
	s_cbranch_execnz .LBB7_293
	s_branch .LBB7_295
.LBB7_292:
	s_branch .LBB7_295
.LBB7_293:                              ; =>This Inner Loop Header: Depth=1
	v_mov_b32_e32 v0, 1
	s_and_saveexec_b64 s[8:9], s[4:5]
	s_cbranch_execz .LBB7_290
; %bb.294:                              ;   in Loop: Header=BB7_293 Depth=1
	global_load_dword v0, v[8:9], off offset:20 glc
	s_waitcnt vmcnt(0)
	buffer_wbinvl1_vol
	v_and_b32_e32 v0, 1, v0
	s_branch .LBB7_290
.LBB7_295:
	global_load_dwordx2 v[2:3], v[6:7], off
	s_and_saveexec_b64 s[8:9], s[4:5]
	s_cbranch_execz .LBB7_298
; %bb.296:
	v_mov_b32_e32 v8, 0
	global_load_dwordx2 v[0:1], v8, s[26:27] offset:40
	global_load_dwordx2 v[9:10], v8, s[26:27] offset:24 glc
	global_load_dwordx2 v[11:12], v8, s[26:27]
	v_mov_b32_e32 v5, s7
	s_mov_b64 s[4:5], 0
	s_waitcnt vmcnt(0)
	v_add_co_u32_e32 v6, vcc, 1, v0
	v_addc_co_u32_e32 v7, vcc, 0, v1, vcc
	v_add_co_u32_e32 v4, vcc, s6, v6
	v_addc_co_u32_e32 v5, vcc, v7, v5, vcc
	v_cmp_eq_u64_e32 vcc, 0, v[4:5]
	v_cndmask_b32_e32 v5, v5, v7, vcc
	v_cndmask_b32_e32 v4, v4, v6, vcc
	v_and_b32_e32 v1, v5, v1
	v_and_b32_e32 v0, v4, v0
	v_mul_lo_u32 v1, v1, 24
	v_mul_hi_u32 v7, v0, 24
	v_mul_lo_u32 v0, v0, 24
	v_mov_b32_e32 v6, v9
	v_add_u32_e32 v1, v7, v1
	v_add_co_u32_e32 v0, vcc, v11, v0
	v_addc_co_u32_e32 v1, vcc, v12, v1, vcc
	global_store_dwordx2 v[0:1], v[9:10], off
	v_mov_b32_e32 v7, v10
	s_waitcnt vmcnt(0)
	global_atomic_cmpswap_x2 v[6:7], v8, v[4:7], s[26:27] offset:24 glc
	s_waitcnt vmcnt(0)
	v_cmp_ne_u64_e32 vcc, v[6:7], v[9:10]
	s_and_b64 exec, exec, vcc
	s_cbranch_execz .LBB7_298
.LBB7_297:                              ; =>This Inner Loop Header: Depth=1
	s_sleep 1
	global_store_dwordx2 v[0:1], v[6:7], off
	s_waitcnt vmcnt(0)
	global_atomic_cmpswap_x2 v[9:10], v8, v[4:7], s[26:27] offset:24 glc
	s_waitcnt vmcnt(0)
	v_cmp_eq_u64_e32 vcc, v[9:10], v[6:7]
	v_mov_b32_e32 v6, v9
	s_or_b64 s[4:5], vcc, s[4:5]
	v_mov_b32_e32 v7, v10
	s_andn2_b64 exec, exec, s[4:5]
	s_cbranch_execnz .LBB7_297
.LBB7_298:
	s_or_b64 exec, exec, s[8:9]
.LBB7_299:
	v_readfirstlane_b32 s4, v39
	s_waitcnt vmcnt(0)
	v_mov_b32_e32 v0, 0
	v_mov_b32_e32 v1, 0
	v_cmp_eq_u32_e64 s[4:5], s4, v39
	s_and_saveexec_b64 s[6:7], s[4:5]
	s_cbranch_execz .LBB7_305
; %bb.300:
	v_mov_b32_e32 v4, 0
	global_load_dwordx2 v[7:8], v4, s[26:27] offset:24 glc
	s_waitcnt vmcnt(0)
	buffer_wbinvl1_vol
	global_load_dwordx2 v[0:1], v4, s[26:27] offset:40
	global_load_dwordx2 v[5:6], v4, s[26:27]
	s_waitcnt vmcnt(0)
	v_and_b32_e32 v0, v0, v7
	v_and_b32_e32 v1, v1, v8
	v_mul_lo_u32 v1, v1, 24
	v_mul_hi_u32 v9, v0, 24
	v_mul_lo_u32 v0, v0, 24
	v_add_u32_e32 v1, v9, v1
	v_add_co_u32_e32 v0, vcc, v5, v0
	v_addc_co_u32_e32 v1, vcc, v6, v1, vcc
	global_load_dwordx2 v[5:6], v[0:1], off glc
	s_waitcnt vmcnt(0)
	global_atomic_cmpswap_x2 v[0:1], v4, v[5:8], s[26:27] offset:24 glc
	s_waitcnt vmcnt(0)
	buffer_wbinvl1_vol
	v_cmp_ne_u64_e32 vcc, v[0:1], v[7:8]
	s_and_saveexec_b64 s[8:9], vcc
	s_cbranch_execz .LBB7_304
; %bb.301:
	s_mov_b64 s[10:11], 0
.LBB7_302:                              ; =>This Inner Loop Header: Depth=1
	s_sleep 1
	global_load_dwordx2 v[5:6], v4, s[26:27] offset:40
	global_load_dwordx2 v[9:10], v4, s[26:27]
	v_mov_b32_e32 v8, v1
	v_mov_b32_e32 v7, v0
	s_waitcnt vmcnt(0)
	v_and_b32_e32 v0, v5, v7
	v_mad_u64_u32 v[0:1], s[12:13], v0, 24, v[9:10]
	v_and_b32_e32 v5, v6, v8
	v_mad_u64_u32 v[5:6], s[12:13], v5, 24, v[1:2]
	v_mov_b32_e32 v1, v5
	global_load_dwordx2 v[5:6], v[0:1], off glc
	s_waitcnt vmcnt(0)
	global_atomic_cmpswap_x2 v[0:1], v4, v[5:8], s[26:27] offset:24 glc
	s_waitcnt vmcnt(0)
	buffer_wbinvl1_vol
	v_cmp_eq_u64_e32 vcc, v[0:1], v[7:8]
	s_or_b64 s[10:11], vcc, s[10:11]
	s_andn2_b64 exec, exec, s[10:11]
	s_cbranch_execnz .LBB7_302
; %bb.303:
	s_or_b64 exec, exec, s[10:11]
.LBB7_304:
	s_or_b64 exec, exec, s[8:9]
.LBB7_305:
	s_or_b64 exec, exec, s[6:7]
	v_mov_b32_e32 v10, 0
	global_load_dwordx2 v[4:5], v10, s[26:27] offset:40
	global_load_dwordx4 v[6:9], v10, s[26:27]
	v_readfirstlane_b32 s6, v0
	v_readfirstlane_b32 s7, v1
	s_mov_b64 s[8:9], exec
	s_waitcnt vmcnt(0)
	v_readfirstlane_b32 s10, v4
	v_readfirstlane_b32 s11, v5
	s_and_b64 s[10:11], s[6:7], s[10:11]
	s_mul_i32 s12, s11, 24
	s_mul_hi_u32 s13, s10, 24
	s_mul_i32 s14, s10, 24
	s_add_i32 s12, s13, s12
	v_mov_b32_e32 v0, s12
	v_add_co_u32_e32 v10, vcc, s14, v6
	v_addc_co_u32_e32 v11, vcc, v7, v0, vcc
	s_and_saveexec_b64 s[12:13], s[4:5]
	s_cbranch_execz .LBB7_307
; %bb.306:
	v_mov_b32_e32 v13, s9
	v_mov_b32_e32 v12, s8
	;; [unrolled: 1-line block ×4, first 2 shown]
	global_store_dwordx4 v[10:11], v[12:15], off offset:8
.LBB7_307:
	s_or_b64 exec, exec, s[12:13]
	s_lshl_b64 s[8:9], s[10:11], 12
	v_mov_b32_e32 v0, s9
	v_add_co_u32_e32 v1, vcc, s8, v8
	v_addc_co_u32_e32 v0, vcc, v9, v0, vcc
	s_movk_i32 s8, 0xff1d
	v_and_or_b32 v2, v2, s8, 34
	s_waitcnt lgkmcnt(0)
	v_ashrrev_i32_e32 v5, 31, v31
	v_mov_b32_e32 v4, v31
	v_readfirstlane_b32 s12, v1
	v_readfirstlane_b32 s13, v0
	s_mov_b32 s8, 0
	s_mov_b32 s9, s8
	;; [unrolled: 1-line block ×4, first 2 shown]
	s_nop 0
	global_store_dwordx4 v38, v[2:5], s[12:13]
	v_mov_b32_e32 v0, s8
	v_mov_b32_e32 v1, s9
	;; [unrolled: 1-line block ×4, first 2 shown]
	global_store_dwordx4 v38, v[0:3], s[12:13] offset:16
	global_store_dwordx4 v38, v[0:3], s[12:13] offset:32
	global_store_dwordx4 v38, v[0:3], s[12:13] offset:48
	s_and_saveexec_b64 s[8:9], s[4:5]
	s_cbranch_execz .LBB7_315
; %bb.308:
	v_mov_b32_e32 v8, 0
	global_load_dwordx2 v[14:15], v8, s[26:27] offset:32 glc
	global_load_dwordx2 v[0:1], v8, s[26:27] offset:40
	v_mov_b32_e32 v12, s6
	v_mov_b32_e32 v13, s7
	s_waitcnt vmcnt(0)
	v_readfirstlane_b32 s10, v0
	v_readfirstlane_b32 s11, v1
	s_and_b64 s[10:11], s[10:11], s[6:7]
	s_mul_i32 s11, s11, 24
	s_mul_hi_u32 s12, s10, 24
	s_mul_i32 s10, s10, 24
	s_add_i32 s11, s12, s11
	v_mov_b32_e32 v0, s11
	v_add_co_u32_e32 v4, vcc, s10, v6
	v_addc_co_u32_e32 v5, vcc, v7, v0, vcc
	global_store_dwordx2 v[4:5], v[14:15], off
	s_waitcnt vmcnt(0)
	global_atomic_cmpswap_x2 v[2:3], v8, v[12:15], s[26:27] offset:32 glc
	s_waitcnt vmcnt(0)
	v_cmp_ne_u64_e32 vcc, v[2:3], v[14:15]
	s_and_saveexec_b64 s[10:11], vcc
	s_cbranch_execz .LBB7_311
; %bb.309:
	s_mov_b64 s[12:13], 0
.LBB7_310:                              ; =>This Inner Loop Header: Depth=1
	s_sleep 1
	global_store_dwordx2 v[4:5], v[2:3], off
	v_mov_b32_e32 v0, s6
	v_mov_b32_e32 v1, s7
	s_waitcnt vmcnt(0)
	global_atomic_cmpswap_x2 v[0:1], v8, v[0:3], s[26:27] offset:32 glc
	s_waitcnt vmcnt(0)
	v_cmp_eq_u64_e32 vcc, v[0:1], v[2:3]
	v_mov_b32_e32 v3, v1
	s_or_b64 s[12:13], vcc, s[12:13]
	v_mov_b32_e32 v2, v0
	s_andn2_b64 exec, exec, s[12:13]
	s_cbranch_execnz .LBB7_310
.LBB7_311:
	s_or_b64 exec, exec, s[10:11]
	v_mov_b32_e32 v3, 0
	global_load_dwordx2 v[0:1], v3, s[26:27] offset:16
	s_mov_b64 s[10:11], exec
	v_mbcnt_lo_u32_b32 v2, s10, 0
	v_mbcnt_hi_u32_b32 v2, s11, v2
	v_cmp_eq_u32_e32 vcc, 0, v2
	s_and_saveexec_b64 s[12:13], vcc
	s_cbranch_execz .LBB7_313
; %bb.312:
	s_bcnt1_i32_b64 s10, s[10:11]
	v_mov_b32_e32 v2, s10
	s_waitcnt vmcnt(0)
	global_atomic_add_x2 v[0:1], v[2:3], off offset:8
.LBB7_313:
	s_or_b64 exec, exec, s[12:13]
	s_waitcnt vmcnt(0)
	global_load_dwordx2 v[2:3], v[0:1], off offset:16
	s_waitcnt vmcnt(0)
	v_cmp_eq_u64_e32 vcc, 0, v[2:3]
	s_cbranch_vccnz .LBB7_315
; %bb.314:
	global_load_dword v0, v[0:1], off offset:24
	v_mov_b32_e32 v1, 0
	s_waitcnt vmcnt(0)
	global_store_dwordx2 v[2:3], v[0:1], off
	v_and_b32_e32 v0, 0xffffff, v0
	v_readfirstlane_b32 m0, v0
	s_sendmsg sendmsg(MSG_INTERRUPT)
.LBB7_315:
	s_or_b64 exec, exec, s[8:9]
	s_branch .LBB7_319
.LBB7_316:                              ;   in Loop: Header=BB7_319 Depth=1
	s_or_b64 exec, exec, s[8:9]
	v_readfirstlane_b32 s8, v0
	s_cmp_eq_u32 s8, 0
	s_cbranch_scc1 .LBB7_318
; %bb.317:                              ;   in Loop: Header=BB7_319 Depth=1
	s_sleep 1
	s_cbranch_execnz .LBB7_319
	s_branch .LBB7_321
.LBB7_318:
	s_branch .LBB7_321
.LBB7_319:                              ; =>This Inner Loop Header: Depth=1
	v_mov_b32_e32 v0, 1
	s_and_saveexec_b64 s[8:9], s[4:5]
	s_cbranch_execz .LBB7_316
; %bb.320:                              ;   in Loop: Header=BB7_319 Depth=1
	global_load_dword v0, v[10:11], off offset:20 glc
	s_waitcnt vmcnt(0)
	buffer_wbinvl1_vol
	v_and_b32_e32 v0, 1, v0
	s_branch .LBB7_316
.LBB7_321:
	s_and_saveexec_b64 s[8:9], s[4:5]
	s_cbranch_execz .LBB7_324
; %bb.322:
	v_mov_b32_e32 v6, 0
	global_load_dwordx2 v[2:3], v6, s[26:27] offset:40
	global_load_dwordx2 v[7:8], v6, s[26:27] offset:24 glc
	global_load_dwordx2 v[4:5], v6, s[26:27]
	v_mov_b32_e32 v1, s7
	s_mov_b64 s[4:5], 0
	s_waitcnt vmcnt(2)
	v_add_co_u32_e32 v9, vcc, 1, v2
	v_addc_co_u32_e32 v10, vcc, 0, v3, vcc
	v_add_co_u32_e32 v0, vcc, s6, v9
	v_addc_co_u32_e32 v1, vcc, v10, v1, vcc
	v_cmp_eq_u64_e32 vcc, 0, v[0:1]
	v_cndmask_b32_e32 v1, v1, v10, vcc
	v_cndmask_b32_e32 v0, v0, v9, vcc
	v_and_b32_e32 v3, v1, v3
	v_and_b32_e32 v2, v0, v2
	v_mul_lo_u32 v3, v3, 24
	v_mul_hi_u32 v9, v2, 24
	v_mul_lo_u32 v10, v2, 24
	s_waitcnt vmcnt(1)
	v_mov_b32_e32 v2, v7
	v_add_u32_e32 v3, v9, v3
	s_waitcnt vmcnt(0)
	v_add_co_u32_e32 v4, vcc, v4, v10
	v_addc_co_u32_e32 v5, vcc, v5, v3, vcc
	global_store_dwordx2 v[4:5], v[7:8], off
	v_mov_b32_e32 v3, v8
	s_waitcnt vmcnt(0)
	global_atomic_cmpswap_x2 v[2:3], v6, v[0:3], s[26:27] offset:24 glc
	s_waitcnt vmcnt(0)
	v_cmp_ne_u64_e32 vcc, v[2:3], v[7:8]
	s_and_b64 exec, exec, vcc
	s_cbranch_execz .LBB7_324
.LBB7_323:                              ; =>This Inner Loop Header: Depth=1
	s_sleep 1
	global_store_dwordx2 v[4:5], v[2:3], off
	s_waitcnt vmcnt(0)
	global_atomic_cmpswap_x2 v[7:8], v6, v[0:3], s[26:27] offset:24 glc
	s_waitcnt vmcnt(0)
	v_cmp_eq_u64_e32 vcc, v[7:8], v[2:3]
	v_mov_b32_e32 v2, v7
	s_or_b64 s[4:5], vcc, s[4:5]
	v_mov_b32_e32 v3, v8
	s_andn2_b64 exec, exec, s[4:5]
	s_cbranch_execnz .LBB7_323
.LBB7_324:
	s_or_b64 exec, exec, s[8:9]
	v_readlane_b32 s30, v40, 2
	v_readlane_b32 s31, v40, 3
	;; [unrolled: 1-line block ×4, first 2 shown]
	s_or_saveexec_b64 s[4:5], -1
	buffer_load_dword v40, off, s[0:3], s33 ; 4-byte Folded Reload
	s_mov_b64 exec, s[4:5]
	s_addk_i32 s32, 0xfc00
	s_mov_b32 s33, s23
	s_waitcnt vmcnt(0) lgkmcnt(0)
	s_setpc_b64 s[30:31]
.Lfunc_end7:
	.size	_ZN8migraphx4testlsIKNS_13basic_printerIZNS_4coutEvEUlT_E_EEEERS3_S7_RKNS0_10expressionINS0_14lhs_expressionINS_17integral_constantIjLj1EEENS0_3nopEEEiNS0_5equalEEE, .Lfunc_end7-_ZN8migraphx4testlsIKNS_13basic_printerIZNS_4coutEvEUlT_E_EEEERS3_S7_RKNS0_10expressionINS0_14lhs_expressionINS_17integral_constantIjLj1EEENS0_3nopEEEiNS0_5equalEEE
                                        ; -- End function
	.section	.AMDGPU.csdata,"",@progbits
; Function info:
; codeLenInByte = 11680
; NumSgprs: 40
; NumVgprs: 41
; ScratchSize: 16
; MemoryBound: 0
	.text
	.p2align	2                               ; -- Begin function _ZN8migraphx4test12test_manager6failedINS0_10expressionINS0_14lhs_expressionINS_17integral_constantIjLj1EEENS0_3nopEEEiNS0_5equalEEEPFvvEEEvRKT_PKcSH_SH_iT0_
	.type	_ZN8migraphx4test12test_manager6failedINS0_10expressionINS0_14lhs_expressionINS_17integral_constantIjLj1EEENS0_3nopEEEiNS0_5equalEEEPFvvEEEvRKT_PKcSH_SH_iT0_,@function
_ZN8migraphx4test12test_manager6failedINS0_10expressionINS0_14lhs_expressionINS_17integral_constantIjLj1EEENS0_3nopEEEiNS0_5equalEEEPFvvEEEvRKT_PKcSH_SH_iT0_: ; @_ZN8migraphx4test12test_manager6failedINS0_10expressionINS0_14lhs_expressionINS_17integral_constantIjLj1EEENS0_3nopEEEiNS0_5equalEEEPFvvEEEvRKT_PKcSH_SH_iT0_
; %bb.0:
	s_waitcnt vmcnt(0) expcnt(0) lgkmcnt(0)
	s_mov_b32 s4, s33
	s_mov_b32 s33, s32
	s_or_saveexec_b64 s[6:7], -1
	buffer_store_dword v41, off, s[0:3], s33 ; 4-byte Folded Spill
	s_mov_b64 exec, s[6:7]
	v_writelane_b32 v41, s4, 2
	v_writelane_b32 v41, s30, 0
	s_addk_i32 s32, 0x400
	v_writelane_b32 v41, s31, 1
	v_mov_b32_e32 v37, v3
	v_mov_b32_e32 v36, v2
	v_mov_b32_e32 v48, v0
	flat_load_dword v0, v[36:37] offset:4
	v_mov_b32_e32 v49, v1
	s_waitcnt vmcnt(0) lgkmcnt(0)
	v_cmp_ne_u32_e32 vcc, 1, v0
	s_and_saveexec_b64 s[38:39], vcc
	s_cbranch_execz .LBB8_1724
; %bb.1:
	v_and_b32_e32 v0, 0x3ff, v31
	v_cmp_eq_u32_e32 vcc, 0, v0
	s_and_saveexec_b64 s[40:41], vcc
	s_cbranch_execz .LBB8_1723
; %bb.2:
	s_load_dwordx2 s[42:43], s[8:9], 0x50
	v_mbcnt_lo_u32_b32 v0, -1, 0
	v_mbcnt_hi_u32_b32 v51, -1, v0
	v_readfirstlane_b32 s4, v51
	v_mov_b32_e32 v5, 0
	v_mov_b32_e32 v6, 0
	v_cmp_eq_u32_e64 s[4:5], s4, v51
	s_and_saveexec_b64 s[6:7], s[4:5]
	s_cbranch_execz .LBB8_8
; %bb.3:
	v_mov_b32_e32 v0, 0
	s_waitcnt lgkmcnt(0)
	global_load_dwordx2 v[3:4], v0, s[42:43] offset:24 glc
	s_waitcnt vmcnt(0)
	buffer_wbinvl1_vol
	global_load_dwordx2 v[1:2], v0, s[42:43] offset:40
	global_load_dwordx2 v[5:6], v0, s[42:43]
	s_waitcnt vmcnt(1)
	v_and_b32_e32 v1, v1, v3
	v_and_b32_e32 v2, v2, v4
	v_mul_lo_u32 v2, v2, 24
	v_mul_hi_u32 v7, v1, 24
	v_mul_lo_u32 v1, v1, 24
	v_add_u32_e32 v2, v7, v2
	s_waitcnt vmcnt(0)
	v_add_co_u32_e32 v1, vcc, v5, v1
	v_addc_co_u32_e32 v2, vcc, v6, v2, vcc
	global_load_dwordx2 v[1:2], v[1:2], off glc
	s_waitcnt vmcnt(0)
	global_atomic_cmpswap_x2 v[5:6], v0, v[1:4], s[42:43] offset:24 glc
	s_waitcnt vmcnt(0)
	buffer_wbinvl1_vol
	v_cmp_ne_u64_e32 vcc, v[5:6], v[3:4]
	s_and_saveexec_b64 s[10:11], vcc
	s_cbranch_execz .LBB8_7
; %bb.4:
	s_mov_b64 s[16:17], 0
.LBB8_5:                                ; =>This Inner Loop Header: Depth=1
	s_sleep 1
	global_load_dwordx2 v[1:2], v0, s[42:43] offset:40
	global_load_dwordx2 v[7:8], v0, s[42:43]
	v_mov_b32_e32 v3, v5
	v_mov_b32_e32 v4, v6
	s_waitcnt vmcnt(1)
	v_and_b32_e32 v1, v1, v3
	s_waitcnt vmcnt(0)
	v_mad_u64_u32 v[5:6], s[18:19], v1, 24, v[7:8]
	v_and_b32_e32 v2, v2, v4
	v_mov_b32_e32 v1, v6
	v_mad_u64_u32 v[1:2], s[18:19], v2, 24, v[1:2]
	v_mov_b32_e32 v6, v1
	global_load_dwordx2 v[1:2], v[5:6], off glc
	s_waitcnt vmcnt(0)
	global_atomic_cmpswap_x2 v[5:6], v0, v[1:4], s[42:43] offset:24 glc
	s_waitcnt vmcnt(0)
	buffer_wbinvl1_vol
	v_cmp_eq_u64_e32 vcc, v[5:6], v[3:4]
	s_or_b64 s[16:17], vcc, s[16:17]
	s_andn2_b64 exec, exec, s[16:17]
	s_cbranch_execnz .LBB8_5
; %bb.6:
	s_or_b64 exec, exec, s[16:17]
.LBB8_7:
	s_or_b64 exec, exec, s[10:11]
.LBB8_8:
	s_or_b64 exec, exec, s[6:7]
	v_mov_b32_e32 v4, 0
	s_waitcnt lgkmcnt(0)
	global_load_dwordx2 v[7:8], v4, s[42:43] offset:40
	global_load_dwordx4 v[0:3], v4, s[42:43]
	v_readfirstlane_b32 s6, v5
	v_readfirstlane_b32 s7, v6
	s_mov_b64 s[10:11], exec
	s_waitcnt vmcnt(1)
	v_readfirstlane_b32 s16, v7
	v_readfirstlane_b32 s17, v8
	s_and_b64 s[16:17], s[6:7], s[16:17]
	s_mul_i32 s15, s17, 24
	s_mul_hi_u32 s18, s16, 24
	s_mul_i32 s19, s16, 24
	s_add_i32 s15, s18, s15
	v_mov_b32_e32 v5, s15
	s_waitcnt vmcnt(0)
	v_add_co_u32_e32 v7, vcc, s19, v0
	v_addc_co_u32_e32 v8, vcc, v1, v5, vcc
	s_and_saveexec_b64 s[18:19], s[4:5]
	s_cbranch_execz .LBB8_10
; %bb.9:
	v_mov_b32_e32 v9, s10
	v_mov_b32_e32 v10, s11
	;; [unrolled: 1-line block ×4, first 2 shown]
	global_store_dwordx4 v[7:8], v[9:12], off offset:8
.LBB8_10:
	s_or_b64 exec, exec, s[18:19]
	s_lshl_b64 s[10:11], s[16:17], 12
	v_mov_b32_e32 v5, s11
	v_add_co_u32_e32 v2, vcc, s10, v2
	v_addc_co_u32_e32 v11, vcc, v3, v5, vcc
	s_mov_b32 s16, 0
	v_lshlrev_b32_e32 v50, 6, v51
	v_mov_b32_e32 v3, 33
	v_mov_b32_e32 v5, v4
	v_mov_b32_e32 v6, v4
	v_readfirstlane_b32 s10, v2
	v_readfirstlane_b32 s11, v11
	v_add_co_u32_e32 v9, vcc, v2, v50
	s_mov_b32 s17, s16
	s_mov_b32 s18, s16
	;; [unrolled: 1-line block ×3, first 2 shown]
	s_nop 0
	global_store_dwordx4 v50, v[3:6], s[10:11]
	v_mov_b32_e32 v2, s16
	v_addc_co_u32_e32 v10, vcc, 0, v11, vcc
	v_mov_b32_e32 v3, s17
	v_mov_b32_e32 v4, s18
	;; [unrolled: 1-line block ×3, first 2 shown]
	global_store_dwordx4 v50, v[2:5], s[10:11] offset:16
	global_store_dwordx4 v50, v[2:5], s[10:11] offset:32
	;; [unrolled: 1-line block ×3, first 2 shown]
	s_and_saveexec_b64 s[10:11], s[4:5]
	s_cbranch_execz .LBB8_18
; %bb.11:
	v_mov_b32_e32 v6, 0
	global_load_dwordx2 v[13:14], v6, s[42:43] offset:32 glc
	global_load_dwordx2 v[2:3], v6, s[42:43] offset:40
	v_mov_b32_e32 v11, s6
	v_mov_b32_e32 v12, s7
	s_waitcnt vmcnt(0)
	v_and_b32_e32 v2, s6, v2
	v_and_b32_e32 v3, s7, v3
	v_mul_lo_u32 v3, v3, 24
	v_mul_hi_u32 v4, v2, 24
	v_mul_lo_u32 v2, v2, 24
	v_add_u32_e32 v3, v4, v3
	v_add_co_u32_e32 v4, vcc, v0, v2
	v_addc_co_u32_e32 v5, vcc, v1, v3, vcc
	global_store_dwordx2 v[4:5], v[13:14], off
	s_waitcnt vmcnt(0)
	global_atomic_cmpswap_x2 v[2:3], v6, v[11:14], s[42:43] offset:32 glc
	s_waitcnt vmcnt(0)
	v_cmp_ne_u64_e32 vcc, v[2:3], v[13:14]
	s_and_saveexec_b64 s[16:17], vcc
	s_cbranch_execz .LBB8_14
; %bb.12:
	s_mov_b64 s[18:19], 0
.LBB8_13:                               ; =>This Inner Loop Header: Depth=1
	s_sleep 1
	global_store_dwordx2 v[4:5], v[2:3], off
	v_mov_b32_e32 v0, s6
	v_mov_b32_e32 v1, s7
	s_waitcnt vmcnt(0)
	global_atomic_cmpswap_x2 v[0:1], v6, v[0:3], s[42:43] offset:32 glc
	s_waitcnt vmcnt(0)
	v_cmp_eq_u64_e32 vcc, v[0:1], v[2:3]
	v_mov_b32_e32 v3, v1
	s_or_b64 s[18:19], vcc, s[18:19]
	v_mov_b32_e32 v2, v0
	s_andn2_b64 exec, exec, s[18:19]
	s_cbranch_execnz .LBB8_13
.LBB8_14:
	s_or_b64 exec, exec, s[16:17]
	v_mov_b32_e32 v3, 0
	global_load_dwordx2 v[0:1], v3, s[42:43] offset:16
	s_mov_b64 s[16:17], exec
	v_mbcnt_lo_u32_b32 v2, s16, 0
	v_mbcnt_hi_u32_b32 v2, s17, v2
	v_cmp_eq_u32_e32 vcc, 0, v2
	s_and_saveexec_b64 s[18:19], vcc
	s_cbranch_execz .LBB8_16
; %bb.15:
	s_bcnt1_i32_b64 s15, s[16:17]
	v_mov_b32_e32 v2, s15
	s_waitcnt vmcnt(0)
	global_atomic_add_x2 v[0:1], v[2:3], off offset:8
.LBB8_16:
	s_or_b64 exec, exec, s[18:19]
	s_waitcnt vmcnt(0)
	global_load_dwordx2 v[2:3], v[0:1], off offset:16
	s_waitcnt vmcnt(0)
	v_cmp_eq_u64_e32 vcc, 0, v[2:3]
	s_cbranch_vccnz .LBB8_18
; %bb.17:
	global_load_dword v0, v[0:1], off offset:24
	v_mov_b32_e32 v1, 0
	s_waitcnt vmcnt(0)
	global_store_dwordx2 v[2:3], v[0:1], off
	v_and_b32_e32 v0, 0xffffff, v0
	v_readfirstlane_b32 m0, v0
	s_sendmsg sendmsg(MSG_INTERRUPT)
.LBB8_18:
	s_or_b64 exec, exec, s[10:11]
	s_branch .LBB8_22
.LBB8_19:                               ;   in Loop: Header=BB8_22 Depth=1
	s_or_b64 exec, exec, s[10:11]
	v_readfirstlane_b32 s10, v0
	s_cmp_eq_u32 s10, 0
	s_cbranch_scc1 .LBB8_21
; %bb.20:                               ;   in Loop: Header=BB8_22 Depth=1
	s_sleep 1
	s_cbranch_execnz .LBB8_22
	s_branch .LBB8_24
.LBB8_21:
	s_branch .LBB8_24
.LBB8_22:                               ; =>This Inner Loop Header: Depth=1
	v_mov_b32_e32 v0, 1
	s_and_saveexec_b64 s[10:11], s[4:5]
	s_cbranch_execz .LBB8_19
; %bb.23:                               ;   in Loop: Header=BB8_22 Depth=1
	global_load_dword v0, v[7:8], off offset:20 glc
	s_waitcnt vmcnt(0)
	buffer_wbinvl1_vol
	v_and_b32_e32 v0, 1, v0
	s_branch .LBB8_19
.LBB8_24:
	global_load_dwordx2 v[4:5], v[9:10], off
	s_and_saveexec_b64 s[10:11], s[4:5]
	s_cbranch_execz .LBB8_27
; %bb.25:
	v_mov_b32_e32 v8, 0
	global_load_dwordx2 v[2:3], v8, s[42:43] offset:40
	global_load_dwordx2 v[9:10], v8, s[42:43] offset:24 glc
	global_load_dwordx2 v[6:7], v8, s[42:43]
	v_mov_b32_e32 v1, s7
	s_mov_b64 s[4:5], 0
	s_waitcnt vmcnt(2)
	v_add_co_u32_e32 v11, vcc, 1, v2
	v_addc_co_u32_e32 v12, vcc, 0, v3, vcc
	v_add_co_u32_e32 v0, vcc, s6, v11
	v_addc_co_u32_e32 v1, vcc, v12, v1, vcc
	v_cmp_eq_u64_e32 vcc, 0, v[0:1]
	v_cndmask_b32_e32 v1, v1, v12, vcc
	v_cndmask_b32_e32 v0, v0, v11, vcc
	v_and_b32_e32 v3, v1, v3
	v_and_b32_e32 v2, v0, v2
	v_mul_lo_u32 v3, v3, 24
	v_mul_hi_u32 v11, v2, 24
	v_mul_lo_u32 v12, v2, 24
	s_waitcnt vmcnt(1)
	v_mov_b32_e32 v2, v9
	v_add_u32_e32 v3, v11, v3
	s_waitcnt vmcnt(0)
	v_add_co_u32_e32 v6, vcc, v6, v12
	v_addc_co_u32_e32 v7, vcc, v7, v3, vcc
	global_store_dwordx2 v[6:7], v[9:10], off
	v_mov_b32_e32 v3, v10
	s_waitcnt vmcnt(0)
	global_atomic_cmpswap_x2 v[2:3], v8, v[0:3], s[42:43] offset:24 glc
	s_waitcnt vmcnt(0)
	v_cmp_ne_u64_e32 vcc, v[2:3], v[9:10]
	s_and_b64 exec, exec, vcc
	s_cbranch_execz .LBB8_27
.LBB8_26:                               ; =>This Inner Loop Header: Depth=1
	s_sleep 1
	global_store_dwordx2 v[6:7], v[2:3], off
	s_waitcnt vmcnt(0)
	global_atomic_cmpswap_x2 v[9:10], v8, v[0:3], s[42:43] offset:24 glc
	s_waitcnt vmcnt(0)
	v_cmp_eq_u64_e32 vcc, v[9:10], v[2:3]
	v_mov_b32_e32 v2, v9
	s_or_b64 s[4:5], vcc, s[4:5]
	v_mov_b32_e32 v3, v10
	s_andn2_b64 exec, exec, s[4:5]
	s_cbranch_execnz .LBB8_26
.LBB8_27:
	s_or_b64 exec, exec, s[10:11]
	s_getpc_b64 s[10:11]
	s_add_u32 s10, s10, .str.7@rel32@lo+4
	s_addc_u32 s11, s11, .str.7@rel32@hi+12
	s_cmp_lg_u64 s[10:11], 0
	s_cselect_b64 s[6:7], -1, 0
	s_and_b64 vcc, exec, s[6:7]
	s_cbranch_vccz .LBB8_112
; %bb.28:
	s_waitcnt vmcnt(0)
	v_and_b32_e32 v29, 2, v4
	v_mov_b32_e32 v26, 0
	v_and_b32_e32 v0, -3, v4
	v_mov_b32_e32 v1, v5
	s_mov_b64 s[16:17], 3
	v_mov_b32_e32 v8, 2
	v_mov_b32_e32 v9, 1
	s_branch .LBB8_30
.LBB8_29:                               ;   in Loop: Header=BB8_30 Depth=1
	s_or_b64 exec, exec, s[22:23]
	s_sub_u32 s16, s16, s18
	s_subb_u32 s17, s17, s19
	s_add_u32 s10, s10, s18
	s_addc_u32 s11, s11, s19
	s_cmp_lg_u64 s[16:17], 0
	s_cbranch_scc0 .LBB8_111
.LBB8_30:                               ; =>This Loop Header: Depth=1
                                        ;     Child Loop BB8_33 Depth 2
                                        ;     Child Loop BB8_40 Depth 2
	;; [unrolled: 1-line block ×11, first 2 shown]
	v_cmp_lt_u64_e64 s[4:5], s[16:17], 56
	v_cmp_gt_u64_e64 s[20:21], s[16:17], 7
	s_and_b64 s[4:5], s[4:5], exec
	s_cselect_b32 s19, s17, 0
	s_cselect_b32 s18, s16, 56
	s_and_b64 vcc, exec, s[20:21]
	s_cbranch_vccnz .LBB8_35
; %bb.31:                               ;   in Loop: Header=BB8_30 Depth=1
	s_waitcnt vmcnt(0)
	v_mov_b32_e32 v2, 0
	s_cmp_eq_u64 s[16:17], 0
	v_mov_b32_e32 v3, 0
	s_mov_b64 s[4:5], 0
	s_cbranch_scc1 .LBB8_34
; %bb.32:                               ;   in Loop: Header=BB8_30 Depth=1
	v_mov_b32_e32 v2, 0
	s_lshl_b64 s[20:21], s[18:19], 3
	s_mov_b64 s[22:23], 0
	v_mov_b32_e32 v3, 0
	s_mov_b64 s[24:25], s[10:11]
.LBB8_33:                               ;   Parent Loop BB8_30 Depth=1
                                        ; =>  This Inner Loop Header: Depth=2
	global_load_ubyte v6, v26, s[24:25]
	s_waitcnt vmcnt(0)
	v_and_b32_e32 v25, 0xffff, v6
	v_lshlrev_b64 v[6:7], s22, v[25:26]
	s_add_u32 s22, s22, 8
	s_addc_u32 s23, s23, 0
	s_add_u32 s24, s24, 1
	s_addc_u32 s25, s25, 0
	v_or_b32_e32 v2, v6, v2
	s_cmp_lg_u32 s20, s22
	v_or_b32_e32 v3, v7, v3
	s_cbranch_scc1 .LBB8_33
.LBB8_34:                               ;   in Loop: Header=BB8_30 Depth=1
	s_mov_b32 s15, 0
	s_andn2_b64 vcc, exec, s[4:5]
	s_mov_b64 s[4:5], s[10:11]
	s_cbranch_vccz .LBB8_36
	s_branch .LBB8_37
.LBB8_35:                               ;   in Loop: Header=BB8_30 Depth=1
                                        ; implicit-def: $vgpr2_vgpr3
                                        ; implicit-def: $sgpr15
	s_mov_b64 s[4:5], s[10:11]
.LBB8_36:                               ;   in Loop: Header=BB8_30 Depth=1
	global_load_dwordx2 v[2:3], v26, s[10:11]
	s_add_i32 s15, s18, -8
	s_add_u32 s4, s10, 8
	s_addc_u32 s5, s11, 0
.LBB8_37:                               ;   in Loop: Header=BB8_30 Depth=1
	s_cmp_gt_u32 s15, 7
	s_cbranch_scc1 .LBB8_41
; %bb.38:                               ;   in Loop: Header=BB8_30 Depth=1
	s_cmp_eq_u32 s15, 0
	s_cbranch_scc1 .LBB8_42
; %bb.39:                               ;   in Loop: Header=BB8_30 Depth=1
	v_mov_b32_e32 v10, 0
	s_mov_b64 s[20:21], 0
	v_mov_b32_e32 v11, 0
	s_mov_b64 s[22:23], 0
.LBB8_40:                               ;   Parent Loop BB8_30 Depth=1
                                        ; =>  This Inner Loop Header: Depth=2
	s_add_u32 s24, s4, s22
	s_addc_u32 s25, s5, s23
	global_load_ubyte v6, v26, s[24:25]
	s_add_u32 s22, s22, 1
	s_addc_u32 s23, s23, 0
	s_waitcnt vmcnt(0)
	v_and_b32_e32 v25, 0xffff, v6
	v_lshlrev_b64 v[6:7], s20, v[25:26]
	s_add_u32 s20, s20, 8
	s_addc_u32 s21, s21, 0
	v_or_b32_e32 v10, v6, v10
	s_cmp_lg_u32 s15, s22
	v_or_b32_e32 v11, v7, v11
	s_cbranch_scc1 .LBB8_40
	s_branch .LBB8_43
.LBB8_41:                               ;   in Loop: Header=BB8_30 Depth=1
                                        ; implicit-def: $vgpr10_vgpr11
                                        ; implicit-def: $sgpr24
	s_branch .LBB8_44
.LBB8_42:                               ;   in Loop: Header=BB8_30 Depth=1
	v_mov_b32_e32 v10, 0
	v_mov_b32_e32 v11, 0
.LBB8_43:                               ;   in Loop: Header=BB8_30 Depth=1
	s_mov_b32 s24, 0
	s_cbranch_execnz .LBB8_45
.LBB8_44:                               ;   in Loop: Header=BB8_30 Depth=1
	global_load_dwordx2 v[10:11], v26, s[4:5]
	s_add_i32 s24, s15, -8
	s_add_u32 s4, s4, 8
	s_addc_u32 s5, s5, 0
.LBB8_45:                               ;   in Loop: Header=BB8_30 Depth=1
	s_cmp_gt_u32 s24, 7
	s_cbranch_scc1 .LBB8_49
; %bb.46:                               ;   in Loop: Header=BB8_30 Depth=1
	s_cmp_eq_u32 s24, 0
	s_cbranch_scc1 .LBB8_50
; %bb.47:                               ;   in Loop: Header=BB8_30 Depth=1
	v_mov_b32_e32 v12, 0
	s_mov_b64 s[20:21], 0
	v_mov_b32_e32 v13, 0
	s_mov_b64 s[22:23], 0
.LBB8_48:                               ;   Parent Loop BB8_30 Depth=1
                                        ; =>  This Inner Loop Header: Depth=2
	s_add_u32 s26, s4, s22
	s_addc_u32 s27, s5, s23
	global_load_ubyte v6, v26, s[26:27]
	s_add_u32 s22, s22, 1
	s_addc_u32 s23, s23, 0
	s_waitcnt vmcnt(0)
	v_and_b32_e32 v25, 0xffff, v6
	v_lshlrev_b64 v[6:7], s20, v[25:26]
	s_add_u32 s20, s20, 8
	s_addc_u32 s21, s21, 0
	v_or_b32_e32 v12, v6, v12
	s_cmp_lg_u32 s24, s22
	v_or_b32_e32 v13, v7, v13
	s_cbranch_scc1 .LBB8_48
	s_branch .LBB8_51
.LBB8_49:                               ;   in Loop: Header=BB8_30 Depth=1
                                        ; implicit-def: $sgpr15
	s_branch .LBB8_52
.LBB8_50:                               ;   in Loop: Header=BB8_30 Depth=1
	v_mov_b32_e32 v12, 0
	v_mov_b32_e32 v13, 0
.LBB8_51:                               ;   in Loop: Header=BB8_30 Depth=1
	s_mov_b32 s15, 0
	s_cbranch_execnz .LBB8_53
.LBB8_52:                               ;   in Loop: Header=BB8_30 Depth=1
	global_load_dwordx2 v[12:13], v26, s[4:5]
	s_add_i32 s15, s24, -8
	s_add_u32 s4, s4, 8
	s_addc_u32 s5, s5, 0
.LBB8_53:                               ;   in Loop: Header=BB8_30 Depth=1
	s_cmp_gt_u32 s15, 7
	s_cbranch_scc1 .LBB8_57
; %bb.54:                               ;   in Loop: Header=BB8_30 Depth=1
	s_cmp_eq_u32 s15, 0
	s_cbranch_scc1 .LBB8_58
; %bb.55:                               ;   in Loop: Header=BB8_30 Depth=1
	v_mov_b32_e32 v14, 0
	s_mov_b64 s[20:21], 0
	v_mov_b32_e32 v15, 0
	s_mov_b64 s[22:23], 0
.LBB8_56:                               ;   Parent Loop BB8_30 Depth=1
                                        ; =>  This Inner Loop Header: Depth=2
	s_add_u32 s24, s4, s22
	s_addc_u32 s25, s5, s23
	global_load_ubyte v6, v26, s[24:25]
	s_add_u32 s22, s22, 1
	s_addc_u32 s23, s23, 0
	s_waitcnt vmcnt(0)
	v_and_b32_e32 v25, 0xffff, v6
	v_lshlrev_b64 v[6:7], s20, v[25:26]
	s_add_u32 s20, s20, 8
	s_addc_u32 s21, s21, 0
	v_or_b32_e32 v14, v6, v14
	s_cmp_lg_u32 s15, s22
	v_or_b32_e32 v15, v7, v15
	s_cbranch_scc1 .LBB8_56
	s_branch .LBB8_59
.LBB8_57:                               ;   in Loop: Header=BB8_30 Depth=1
                                        ; implicit-def: $vgpr14_vgpr15
                                        ; implicit-def: $sgpr24
	s_branch .LBB8_60
.LBB8_58:                               ;   in Loop: Header=BB8_30 Depth=1
	v_mov_b32_e32 v14, 0
	v_mov_b32_e32 v15, 0
.LBB8_59:                               ;   in Loop: Header=BB8_30 Depth=1
	s_mov_b32 s24, 0
	s_cbranch_execnz .LBB8_61
.LBB8_60:                               ;   in Loop: Header=BB8_30 Depth=1
	global_load_dwordx2 v[14:15], v26, s[4:5]
	s_add_i32 s24, s15, -8
	s_add_u32 s4, s4, 8
	s_addc_u32 s5, s5, 0
.LBB8_61:                               ;   in Loop: Header=BB8_30 Depth=1
	s_cmp_gt_u32 s24, 7
	s_cbranch_scc1 .LBB8_65
; %bb.62:                               ;   in Loop: Header=BB8_30 Depth=1
	s_cmp_eq_u32 s24, 0
	s_cbranch_scc1 .LBB8_66
; %bb.63:                               ;   in Loop: Header=BB8_30 Depth=1
	v_mov_b32_e32 v16, 0
	s_mov_b64 s[20:21], 0
	v_mov_b32_e32 v17, 0
	s_mov_b64 s[22:23], 0
.LBB8_64:                               ;   Parent Loop BB8_30 Depth=1
                                        ; =>  This Inner Loop Header: Depth=2
	s_add_u32 s26, s4, s22
	s_addc_u32 s27, s5, s23
	global_load_ubyte v6, v26, s[26:27]
	s_add_u32 s22, s22, 1
	s_addc_u32 s23, s23, 0
	s_waitcnt vmcnt(0)
	v_and_b32_e32 v25, 0xffff, v6
	v_lshlrev_b64 v[6:7], s20, v[25:26]
	s_add_u32 s20, s20, 8
	s_addc_u32 s21, s21, 0
	v_or_b32_e32 v16, v6, v16
	s_cmp_lg_u32 s24, s22
	v_or_b32_e32 v17, v7, v17
	s_cbranch_scc1 .LBB8_64
	s_branch .LBB8_67
.LBB8_65:                               ;   in Loop: Header=BB8_30 Depth=1
                                        ; implicit-def: $sgpr15
	s_branch .LBB8_68
.LBB8_66:                               ;   in Loop: Header=BB8_30 Depth=1
	v_mov_b32_e32 v16, 0
	v_mov_b32_e32 v17, 0
.LBB8_67:                               ;   in Loop: Header=BB8_30 Depth=1
	s_mov_b32 s15, 0
	s_cbranch_execnz .LBB8_69
.LBB8_68:                               ;   in Loop: Header=BB8_30 Depth=1
	global_load_dwordx2 v[16:17], v26, s[4:5]
	s_add_i32 s15, s24, -8
	s_add_u32 s4, s4, 8
	s_addc_u32 s5, s5, 0
.LBB8_69:                               ;   in Loop: Header=BB8_30 Depth=1
	s_cmp_gt_u32 s15, 7
	s_cbranch_scc1 .LBB8_73
; %bb.70:                               ;   in Loop: Header=BB8_30 Depth=1
	s_cmp_eq_u32 s15, 0
	s_cbranch_scc1 .LBB8_74
; %bb.71:                               ;   in Loop: Header=BB8_30 Depth=1
	v_mov_b32_e32 v18, 0
	s_mov_b64 s[20:21], 0
	v_mov_b32_e32 v19, 0
	s_mov_b64 s[22:23], 0
.LBB8_72:                               ;   Parent Loop BB8_30 Depth=1
                                        ; =>  This Inner Loop Header: Depth=2
	s_add_u32 s24, s4, s22
	s_addc_u32 s25, s5, s23
	global_load_ubyte v6, v26, s[24:25]
	s_add_u32 s22, s22, 1
	s_addc_u32 s23, s23, 0
	s_waitcnt vmcnt(0)
	v_and_b32_e32 v25, 0xffff, v6
	v_lshlrev_b64 v[6:7], s20, v[25:26]
	s_add_u32 s20, s20, 8
	s_addc_u32 s21, s21, 0
	v_or_b32_e32 v18, v6, v18
	s_cmp_lg_u32 s15, s22
	v_or_b32_e32 v19, v7, v19
	s_cbranch_scc1 .LBB8_72
	s_branch .LBB8_75
.LBB8_73:                               ;   in Loop: Header=BB8_30 Depth=1
                                        ; implicit-def: $vgpr18_vgpr19
                                        ; implicit-def: $sgpr24
	s_branch .LBB8_76
.LBB8_74:                               ;   in Loop: Header=BB8_30 Depth=1
	v_mov_b32_e32 v18, 0
	v_mov_b32_e32 v19, 0
.LBB8_75:                               ;   in Loop: Header=BB8_30 Depth=1
	s_mov_b32 s24, 0
	s_cbranch_execnz .LBB8_77
.LBB8_76:                               ;   in Loop: Header=BB8_30 Depth=1
	global_load_dwordx2 v[18:19], v26, s[4:5]
	s_add_i32 s24, s15, -8
	s_add_u32 s4, s4, 8
	s_addc_u32 s5, s5, 0
.LBB8_77:                               ;   in Loop: Header=BB8_30 Depth=1
	s_cmp_gt_u32 s24, 7
	s_cbranch_scc1 .LBB8_81
; %bb.78:                               ;   in Loop: Header=BB8_30 Depth=1
	s_cmp_eq_u32 s24, 0
	s_cbranch_scc1 .LBB8_82
; %bb.79:                               ;   in Loop: Header=BB8_30 Depth=1
	v_mov_b32_e32 v20, 0
	s_mov_b64 s[20:21], 0
	v_mov_b32_e32 v21, 0
	s_mov_b64 s[22:23], s[4:5]
.LBB8_80:                               ;   Parent Loop BB8_30 Depth=1
                                        ; =>  This Inner Loop Header: Depth=2
	global_load_ubyte v6, v26, s[22:23]
	s_add_i32 s24, s24, -1
	s_waitcnt vmcnt(0)
	v_and_b32_e32 v25, 0xffff, v6
	v_lshlrev_b64 v[6:7], s20, v[25:26]
	s_add_u32 s20, s20, 8
	s_addc_u32 s21, s21, 0
	s_add_u32 s22, s22, 1
	s_addc_u32 s23, s23, 0
	v_or_b32_e32 v20, v6, v20
	s_cmp_lg_u32 s24, 0
	v_or_b32_e32 v21, v7, v21
	s_cbranch_scc1 .LBB8_80
	s_branch .LBB8_83
.LBB8_81:                               ;   in Loop: Header=BB8_30 Depth=1
	s_branch .LBB8_84
.LBB8_82:                               ;   in Loop: Header=BB8_30 Depth=1
	v_mov_b32_e32 v20, 0
	v_mov_b32_e32 v21, 0
.LBB8_83:                               ;   in Loop: Header=BB8_30 Depth=1
	s_cbranch_execnz .LBB8_85
.LBB8_84:                               ;   in Loop: Header=BB8_30 Depth=1
	global_load_dwordx2 v[20:21], v26, s[4:5]
.LBB8_85:                               ;   in Loop: Header=BB8_30 Depth=1
	v_readfirstlane_b32 s4, v51
	v_mov_b32_e32 v6, 0
	v_mov_b32_e32 v7, 0
	v_cmp_eq_u32_e64 s[4:5], s4, v51
	s_and_saveexec_b64 s[20:21], s[4:5]
	s_cbranch_execz .LBB8_91
; %bb.86:                               ;   in Loop: Header=BB8_30 Depth=1
	global_load_dwordx2 v[24:25], v26, s[42:43] offset:24 glc
	s_waitcnt vmcnt(0)
	buffer_wbinvl1_vol
	global_load_dwordx2 v[6:7], v26, s[42:43] offset:40
	global_load_dwordx2 v[22:23], v26, s[42:43]
	s_waitcnt vmcnt(1)
	v_and_b32_e32 v6, v6, v24
	v_and_b32_e32 v7, v7, v25
	v_mul_lo_u32 v7, v7, 24
	v_mul_hi_u32 v27, v6, 24
	v_mul_lo_u32 v6, v6, 24
	v_add_u32_e32 v7, v27, v7
	s_waitcnt vmcnt(0)
	v_add_co_u32_e32 v6, vcc, v22, v6
	v_addc_co_u32_e32 v7, vcc, v23, v7, vcc
	global_load_dwordx2 v[22:23], v[6:7], off glc
	s_waitcnt vmcnt(0)
	global_atomic_cmpswap_x2 v[6:7], v26, v[22:25], s[42:43] offset:24 glc
	s_waitcnt vmcnt(0)
	buffer_wbinvl1_vol
	v_cmp_ne_u64_e32 vcc, v[6:7], v[24:25]
	s_and_saveexec_b64 s[22:23], vcc
	s_cbranch_execz .LBB8_90
; %bb.87:                               ;   in Loop: Header=BB8_30 Depth=1
	s_mov_b64 s[24:25], 0
.LBB8_88:                               ;   Parent Loop BB8_30 Depth=1
                                        ; =>  This Inner Loop Header: Depth=2
	s_sleep 1
	global_load_dwordx2 v[22:23], v26, s[42:43] offset:40
	global_load_dwordx2 v[27:28], v26, s[42:43]
	v_mov_b32_e32 v25, v7
	v_mov_b32_e32 v24, v6
	s_waitcnt vmcnt(1)
	v_and_b32_e32 v6, v22, v24
	s_waitcnt vmcnt(0)
	v_mad_u64_u32 v[6:7], s[26:27], v6, 24, v[27:28]
	v_and_b32_e32 v22, v23, v25
	v_mad_u64_u32 v[22:23], s[26:27], v22, 24, v[7:8]
	v_mov_b32_e32 v7, v22
	global_load_dwordx2 v[22:23], v[6:7], off glc
	s_waitcnt vmcnt(0)
	global_atomic_cmpswap_x2 v[6:7], v26, v[22:25], s[42:43] offset:24 glc
	s_waitcnt vmcnt(0)
	buffer_wbinvl1_vol
	v_cmp_eq_u64_e32 vcc, v[6:7], v[24:25]
	s_or_b64 s[24:25], vcc, s[24:25]
	s_andn2_b64 exec, exec, s[24:25]
	s_cbranch_execnz .LBB8_88
; %bb.89:                               ;   in Loop: Header=BB8_30 Depth=1
	s_or_b64 exec, exec, s[24:25]
.LBB8_90:                               ;   in Loop: Header=BB8_30 Depth=1
	s_or_b64 exec, exec, s[22:23]
.LBB8_91:                               ;   in Loop: Header=BB8_30 Depth=1
	s_or_b64 exec, exec, s[20:21]
	global_load_dwordx2 v[27:28], v26, s[42:43] offset:40
	global_load_dwordx4 v[22:25], v26, s[42:43]
	v_readfirstlane_b32 s20, v6
	v_readfirstlane_b32 s21, v7
	s_mov_b64 s[22:23], exec
	s_waitcnt vmcnt(1)
	v_readfirstlane_b32 s24, v27
	v_readfirstlane_b32 s25, v28
	s_and_b64 s[24:25], s[20:21], s[24:25]
	s_mul_i32 s15, s25, 24
	s_mul_hi_u32 s26, s24, 24
	s_mul_i32 s27, s24, 24
	s_add_i32 s15, s26, s15
	v_mov_b32_e32 v6, s15
	s_waitcnt vmcnt(0)
	v_add_co_u32_e32 v27, vcc, s27, v22
	v_addc_co_u32_e32 v28, vcc, v23, v6, vcc
	s_and_saveexec_b64 s[26:27], s[4:5]
	s_cbranch_execz .LBB8_93
; %bb.92:                               ;   in Loop: Header=BB8_30 Depth=1
	v_mov_b32_e32 v6, s22
	v_mov_b32_e32 v7, s23
	global_store_dwordx4 v[27:28], v[6:9], off offset:8
.LBB8_93:                               ;   in Loop: Header=BB8_30 Depth=1
	s_or_b64 exec, exec, s[26:27]
	s_lshl_b64 s[22:23], s[24:25], 12
	v_mov_b32_e32 v6, s23
	v_add_co_u32_e32 v24, vcc, s22, v24
	v_addc_co_u32_e32 v30, vcc, v25, v6, vcc
	v_cmp_gt_u64_e64 vcc, s[16:17], 56
	v_or_b32_e32 v7, v0, v29
	s_lshl_b32 s15, s18, 2
	v_cndmask_b32_e32 v0, v7, v0, vcc
	s_add_i32 s15, s15, 28
	v_or_b32_e32 v6, 0, v1
	s_and_b32 s15, s15, 0x1e0
	v_and_b32_e32 v0, 0xffffff1f, v0
	v_cndmask_b32_e32 v1, v6, v1, vcc
	v_or_b32_e32 v0, s15, v0
	v_readfirstlane_b32 s22, v24
	v_readfirstlane_b32 s23, v30
	s_nop 4
	global_store_dwordx4 v50, v[0:3], s[22:23]
	global_store_dwordx4 v50, v[10:13], s[22:23] offset:16
	global_store_dwordx4 v50, v[14:17], s[22:23] offset:32
	;; [unrolled: 1-line block ×3, first 2 shown]
	s_and_saveexec_b64 s[22:23], s[4:5]
	s_cbranch_execz .LBB8_101
; %bb.94:                               ;   in Loop: Header=BB8_30 Depth=1
	global_load_dwordx2 v[12:13], v26, s[42:43] offset:32 glc
	global_load_dwordx2 v[0:1], v26, s[42:43] offset:40
	v_mov_b32_e32 v10, s20
	v_mov_b32_e32 v11, s21
	s_waitcnt vmcnt(0)
	v_readfirstlane_b32 s24, v0
	v_readfirstlane_b32 s25, v1
	s_and_b64 s[24:25], s[24:25], s[20:21]
	s_mul_i32 s15, s25, 24
	s_mul_hi_u32 s25, s24, 24
	s_mul_i32 s24, s24, 24
	s_add_i32 s15, s25, s15
	v_mov_b32_e32 v0, s15
	v_add_co_u32_e32 v6, vcc, s24, v22
	v_addc_co_u32_e32 v7, vcc, v23, v0, vcc
	global_store_dwordx2 v[6:7], v[12:13], off
	s_waitcnt vmcnt(0)
	global_atomic_cmpswap_x2 v[2:3], v26, v[10:13], s[42:43] offset:32 glc
	s_waitcnt vmcnt(0)
	v_cmp_ne_u64_e32 vcc, v[2:3], v[12:13]
	s_and_saveexec_b64 s[24:25], vcc
	s_cbranch_execz .LBB8_97
; %bb.95:                               ;   in Loop: Header=BB8_30 Depth=1
	s_mov_b64 s[26:27], 0
.LBB8_96:                               ;   Parent Loop BB8_30 Depth=1
                                        ; =>  This Inner Loop Header: Depth=2
	s_sleep 1
	global_store_dwordx2 v[6:7], v[2:3], off
	v_mov_b32_e32 v0, s20
	v_mov_b32_e32 v1, s21
	s_waitcnt vmcnt(0)
	global_atomic_cmpswap_x2 v[0:1], v26, v[0:3], s[42:43] offset:32 glc
	s_waitcnt vmcnt(0)
	v_cmp_eq_u64_e32 vcc, v[0:1], v[2:3]
	v_mov_b32_e32 v3, v1
	s_or_b64 s[26:27], vcc, s[26:27]
	v_mov_b32_e32 v2, v0
	s_andn2_b64 exec, exec, s[26:27]
	s_cbranch_execnz .LBB8_96
.LBB8_97:                               ;   in Loop: Header=BB8_30 Depth=1
	s_or_b64 exec, exec, s[24:25]
	global_load_dwordx2 v[0:1], v26, s[42:43] offset:16
	s_mov_b64 s[26:27], exec
	v_mbcnt_lo_u32_b32 v2, s26, 0
	v_mbcnt_hi_u32_b32 v2, s27, v2
	v_cmp_eq_u32_e32 vcc, 0, v2
	s_and_saveexec_b64 s[24:25], vcc
	s_cbranch_execz .LBB8_99
; %bb.98:                               ;   in Loop: Header=BB8_30 Depth=1
	s_bcnt1_i32_b64 s15, s[26:27]
	v_mov_b32_e32 v25, s15
	s_waitcnt vmcnt(0)
	global_atomic_add_x2 v[0:1], v[25:26], off offset:8
.LBB8_99:                               ;   in Loop: Header=BB8_30 Depth=1
	s_or_b64 exec, exec, s[24:25]
	s_waitcnt vmcnt(0)
	global_load_dwordx2 v[2:3], v[0:1], off offset:16
	s_waitcnt vmcnt(0)
	v_cmp_eq_u64_e32 vcc, 0, v[2:3]
	s_cbranch_vccnz .LBB8_101
; %bb.100:                              ;   in Loop: Header=BB8_30 Depth=1
	global_load_dword v25, v[0:1], off offset:24
	s_waitcnt vmcnt(0)
	v_and_b32_e32 v0, 0xffffff, v25
	v_readfirstlane_b32 m0, v0
	global_store_dwordx2 v[2:3], v[25:26], off
	s_sendmsg sendmsg(MSG_INTERRUPT)
.LBB8_101:                              ;   in Loop: Header=BB8_30 Depth=1
	s_or_b64 exec, exec, s[22:23]
	v_add_co_u32_e32 v0, vcc, v24, v50
	v_addc_co_u32_e32 v1, vcc, 0, v30, vcc
	s_branch .LBB8_105
.LBB8_102:                              ;   in Loop: Header=BB8_105 Depth=2
	s_or_b64 exec, exec, s[22:23]
	v_readfirstlane_b32 s15, v2
	s_cmp_eq_u32 s15, 0
	s_cbranch_scc1 .LBB8_104
; %bb.103:                              ;   in Loop: Header=BB8_105 Depth=2
	s_sleep 1
	s_cbranch_execnz .LBB8_105
	s_branch .LBB8_107
.LBB8_104:                              ;   in Loop: Header=BB8_30 Depth=1
	s_branch .LBB8_107
.LBB8_105:                              ;   Parent Loop BB8_30 Depth=1
                                        ; =>  This Inner Loop Header: Depth=2
	v_mov_b32_e32 v2, 1
	s_and_saveexec_b64 s[22:23], s[4:5]
	s_cbranch_execz .LBB8_102
; %bb.106:                              ;   in Loop: Header=BB8_105 Depth=2
	global_load_dword v2, v[27:28], off offset:20 glc
	s_waitcnt vmcnt(0)
	buffer_wbinvl1_vol
	v_and_b32_e32 v2, 1, v2
	s_branch .LBB8_102
.LBB8_107:                              ;   in Loop: Header=BB8_30 Depth=1
	global_load_dwordx4 v[0:3], v[0:1], off
	s_and_saveexec_b64 s[22:23], s[4:5]
	s_cbranch_execz .LBB8_29
; %bb.108:                              ;   in Loop: Header=BB8_30 Depth=1
	global_load_dwordx2 v[2:3], v26, s[42:43] offset:40
	global_load_dwordx2 v[6:7], v26, s[42:43] offset:24 glc
	global_load_dwordx2 v[13:14], v26, s[42:43]
	v_mov_b32_e32 v11, s21
	s_waitcnt vmcnt(2)
	v_add_co_u32_e32 v12, vcc, 1, v2
	v_addc_co_u32_e32 v15, vcc, 0, v3, vcc
	v_add_co_u32_e32 v10, vcc, s20, v12
	v_addc_co_u32_e32 v11, vcc, v15, v11, vcc
	v_cmp_eq_u64_e32 vcc, 0, v[10:11]
	v_cndmask_b32_e32 v11, v11, v15, vcc
	v_cndmask_b32_e32 v10, v10, v12, vcc
	v_and_b32_e32 v3, v11, v3
	v_and_b32_e32 v2, v10, v2
	v_mul_lo_u32 v3, v3, 24
	v_mul_hi_u32 v15, v2, 24
	v_mul_lo_u32 v2, v2, 24
	s_waitcnt vmcnt(1)
	v_mov_b32_e32 v12, v6
	v_add_u32_e32 v3, v15, v3
	s_waitcnt vmcnt(0)
	v_add_co_u32_e32 v2, vcc, v13, v2
	v_addc_co_u32_e32 v3, vcc, v14, v3, vcc
	global_store_dwordx2 v[2:3], v[6:7], off
	v_mov_b32_e32 v13, v7
	s_waitcnt vmcnt(0)
	global_atomic_cmpswap_x2 v[12:13], v26, v[10:13], s[42:43] offset:24 glc
	s_waitcnt vmcnt(0)
	v_cmp_ne_u64_e32 vcc, v[12:13], v[6:7]
	s_and_b64 exec, exec, vcc
	s_cbranch_execz .LBB8_29
; %bb.109:                              ;   in Loop: Header=BB8_30 Depth=1
	s_mov_b64 s[4:5], 0
.LBB8_110:                              ;   Parent Loop BB8_30 Depth=1
                                        ; =>  This Inner Loop Header: Depth=2
	s_sleep 1
	global_store_dwordx2 v[2:3], v[12:13], off
	s_waitcnt vmcnt(0)
	global_atomic_cmpswap_x2 v[6:7], v26, v[10:13], s[42:43] offset:24 glc
	s_waitcnt vmcnt(0)
	v_cmp_eq_u64_e32 vcc, v[6:7], v[12:13]
	v_mov_b32_e32 v13, v7
	s_or_b64 s[4:5], vcc, s[4:5]
	v_mov_b32_e32 v12, v6
	s_andn2_b64 exec, exec, s[4:5]
	s_cbranch_execnz .LBB8_110
	s_branch .LBB8_29
.LBB8_111:
	s_branch .LBB8_139
.LBB8_112:
                                        ; implicit-def: $vgpr0_vgpr1
	s_cbranch_execz .LBB8_139
; %bb.113:
	v_readfirstlane_b32 s4, v51
	v_mov_b32_e32 v7, 0
	v_mov_b32_e32 v8, 0
	v_cmp_eq_u32_e64 s[4:5], s4, v51
	s_and_saveexec_b64 s[10:11], s[4:5]
	s_cbranch_execz .LBB8_119
; %bb.114:
	s_waitcnt vmcnt(0)
	v_mov_b32_e32 v0, 0
	global_load_dwordx2 v[9:10], v0, s[42:43] offset:24 glc
	s_waitcnt vmcnt(0)
	buffer_wbinvl1_vol
	global_load_dwordx2 v[1:2], v0, s[42:43] offset:40
	global_load_dwordx2 v[6:7], v0, s[42:43]
	s_waitcnt vmcnt(1)
	v_and_b32_e32 v1, v1, v9
	v_and_b32_e32 v2, v2, v10
	v_mul_lo_u32 v2, v2, 24
	v_mul_hi_u32 v3, v1, 24
	v_mul_lo_u32 v1, v1, 24
	v_add_u32_e32 v2, v3, v2
	s_waitcnt vmcnt(0)
	v_add_co_u32_e32 v1, vcc, v6, v1
	v_addc_co_u32_e32 v2, vcc, v7, v2, vcc
	global_load_dwordx2 v[7:8], v[1:2], off glc
	s_waitcnt vmcnt(0)
	global_atomic_cmpswap_x2 v[7:8], v0, v[7:10], s[42:43] offset:24 glc
	s_waitcnt vmcnt(0)
	buffer_wbinvl1_vol
	v_cmp_ne_u64_e32 vcc, v[7:8], v[9:10]
	s_and_saveexec_b64 s[16:17], vcc
	s_cbranch_execz .LBB8_118
; %bb.115:
	s_mov_b64 s[18:19], 0
.LBB8_116:                              ; =>This Inner Loop Header: Depth=1
	s_sleep 1
	global_load_dwordx2 v[1:2], v0, s[42:43] offset:40
	global_load_dwordx2 v[11:12], v0, s[42:43]
	v_mov_b32_e32 v10, v8
	v_mov_b32_e32 v9, v7
	s_waitcnt vmcnt(1)
	v_and_b32_e32 v1, v1, v9
	s_waitcnt vmcnt(0)
	v_mad_u64_u32 v[6:7], s[20:21], v1, 24, v[11:12]
	v_and_b32_e32 v2, v2, v10
	v_mov_b32_e32 v1, v7
	v_mad_u64_u32 v[1:2], s[20:21], v2, 24, v[1:2]
	v_mov_b32_e32 v7, v1
	global_load_dwordx2 v[7:8], v[6:7], off glc
	s_waitcnt vmcnt(0)
	global_atomic_cmpswap_x2 v[7:8], v0, v[7:10], s[42:43] offset:24 glc
	s_waitcnt vmcnt(0)
	buffer_wbinvl1_vol
	v_cmp_eq_u64_e32 vcc, v[7:8], v[9:10]
	s_or_b64 s[18:19], vcc, s[18:19]
	s_andn2_b64 exec, exec, s[18:19]
	s_cbranch_execnz .LBB8_116
; %bb.117:
	s_or_b64 exec, exec, s[18:19]
.LBB8_118:
	s_or_b64 exec, exec, s[16:17]
.LBB8_119:
	s_or_b64 exec, exec, s[10:11]
	v_mov_b32_e32 v6, 0
	global_load_dwordx2 v[9:10], v6, s[42:43] offset:40
	global_load_dwordx4 v[0:3], v6, s[42:43]
	v_readfirstlane_b32 s10, v7
	v_readfirstlane_b32 s11, v8
	s_mov_b64 s[16:17], exec
	s_waitcnt vmcnt(1)
	v_readfirstlane_b32 s18, v9
	v_readfirstlane_b32 s19, v10
	s_and_b64 s[18:19], s[10:11], s[18:19]
	s_mul_i32 s15, s19, 24
	s_mul_hi_u32 s20, s18, 24
	s_mul_i32 s21, s18, 24
	s_add_i32 s15, s20, s15
	v_mov_b32_e32 v7, s15
	s_waitcnt vmcnt(0)
	v_add_co_u32_e32 v8, vcc, s21, v0
	v_addc_co_u32_e32 v9, vcc, v1, v7, vcc
	s_and_saveexec_b64 s[20:21], s[4:5]
	s_cbranch_execz .LBB8_121
; %bb.120:
	v_mov_b32_e32 v10, s16
	v_mov_b32_e32 v11, s17
	;; [unrolled: 1-line block ×4, first 2 shown]
	global_store_dwordx4 v[8:9], v[10:13], off offset:8
.LBB8_121:
	s_or_b64 exec, exec, s[20:21]
	s_lshl_b64 s[16:17], s[18:19], 12
	v_mov_b32_e32 v7, s17
	v_add_co_u32_e32 v2, vcc, s16, v2
	v_addc_co_u32_e32 v3, vcc, v3, v7, vcc
	s_movk_i32 s15, 0xff1f
	v_and_or_b32 v4, v4, s15, 32
	v_add_co_u32_e32 v10, vcc, v2, v50
	s_mov_b32 s16, 0
	v_mov_b32_e32 v7, v6
	v_readfirstlane_b32 s20, v2
	v_readfirstlane_b32 s21, v3
	v_addc_co_u32_e32 v11, vcc, 0, v3, vcc
	s_mov_b32 s17, s16
	s_mov_b32 s18, s16
	;; [unrolled: 1-line block ×3, first 2 shown]
	s_nop 0
	global_store_dwordx4 v50, v[4:7], s[20:21]
	v_mov_b32_e32 v2, s16
	v_mov_b32_e32 v3, s17
	;; [unrolled: 1-line block ×4, first 2 shown]
	global_store_dwordx4 v50, v[2:5], s[20:21] offset:16
	global_store_dwordx4 v50, v[2:5], s[20:21] offset:32
	;; [unrolled: 1-line block ×3, first 2 shown]
	s_and_saveexec_b64 s[16:17], s[4:5]
	s_cbranch_execz .LBB8_129
; %bb.122:
	v_mov_b32_e32 v6, 0
	global_load_dwordx2 v[14:15], v6, s[42:43] offset:32 glc
	global_load_dwordx2 v[2:3], v6, s[42:43] offset:40
	v_mov_b32_e32 v12, s10
	v_mov_b32_e32 v13, s11
	s_waitcnt vmcnt(0)
	v_readfirstlane_b32 s18, v2
	v_readfirstlane_b32 s19, v3
	s_and_b64 s[18:19], s[18:19], s[10:11]
	s_mul_i32 s15, s19, 24
	s_mul_hi_u32 s19, s18, 24
	s_mul_i32 s18, s18, 24
	s_add_i32 s15, s19, s15
	v_mov_b32_e32 v2, s15
	v_add_co_u32_e32 v4, vcc, s18, v0
	v_addc_co_u32_e32 v5, vcc, v1, v2, vcc
	global_store_dwordx2 v[4:5], v[14:15], off
	s_waitcnt vmcnt(0)
	global_atomic_cmpswap_x2 v[2:3], v6, v[12:15], s[42:43] offset:32 glc
	s_waitcnt vmcnt(0)
	v_cmp_ne_u64_e32 vcc, v[2:3], v[14:15]
	s_and_saveexec_b64 s[18:19], vcc
	s_cbranch_execz .LBB8_125
; %bb.123:
	s_mov_b64 s[20:21], 0
.LBB8_124:                              ; =>This Inner Loop Header: Depth=1
	s_sleep 1
	global_store_dwordx2 v[4:5], v[2:3], off
	v_mov_b32_e32 v0, s10
	v_mov_b32_e32 v1, s11
	s_waitcnt vmcnt(0)
	global_atomic_cmpswap_x2 v[0:1], v6, v[0:3], s[42:43] offset:32 glc
	s_waitcnt vmcnt(0)
	v_cmp_eq_u64_e32 vcc, v[0:1], v[2:3]
	v_mov_b32_e32 v3, v1
	s_or_b64 s[20:21], vcc, s[20:21]
	v_mov_b32_e32 v2, v0
	s_andn2_b64 exec, exec, s[20:21]
	s_cbranch_execnz .LBB8_124
.LBB8_125:
	s_or_b64 exec, exec, s[18:19]
	v_mov_b32_e32 v3, 0
	global_load_dwordx2 v[0:1], v3, s[42:43] offset:16
	s_mov_b64 s[18:19], exec
	v_mbcnt_lo_u32_b32 v2, s18, 0
	v_mbcnt_hi_u32_b32 v2, s19, v2
	v_cmp_eq_u32_e32 vcc, 0, v2
	s_and_saveexec_b64 s[20:21], vcc
	s_cbranch_execz .LBB8_127
; %bb.126:
	s_bcnt1_i32_b64 s15, s[18:19]
	v_mov_b32_e32 v2, s15
	s_waitcnt vmcnt(0)
	global_atomic_add_x2 v[0:1], v[2:3], off offset:8
.LBB8_127:
	s_or_b64 exec, exec, s[20:21]
	s_waitcnt vmcnt(0)
	global_load_dwordx2 v[2:3], v[0:1], off offset:16
	s_waitcnt vmcnt(0)
	v_cmp_eq_u64_e32 vcc, 0, v[2:3]
	s_cbranch_vccnz .LBB8_129
; %bb.128:
	global_load_dword v0, v[0:1], off offset:24
	v_mov_b32_e32 v1, 0
	s_waitcnt vmcnt(0)
	global_store_dwordx2 v[2:3], v[0:1], off
	v_and_b32_e32 v0, 0xffffff, v0
	v_readfirstlane_b32 m0, v0
	s_sendmsg sendmsg(MSG_INTERRUPT)
.LBB8_129:
	s_or_b64 exec, exec, s[16:17]
	s_branch .LBB8_133
.LBB8_130:                              ;   in Loop: Header=BB8_133 Depth=1
	s_or_b64 exec, exec, s[16:17]
	v_readfirstlane_b32 s15, v0
	s_cmp_eq_u32 s15, 0
	s_cbranch_scc1 .LBB8_132
; %bb.131:                              ;   in Loop: Header=BB8_133 Depth=1
	s_sleep 1
	s_cbranch_execnz .LBB8_133
	s_branch .LBB8_135
.LBB8_132:
	s_branch .LBB8_135
.LBB8_133:                              ; =>This Inner Loop Header: Depth=1
	v_mov_b32_e32 v0, 1
	s_and_saveexec_b64 s[16:17], s[4:5]
	s_cbranch_execz .LBB8_130
; %bb.134:                              ;   in Loop: Header=BB8_133 Depth=1
	global_load_dword v0, v[8:9], off offset:20 glc
	s_waitcnt vmcnt(0)
	buffer_wbinvl1_vol
	v_and_b32_e32 v0, 1, v0
	s_branch .LBB8_130
.LBB8_135:
	global_load_dwordx2 v[0:1], v[10:11], off
	s_and_saveexec_b64 s[16:17], s[4:5]
	s_cbranch_execz .LBB8_138
; %bb.136:
	v_mov_b32_e32 v8, 0
	global_load_dwordx2 v[4:5], v8, s[42:43] offset:40
	global_load_dwordx2 v[9:10], v8, s[42:43] offset:24 glc
	global_load_dwordx2 v[6:7], v8, s[42:43]
	v_mov_b32_e32 v3, s11
	s_mov_b64 s[4:5], 0
	s_waitcnt vmcnt(2)
	v_add_co_u32_e32 v11, vcc, 1, v4
	v_addc_co_u32_e32 v12, vcc, 0, v5, vcc
	v_add_co_u32_e32 v2, vcc, s10, v11
	v_addc_co_u32_e32 v3, vcc, v12, v3, vcc
	v_cmp_eq_u64_e32 vcc, 0, v[2:3]
	v_cndmask_b32_e32 v3, v3, v12, vcc
	v_cndmask_b32_e32 v2, v2, v11, vcc
	v_and_b32_e32 v5, v3, v5
	v_and_b32_e32 v4, v2, v4
	v_mul_lo_u32 v5, v5, 24
	v_mul_hi_u32 v11, v4, 24
	v_mul_lo_u32 v12, v4, 24
	s_waitcnt vmcnt(1)
	v_mov_b32_e32 v4, v9
	v_add_u32_e32 v5, v11, v5
	s_waitcnt vmcnt(0)
	v_add_co_u32_e32 v6, vcc, v6, v12
	v_addc_co_u32_e32 v7, vcc, v7, v5, vcc
	global_store_dwordx2 v[6:7], v[9:10], off
	v_mov_b32_e32 v5, v10
	s_waitcnt vmcnt(0)
	global_atomic_cmpswap_x2 v[4:5], v8, v[2:5], s[42:43] offset:24 glc
	s_waitcnt vmcnt(0)
	v_cmp_ne_u64_e32 vcc, v[4:5], v[9:10]
	s_and_b64 exec, exec, vcc
	s_cbranch_execz .LBB8_138
.LBB8_137:                              ; =>This Inner Loop Header: Depth=1
	s_sleep 1
	global_store_dwordx2 v[6:7], v[4:5], off
	s_waitcnt vmcnt(0)
	global_atomic_cmpswap_x2 v[9:10], v8, v[2:5], s[42:43] offset:24 glc
	s_waitcnt vmcnt(0)
	v_cmp_eq_u64_e32 vcc, v[9:10], v[4:5]
	v_mov_b32_e32 v4, v9
	s_or_b64 s[4:5], vcc, s[4:5]
	v_mov_b32_e32 v5, v10
	s_andn2_b64 exec, exec, s[4:5]
	s_cbranch_execnz .LBB8_137
.LBB8_138:
	s_or_b64 exec, exec, s[16:17]
.LBB8_139:
	s_getpc_b64 s[10:11]
	s_add_u32 s10, s10, __PRETTY_FUNCTION__._ZL20array_single_elementRN8migraphx4test12test_managerE@rel32@lo+4
	s_addc_u32 s11, s11, __PRETTY_FUNCTION__._ZL20array_single_elementRN8migraphx4test12test_managerE@rel32@hi+12
	s_cmp_lg_u64 s[10:11], 0
	s_cbranch_scc0 .LBB8_224
; %bb.140:
	s_waitcnt vmcnt(0)
	v_and_b32_e32 v6, -3, v0
	v_mov_b32_e32 v7, v1
	s_mov_b64 s[16:17], 58
	v_mov_b32_e32 v26, 0
	v_mov_b32_e32 v4, 2
	;; [unrolled: 1-line block ×3, first 2 shown]
	s_branch .LBB8_142
.LBB8_141:                              ;   in Loop: Header=BB8_142 Depth=1
	s_or_b64 exec, exec, s[22:23]
	s_sub_u32 s16, s16, s18
	s_subb_u32 s17, s17, s19
	s_add_u32 s10, s10, s18
	s_addc_u32 s11, s11, s19
	s_cmp_lg_u64 s[16:17], 0
	s_cbranch_scc0 .LBB8_223
.LBB8_142:                              ; =>This Loop Header: Depth=1
                                        ;     Child Loop BB8_145 Depth 2
                                        ;     Child Loop BB8_152 Depth 2
	;; [unrolled: 1-line block ×11, first 2 shown]
	v_cmp_lt_u64_e64 s[4:5], s[16:17], 56
	v_cmp_gt_u64_e64 s[20:21], s[16:17], 7
	s_and_b64 s[4:5], s[4:5], exec
	s_cselect_b32 s19, s17, 0
	s_cselect_b32 s18, s16, 56
	s_and_b64 vcc, exec, s[20:21]
	s_cbranch_vccnz .LBB8_147
; %bb.143:                              ;   in Loop: Header=BB8_142 Depth=1
	s_waitcnt vmcnt(0)
	v_mov_b32_e32 v8, 0
	s_cmp_eq_u64 s[16:17], 0
	v_mov_b32_e32 v9, 0
	s_mov_b64 s[4:5], 0
	s_cbranch_scc1 .LBB8_146
; %bb.144:                              ;   in Loop: Header=BB8_142 Depth=1
	v_mov_b32_e32 v8, 0
	s_lshl_b64 s[20:21], s[18:19], 3
	s_mov_b64 s[22:23], 0
	v_mov_b32_e32 v9, 0
	s_mov_b64 s[24:25], s[10:11]
.LBB8_145:                              ;   Parent Loop BB8_142 Depth=1
                                        ; =>  This Inner Loop Header: Depth=2
	global_load_ubyte v2, v26, s[24:25]
	s_waitcnt vmcnt(0)
	v_and_b32_e32 v25, 0xffff, v2
	v_lshlrev_b64 v[2:3], s22, v[25:26]
	s_add_u32 s22, s22, 8
	s_addc_u32 s23, s23, 0
	s_add_u32 s24, s24, 1
	s_addc_u32 s25, s25, 0
	v_or_b32_e32 v8, v2, v8
	s_cmp_lg_u32 s20, s22
	v_or_b32_e32 v9, v3, v9
	s_cbranch_scc1 .LBB8_145
.LBB8_146:                              ;   in Loop: Header=BB8_142 Depth=1
	s_mov_b32 s15, 0
	s_andn2_b64 vcc, exec, s[4:5]
	s_mov_b64 s[4:5], s[10:11]
	s_cbranch_vccz .LBB8_148
	s_branch .LBB8_149
.LBB8_147:                              ;   in Loop: Header=BB8_142 Depth=1
                                        ; implicit-def: $sgpr15
	s_mov_b64 s[4:5], s[10:11]
.LBB8_148:                              ;   in Loop: Header=BB8_142 Depth=1
	global_load_dwordx2 v[8:9], v26, s[10:11]
	s_add_i32 s15, s18, -8
	s_add_u32 s4, s10, 8
	s_addc_u32 s5, s11, 0
.LBB8_149:                              ;   in Loop: Header=BB8_142 Depth=1
	s_cmp_gt_u32 s15, 7
	s_cbranch_scc1 .LBB8_153
; %bb.150:                              ;   in Loop: Header=BB8_142 Depth=1
	s_cmp_eq_u32 s15, 0
	s_cbranch_scc1 .LBB8_154
; %bb.151:                              ;   in Loop: Header=BB8_142 Depth=1
	v_mov_b32_e32 v10, 0
	s_mov_b64 s[20:21], 0
	v_mov_b32_e32 v11, 0
	s_mov_b64 s[22:23], 0
.LBB8_152:                              ;   Parent Loop BB8_142 Depth=1
                                        ; =>  This Inner Loop Header: Depth=2
	s_add_u32 s24, s4, s22
	s_addc_u32 s25, s5, s23
	global_load_ubyte v2, v26, s[24:25]
	s_add_u32 s22, s22, 1
	s_addc_u32 s23, s23, 0
	s_waitcnt vmcnt(0)
	v_and_b32_e32 v25, 0xffff, v2
	v_lshlrev_b64 v[2:3], s20, v[25:26]
	s_add_u32 s20, s20, 8
	s_addc_u32 s21, s21, 0
	v_or_b32_e32 v10, v2, v10
	s_cmp_lg_u32 s15, s22
	v_or_b32_e32 v11, v3, v11
	s_cbranch_scc1 .LBB8_152
	s_branch .LBB8_155
.LBB8_153:                              ;   in Loop: Header=BB8_142 Depth=1
                                        ; implicit-def: $vgpr10_vgpr11
                                        ; implicit-def: $sgpr24
	s_branch .LBB8_156
.LBB8_154:                              ;   in Loop: Header=BB8_142 Depth=1
	v_mov_b32_e32 v10, 0
	v_mov_b32_e32 v11, 0
.LBB8_155:                              ;   in Loop: Header=BB8_142 Depth=1
	s_mov_b32 s24, 0
	s_cbranch_execnz .LBB8_157
.LBB8_156:                              ;   in Loop: Header=BB8_142 Depth=1
	global_load_dwordx2 v[10:11], v26, s[4:5]
	s_add_i32 s24, s15, -8
	s_add_u32 s4, s4, 8
	s_addc_u32 s5, s5, 0
.LBB8_157:                              ;   in Loop: Header=BB8_142 Depth=1
	s_cmp_gt_u32 s24, 7
	s_cbranch_scc1 .LBB8_161
; %bb.158:                              ;   in Loop: Header=BB8_142 Depth=1
	s_cmp_eq_u32 s24, 0
	s_cbranch_scc1 .LBB8_162
; %bb.159:                              ;   in Loop: Header=BB8_142 Depth=1
	v_mov_b32_e32 v12, 0
	s_mov_b64 s[20:21], 0
	v_mov_b32_e32 v13, 0
	s_mov_b64 s[22:23], 0
.LBB8_160:                              ;   Parent Loop BB8_142 Depth=1
                                        ; =>  This Inner Loop Header: Depth=2
	s_add_u32 s26, s4, s22
	s_addc_u32 s27, s5, s23
	global_load_ubyte v2, v26, s[26:27]
	s_add_u32 s22, s22, 1
	s_addc_u32 s23, s23, 0
	s_waitcnt vmcnt(0)
	v_and_b32_e32 v25, 0xffff, v2
	v_lshlrev_b64 v[2:3], s20, v[25:26]
	s_add_u32 s20, s20, 8
	s_addc_u32 s21, s21, 0
	v_or_b32_e32 v12, v2, v12
	s_cmp_lg_u32 s24, s22
	v_or_b32_e32 v13, v3, v13
	s_cbranch_scc1 .LBB8_160
	s_branch .LBB8_163
.LBB8_161:                              ;   in Loop: Header=BB8_142 Depth=1
                                        ; implicit-def: $sgpr15
	s_branch .LBB8_164
.LBB8_162:                              ;   in Loop: Header=BB8_142 Depth=1
	v_mov_b32_e32 v12, 0
	v_mov_b32_e32 v13, 0
.LBB8_163:                              ;   in Loop: Header=BB8_142 Depth=1
	s_mov_b32 s15, 0
	s_cbranch_execnz .LBB8_165
.LBB8_164:                              ;   in Loop: Header=BB8_142 Depth=1
	global_load_dwordx2 v[12:13], v26, s[4:5]
	s_add_i32 s15, s24, -8
	s_add_u32 s4, s4, 8
	s_addc_u32 s5, s5, 0
.LBB8_165:                              ;   in Loop: Header=BB8_142 Depth=1
	s_cmp_gt_u32 s15, 7
	s_cbranch_scc1 .LBB8_169
; %bb.166:                              ;   in Loop: Header=BB8_142 Depth=1
	s_cmp_eq_u32 s15, 0
	s_cbranch_scc1 .LBB8_170
; %bb.167:                              ;   in Loop: Header=BB8_142 Depth=1
	v_mov_b32_e32 v14, 0
	s_mov_b64 s[20:21], 0
	v_mov_b32_e32 v15, 0
	s_mov_b64 s[22:23], 0
.LBB8_168:                              ;   Parent Loop BB8_142 Depth=1
                                        ; =>  This Inner Loop Header: Depth=2
	s_add_u32 s24, s4, s22
	s_addc_u32 s25, s5, s23
	global_load_ubyte v2, v26, s[24:25]
	s_add_u32 s22, s22, 1
	s_addc_u32 s23, s23, 0
	s_waitcnt vmcnt(0)
	v_and_b32_e32 v25, 0xffff, v2
	v_lshlrev_b64 v[2:3], s20, v[25:26]
	s_add_u32 s20, s20, 8
	s_addc_u32 s21, s21, 0
	v_or_b32_e32 v14, v2, v14
	s_cmp_lg_u32 s15, s22
	v_or_b32_e32 v15, v3, v15
	s_cbranch_scc1 .LBB8_168
	s_branch .LBB8_171
.LBB8_169:                              ;   in Loop: Header=BB8_142 Depth=1
                                        ; implicit-def: $vgpr14_vgpr15
                                        ; implicit-def: $sgpr24
	s_branch .LBB8_172
.LBB8_170:                              ;   in Loop: Header=BB8_142 Depth=1
	v_mov_b32_e32 v14, 0
	v_mov_b32_e32 v15, 0
.LBB8_171:                              ;   in Loop: Header=BB8_142 Depth=1
	s_mov_b32 s24, 0
	s_cbranch_execnz .LBB8_173
.LBB8_172:                              ;   in Loop: Header=BB8_142 Depth=1
	global_load_dwordx2 v[14:15], v26, s[4:5]
	s_add_i32 s24, s15, -8
	s_add_u32 s4, s4, 8
	s_addc_u32 s5, s5, 0
.LBB8_173:                              ;   in Loop: Header=BB8_142 Depth=1
	s_cmp_gt_u32 s24, 7
	s_cbranch_scc1 .LBB8_177
; %bb.174:                              ;   in Loop: Header=BB8_142 Depth=1
	s_cmp_eq_u32 s24, 0
	s_cbranch_scc1 .LBB8_178
; %bb.175:                              ;   in Loop: Header=BB8_142 Depth=1
	v_mov_b32_e32 v16, 0
	s_mov_b64 s[20:21], 0
	v_mov_b32_e32 v17, 0
	s_mov_b64 s[22:23], 0
.LBB8_176:                              ;   Parent Loop BB8_142 Depth=1
                                        ; =>  This Inner Loop Header: Depth=2
	s_add_u32 s26, s4, s22
	s_addc_u32 s27, s5, s23
	global_load_ubyte v2, v26, s[26:27]
	s_add_u32 s22, s22, 1
	s_addc_u32 s23, s23, 0
	s_waitcnt vmcnt(0)
	v_and_b32_e32 v25, 0xffff, v2
	v_lshlrev_b64 v[2:3], s20, v[25:26]
	s_add_u32 s20, s20, 8
	s_addc_u32 s21, s21, 0
	v_or_b32_e32 v16, v2, v16
	s_cmp_lg_u32 s24, s22
	v_or_b32_e32 v17, v3, v17
	s_cbranch_scc1 .LBB8_176
	s_branch .LBB8_179
.LBB8_177:                              ;   in Loop: Header=BB8_142 Depth=1
                                        ; implicit-def: $sgpr15
	s_branch .LBB8_180
.LBB8_178:                              ;   in Loop: Header=BB8_142 Depth=1
	v_mov_b32_e32 v16, 0
	v_mov_b32_e32 v17, 0
.LBB8_179:                              ;   in Loop: Header=BB8_142 Depth=1
	s_mov_b32 s15, 0
	s_cbranch_execnz .LBB8_181
.LBB8_180:                              ;   in Loop: Header=BB8_142 Depth=1
	global_load_dwordx2 v[16:17], v26, s[4:5]
	s_add_i32 s15, s24, -8
	s_add_u32 s4, s4, 8
	s_addc_u32 s5, s5, 0
.LBB8_181:                              ;   in Loop: Header=BB8_142 Depth=1
	s_cmp_gt_u32 s15, 7
	s_cbranch_scc1 .LBB8_185
; %bb.182:                              ;   in Loop: Header=BB8_142 Depth=1
	s_cmp_eq_u32 s15, 0
	s_cbranch_scc1 .LBB8_186
; %bb.183:                              ;   in Loop: Header=BB8_142 Depth=1
	v_mov_b32_e32 v18, 0
	s_mov_b64 s[20:21], 0
	v_mov_b32_e32 v19, 0
	s_mov_b64 s[22:23], 0
.LBB8_184:                              ;   Parent Loop BB8_142 Depth=1
                                        ; =>  This Inner Loop Header: Depth=2
	s_add_u32 s24, s4, s22
	s_addc_u32 s25, s5, s23
	global_load_ubyte v2, v26, s[24:25]
	s_add_u32 s22, s22, 1
	s_addc_u32 s23, s23, 0
	s_waitcnt vmcnt(0)
	v_and_b32_e32 v25, 0xffff, v2
	v_lshlrev_b64 v[2:3], s20, v[25:26]
	s_add_u32 s20, s20, 8
	s_addc_u32 s21, s21, 0
	v_or_b32_e32 v18, v2, v18
	s_cmp_lg_u32 s15, s22
	v_or_b32_e32 v19, v3, v19
	s_cbranch_scc1 .LBB8_184
	s_branch .LBB8_187
.LBB8_185:                              ;   in Loop: Header=BB8_142 Depth=1
                                        ; implicit-def: $vgpr18_vgpr19
                                        ; implicit-def: $sgpr24
	s_branch .LBB8_188
.LBB8_186:                              ;   in Loop: Header=BB8_142 Depth=1
	v_mov_b32_e32 v18, 0
	v_mov_b32_e32 v19, 0
.LBB8_187:                              ;   in Loop: Header=BB8_142 Depth=1
	s_mov_b32 s24, 0
	s_cbranch_execnz .LBB8_189
.LBB8_188:                              ;   in Loop: Header=BB8_142 Depth=1
	global_load_dwordx2 v[18:19], v26, s[4:5]
	s_add_i32 s24, s15, -8
	s_add_u32 s4, s4, 8
	s_addc_u32 s5, s5, 0
.LBB8_189:                              ;   in Loop: Header=BB8_142 Depth=1
	s_cmp_gt_u32 s24, 7
	s_cbranch_scc1 .LBB8_193
; %bb.190:                              ;   in Loop: Header=BB8_142 Depth=1
	s_cmp_eq_u32 s24, 0
	s_cbranch_scc1 .LBB8_194
; %bb.191:                              ;   in Loop: Header=BB8_142 Depth=1
	v_mov_b32_e32 v20, 0
	s_mov_b64 s[20:21], 0
	v_mov_b32_e32 v21, 0
	s_mov_b64 s[22:23], s[4:5]
.LBB8_192:                              ;   Parent Loop BB8_142 Depth=1
                                        ; =>  This Inner Loop Header: Depth=2
	global_load_ubyte v2, v26, s[22:23]
	s_add_i32 s24, s24, -1
	s_waitcnt vmcnt(0)
	v_and_b32_e32 v25, 0xffff, v2
	v_lshlrev_b64 v[2:3], s20, v[25:26]
	s_add_u32 s20, s20, 8
	s_addc_u32 s21, s21, 0
	s_add_u32 s22, s22, 1
	s_addc_u32 s23, s23, 0
	v_or_b32_e32 v20, v2, v20
	s_cmp_lg_u32 s24, 0
	v_or_b32_e32 v21, v3, v21
	s_cbranch_scc1 .LBB8_192
	s_branch .LBB8_195
.LBB8_193:                              ;   in Loop: Header=BB8_142 Depth=1
	s_branch .LBB8_196
.LBB8_194:                              ;   in Loop: Header=BB8_142 Depth=1
	v_mov_b32_e32 v20, 0
	v_mov_b32_e32 v21, 0
.LBB8_195:                              ;   in Loop: Header=BB8_142 Depth=1
	s_cbranch_execnz .LBB8_197
.LBB8_196:                              ;   in Loop: Header=BB8_142 Depth=1
	global_load_dwordx2 v[20:21], v26, s[4:5]
.LBB8_197:                              ;   in Loop: Header=BB8_142 Depth=1
	v_readfirstlane_b32 s4, v51
	v_mov_b32_e32 v2, 0
	v_mov_b32_e32 v3, 0
	v_cmp_eq_u32_e64 s[4:5], s4, v51
	s_and_saveexec_b64 s[20:21], s[4:5]
	s_cbranch_execz .LBB8_203
; %bb.198:                              ;   in Loop: Header=BB8_142 Depth=1
	global_load_dwordx2 v[24:25], v26, s[42:43] offset:24 glc
	s_waitcnt vmcnt(0)
	buffer_wbinvl1_vol
	global_load_dwordx2 v[2:3], v26, s[42:43] offset:40
	global_load_dwordx2 v[22:23], v26, s[42:43]
	s_waitcnt vmcnt(1)
	v_and_b32_e32 v2, v2, v24
	v_and_b32_e32 v3, v3, v25
	v_mul_lo_u32 v3, v3, 24
	v_mul_hi_u32 v27, v2, 24
	v_mul_lo_u32 v2, v2, 24
	v_add_u32_e32 v3, v27, v3
	s_waitcnt vmcnt(0)
	v_add_co_u32_e32 v2, vcc, v22, v2
	v_addc_co_u32_e32 v3, vcc, v23, v3, vcc
	global_load_dwordx2 v[22:23], v[2:3], off glc
	s_waitcnt vmcnt(0)
	global_atomic_cmpswap_x2 v[2:3], v26, v[22:25], s[42:43] offset:24 glc
	s_waitcnt vmcnt(0)
	buffer_wbinvl1_vol
	v_cmp_ne_u64_e32 vcc, v[2:3], v[24:25]
	s_and_saveexec_b64 s[22:23], vcc
	s_cbranch_execz .LBB8_202
; %bb.199:                              ;   in Loop: Header=BB8_142 Depth=1
	s_mov_b64 s[24:25], 0
.LBB8_200:                              ;   Parent Loop BB8_142 Depth=1
                                        ; =>  This Inner Loop Header: Depth=2
	s_sleep 1
	global_load_dwordx2 v[22:23], v26, s[42:43] offset:40
	global_load_dwordx2 v[27:28], v26, s[42:43]
	v_mov_b32_e32 v25, v3
	v_mov_b32_e32 v24, v2
	s_waitcnt vmcnt(1)
	v_and_b32_e32 v2, v22, v24
	s_waitcnt vmcnt(0)
	v_mad_u64_u32 v[2:3], s[26:27], v2, 24, v[27:28]
	v_and_b32_e32 v22, v23, v25
	v_mad_u64_u32 v[22:23], s[26:27], v22, 24, v[3:4]
	v_mov_b32_e32 v3, v22
	global_load_dwordx2 v[22:23], v[2:3], off glc
	s_waitcnt vmcnt(0)
	global_atomic_cmpswap_x2 v[2:3], v26, v[22:25], s[42:43] offset:24 glc
	s_waitcnt vmcnt(0)
	buffer_wbinvl1_vol
	v_cmp_eq_u64_e32 vcc, v[2:3], v[24:25]
	s_or_b64 s[24:25], vcc, s[24:25]
	s_andn2_b64 exec, exec, s[24:25]
	s_cbranch_execnz .LBB8_200
; %bb.201:                              ;   in Loop: Header=BB8_142 Depth=1
	s_or_b64 exec, exec, s[24:25]
.LBB8_202:                              ;   in Loop: Header=BB8_142 Depth=1
	s_or_b64 exec, exec, s[22:23]
.LBB8_203:                              ;   in Loop: Header=BB8_142 Depth=1
	s_or_b64 exec, exec, s[20:21]
	global_load_dwordx2 v[27:28], v26, s[42:43] offset:40
	global_load_dwordx4 v[22:25], v26, s[42:43]
	v_readfirstlane_b32 s20, v2
	v_readfirstlane_b32 s21, v3
	s_mov_b64 s[22:23], exec
	s_waitcnt vmcnt(1)
	v_readfirstlane_b32 s24, v27
	v_readfirstlane_b32 s25, v28
	s_and_b64 s[24:25], s[20:21], s[24:25]
	s_mul_i32 s15, s25, 24
	s_mul_hi_u32 s26, s24, 24
	s_mul_i32 s27, s24, 24
	s_add_i32 s15, s26, s15
	v_mov_b32_e32 v2, s15
	s_waitcnt vmcnt(0)
	v_add_co_u32_e32 v27, vcc, s27, v22
	v_addc_co_u32_e32 v28, vcc, v23, v2, vcc
	s_and_saveexec_b64 s[26:27], s[4:5]
	s_cbranch_execz .LBB8_205
; %bb.204:                              ;   in Loop: Header=BB8_142 Depth=1
	v_mov_b32_e32 v2, s22
	v_mov_b32_e32 v3, s23
	global_store_dwordx4 v[27:28], v[2:5], off offset:8
.LBB8_205:                              ;   in Loop: Header=BB8_142 Depth=1
	s_or_b64 exec, exec, s[26:27]
	s_lshl_b64 s[22:23], s[24:25], 12
	v_mov_b32_e32 v2, s23
	v_add_co_u32_e32 v24, vcc, s22, v24
	v_addc_co_u32_e32 v29, vcc, v25, v2, vcc
	v_cmp_gt_u64_e64 vcc, s[16:17], 56
	v_or_b32_e32 v2, 2, v6
	s_lshl_b32 s15, s18, 2
	v_cndmask_b32_e32 v2, v2, v6, vcc
	s_add_i32 s15, s15, 28
	s_and_b32 s15, s15, 0x1e0
	v_and_b32_e32 v2, 0xffffff1f, v2
	v_or_b32_e32 v6, s15, v2
	v_readfirstlane_b32 s22, v24
	v_readfirstlane_b32 s23, v29
	s_nop 4
	global_store_dwordx4 v50, v[6:9], s[22:23]
	global_store_dwordx4 v50, v[10:13], s[22:23] offset:16
	global_store_dwordx4 v50, v[14:17], s[22:23] offset:32
	global_store_dwordx4 v50, v[18:21], s[22:23] offset:48
	s_and_saveexec_b64 s[22:23], s[4:5]
	s_cbranch_execz .LBB8_213
; %bb.206:                              ;   in Loop: Header=BB8_142 Depth=1
	global_load_dwordx2 v[10:11], v26, s[42:43] offset:32 glc
	global_load_dwordx2 v[2:3], v26, s[42:43] offset:40
	v_mov_b32_e32 v8, s20
	v_mov_b32_e32 v9, s21
	s_waitcnt vmcnt(0)
	v_readfirstlane_b32 s24, v2
	v_readfirstlane_b32 s25, v3
	s_and_b64 s[24:25], s[24:25], s[20:21]
	s_mul_i32 s15, s25, 24
	s_mul_hi_u32 s25, s24, 24
	s_mul_i32 s24, s24, 24
	s_add_i32 s15, s25, s15
	v_mov_b32_e32 v3, s15
	v_add_co_u32_e32 v2, vcc, s24, v22
	v_addc_co_u32_e32 v3, vcc, v23, v3, vcc
	global_store_dwordx2 v[2:3], v[10:11], off
	s_waitcnt vmcnt(0)
	global_atomic_cmpswap_x2 v[8:9], v26, v[8:11], s[42:43] offset:32 glc
	s_waitcnt vmcnt(0)
	v_cmp_ne_u64_e32 vcc, v[8:9], v[10:11]
	s_and_saveexec_b64 s[24:25], vcc
	s_cbranch_execz .LBB8_209
; %bb.207:                              ;   in Loop: Header=BB8_142 Depth=1
	s_mov_b64 s[26:27], 0
.LBB8_208:                              ;   Parent Loop BB8_142 Depth=1
                                        ; =>  This Inner Loop Header: Depth=2
	s_sleep 1
	global_store_dwordx2 v[2:3], v[8:9], off
	v_mov_b32_e32 v6, s20
	v_mov_b32_e32 v7, s21
	s_waitcnt vmcnt(0)
	global_atomic_cmpswap_x2 v[6:7], v26, v[6:9], s[42:43] offset:32 glc
	s_waitcnt vmcnt(0)
	v_cmp_eq_u64_e32 vcc, v[6:7], v[8:9]
	v_mov_b32_e32 v9, v7
	s_or_b64 s[26:27], vcc, s[26:27]
	v_mov_b32_e32 v8, v6
	s_andn2_b64 exec, exec, s[26:27]
	s_cbranch_execnz .LBB8_208
.LBB8_209:                              ;   in Loop: Header=BB8_142 Depth=1
	s_or_b64 exec, exec, s[24:25]
	global_load_dwordx2 v[2:3], v26, s[42:43] offset:16
	s_mov_b64 s[26:27], exec
	v_mbcnt_lo_u32_b32 v6, s26, 0
	v_mbcnt_hi_u32_b32 v6, s27, v6
	v_cmp_eq_u32_e32 vcc, 0, v6
	s_and_saveexec_b64 s[24:25], vcc
	s_cbranch_execz .LBB8_211
; %bb.210:                              ;   in Loop: Header=BB8_142 Depth=1
	s_bcnt1_i32_b64 s15, s[26:27]
	v_mov_b32_e32 v25, s15
	s_waitcnt vmcnt(0)
	global_atomic_add_x2 v[2:3], v[25:26], off offset:8
.LBB8_211:                              ;   in Loop: Header=BB8_142 Depth=1
	s_or_b64 exec, exec, s[24:25]
	s_waitcnt vmcnt(0)
	global_load_dwordx2 v[6:7], v[2:3], off offset:16
	s_waitcnt vmcnt(0)
	v_cmp_eq_u64_e32 vcc, 0, v[6:7]
	s_cbranch_vccnz .LBB8_213
; %bb.212:                              ;   in Loop: Header=BB8_142 Depth=1
	global_load_dword v25, v[2:3], off offset:24
	s_waitcnt vmcnt(0)
	v_and_b32_e32 v2, 0xffffff, v25
	v_readfirstlane_b32 m0, v2
	global_store_dwordx2 v[6:7], v[25:26], off
	s_sendmsg sendmsg(MSG_INTERRUPT)
.LBB8_213:                              ;   in Loop: Header=BB8_142 Depth=1
	s_or_b64 exec, exec, s[22:23]
	v_add_co_u32_e32 v2, vcc, v24, v50
	v_addc_co_u32_e32 v3, vcc, 0, v29, vcc
	s_branch .LBB8_217
.LBB8_214:                              ;   in Loop: Header=BB8_217 Depth=2
	s_or_b64 exec, exec, s[22:23]
	v_readfirstlane_b32 s15, v6
	s_cmp_eq_u32 s15, 0
	s_cbranch_scc1 .LBB8_216
; %bb.215:                              ;   in Loop: Header=BB8_217 Depth=2
	s_sleep 1
	s_cbranch_execnz .LBB8_217
	s_branch .LBB8_219
.LBB8_216:                              ;   in Loop: Header=BB8_142 Depth=1
	s_branch .LBB8_219
.LBB8_217:                              ;   Parent Loop BB8_142 Depth=1
                                        ; =>  This Inner Loop Header: Depth=2
	v_mov_b32_e32 v6, 1
	s_and_saveexec_b64 s[22:23], s[4:5]
	s_cbranch_execz .LBB8_214
; %bb.218:                              ;   in Loop: Header=BB8_217 Depth=2
	global_load_dword v6, v[27:28], off offset:20 glc
	s_waitcnt vmcnt(0)
	buffer_wbinvl1_vol
	v_and_b32_e32 v6, 1, v6
	s_branch .LBB8_214
.LBB8_219:                              ;   in Loop: Header=BB8_142 Depth=1
	global_load_dwordx4 v[6:9], v[2:3], off
	s_and_saveexec_b64 s[22:23], s[4:5]
	s_cbranch_execz .LBB8_141
; %bb.220:                              ;   in Loop: Header=BB8_142 Depth=1
	global_load_dwordx2 v[2:3], v26, s[42:43] offset:40
	global_load_dwordx2 v[12:13], v26, s[42:43] offset:24 glc
	global_load_dwordx2 v[14:15], v26, s[42:43]
	s_waitcnt vmcnt(3)
	v_mov_b32_e32 v9, s21
	s_waitcnt vmcnt(2)
	v_add_co_u32_e32 v10, vcc, 1, v2
	v_addc_co_u32_e32 v11, vcc, 0, v3, vcc
	v_add_co_u32_e32 v8, vcc, s20, v10
	v_addc_co_u32_e32 v9, vcc, v11, v9, vcc
	v_cmp_eq_u64_e32 vcc, 0, v[8:9]
	v_cndmask_b32_e32 v9, v9, v11, vcc
	v_cndmask_b32_e32 v8, v8, v10, vcc
	v_and_b32_e32 v3, v9, v3
	v_and_b32_e32 v2, v8, v2
	v_mul_lo_u32 v3, v3, 24
	v_mul_hi_u32 v11, v2, 24
	v_mul_lo_u32 v2, v2, 24
	s_waitcnt vmcnt(1)
	v_mov_b32_e32 v10, v12
	v_add_u32_e32 v3, v11, v3
	s_waitcnt vmcnt(0)
	v_add_co_u32_e32 v2, vcc, v14, v2
	v_addc_co_u32_e32 v3, vcc, v15, v3, vcc
	global_store_dwordx2 v[2:3], v[12:13], off
	v_mov_b32_e32 v11, v13
	s_waitcnt vmcnt(0)
	global_atomic_cmpswap_x2 v[10:11], v26, v[8:11], s[42:43] offset:24 glc
	s_waitcnt vmcnt(0)
	v_cmp_ne_u64_e32 vcc, v[10:11], v[12:13]
	s_and_b64 exec, exec, vcc
	s_cbranch_execz .LBB8_141
; %bb.221:                              ;   in Loop: Header=BB8_142 Depth=1
	s_mov_b64 s[4:5], 0
.LBB8_222:                              ;   Parent Loop BB8_142 Depth=1
                                        ; =>  This Inner Loop Header: Depth=2
	s_sleep 1
	global_store_dwordx2 v[2:3], v[10:11], off
	s_waitcnt vmcnt(0)
	global_atomic_cmpswap_x2 v[12:13], v26, v[8:11], s[42:43] offset:24 glc
	s_waitcnt vmcnt(0)
	v_cmp_eq_u64_e32 vcc, v[12:13], v[10:11]
	v_mov_b32_e32 v10, v12
	s_or_b64 s[4:5], vcc, s[4:5]
	v_mov_b32_e32 v11, v13
	s_andn2_b64 exec, exec, s[4:5]
	s_cbranch_execnz .LBB8_222
	s_branch .LBB8_141
.LBB8_223:
	s_branch .LBB8_251
.LBB8_224:
	s_cbranch_execz .LBB8_251
; %bb.225:
	v_readfirstlane_b32 s4, v51
	s_waitcnt vmcnt(0)
	v_mov_b32_e32 v8, 0
	v_mov_b32_e32 v9, 0
	v_cmp_eq_u32_e64 s[4:5], s4, v51
	s_and_saveexec_b64 s[10:11], s[4:5]
	s_cbranch_execz .LBB8_231
; %bb.226:
	v_mov_b32_e32 v2, 0
	global_load_dwordx2 v[5:6], v2, s[42:43] offset:24 glc
	s_waitcnt vmcnt(0)
	buffer_wbinvl1_vol
	global_load_dwordx2 v[3:4], v2, s[42:43] offset:40
	global_load_dwordx2 v[7:8], v2, s[42:43]
	s_waitcnt vmcnt(1)
	v_and_b32_e32 v3, v3, v5
	v_and_b32_e32 v4, v4, v6
	v_mul_lo_u32 v4, v4, 24
	v_mul_hi_u32 v9, v3, 24
	v_mul_lo_u32 v3, v3, 24
	v_add_u32_e32 v4, v9, v4
	s_waitcnt vmcnt(0)
	v_add_co_u32_e32 v3, vcc, v7, v3
	v_addc_co_u32_e32 v4, vcc, v8, v4, vcc
	global_load_dwordx2 v[3:4], v[3:4], off glc
	s_waitcnt vmcnt(0)
	global_atomic_cmpswap_x2 v[8:9], v2, v[3:6], s[42:43] offset:24 glc
	s_waitcnt vmcnt(0)
	buffer_wbinvl1_vol
	v_cmp_ne_u64_e32 vcc, v[8:9], v[5:6]
	s_and_saveexec_b64 s[16:17], vcc
	s_cbranch_execz .LBB8_230
; %bb.227:
	s_mov_b64 s[18:19], 0
.LBB8_228:                              ; =>This Inner Loop Header: Depth=1
	s_sleep 1
	global_load_dwordx2 v[3:4], v2, s[42:43] offset:40
	global_load_dwordx2 v[10:11], v2, s[42:43]
	v_mov_b32_e32 v5, v8
	v_mov_b32_e32 v6, v9
	s_waitcnt vmcnt(1)
	v_and_b32_e32 v3, v3, v5
	s_waitcnt vmcnt(0)
	v_mad_u64_u32 v[7:8], s[20:21], v3, 24, v[10:11]
	v_and_b32_e32 v4, v4, v6
	v_mov_b32_e32 v3, v8
	v_mad_u64_u32 v[3:4], s[20:21], v4, 24, v[3:4]
	v_mov_b32_e32 v8, v3
	global_load_dwordx2 v[3:4], v[7:8], off glc
	s_waitcnt vmcnt(0)
	global_atomic_cmpswap_x2 v[8:9], v2, v[3:6], s[42:43] offset:24 glc
	s_waitcnt vmcnt(0)
	buffer_wbinvl1_vol
	v_cmp_eq_u64_e32 vcc, v[8:9], v[5:6]
	s_or_b64 s[18:19], vcc, s[18:19]
	s_andn2_b64 exec, exec, s[18:19]
	s_cbranch_execnz .LBB8_228
; %bb.229:
	s_or_b64 exec, exec, s[18:19]
.LBB8_230:
	s_or_b64 exec, exec, s[16:17]
.LBB8_231:
	s_or_b64 exec, exec, s[10:11]
	v_mov_b32_e32 v2, 0
	global_load_dwordx2 v[10:11], v2, s[42:43] offset:40
	global_load_dwordx4 v[4:7], v2, s[42:43]
	v_readfirstlane_b32 s10, v8
	v_readfirstlane_b32 s11, v9
	s_mov_b64 s[16:17], exec
	s_waitcnt vmcnt(1)
	v_readfirstlane_b32 s18, v10
	v_readfirstlane_b32 s19, v11
	s_and_b64 s[18:19], s[10:11], s[18:19]
	s_mul_i32 s15, s19, 24
	s_mul_hi_u32 s20, s18, 24
	s_mul_i32 s21, s18, 24
	s_add_i32 s15, s20, s15
	v_mov_b32_e32 v3, s15
	s_waitcnt vmcnt(0)
	v_add_co_u32_e32 v8, vcc, s21, v4
	v_addc_co_u32_e32 v9, vcc, v5, v3, vcc
	s_and_saveexec_b64 s[20:21], s[4:5]
	s_cbranch_execz .LBB8_233
; %bb.232:
	v_mov_b32_e32 v10, s16
	v_mov_b32_e32 v11, s17
	;; [unrolled: 1-line block ×4, first 2 shown]
	global_store_dwordx4 v[8:9], v[10:13], off offset:8
.LBB8_233:
	s_or_b64 exec, exec, s[20:21]
	s_lshl_b64 s[16:17], s[18:19], 12
	v_mov_b32_e32 v3, s17
	v_add_co_u32_e32 v6, vcc, s16, v6
	v_addc_co_u32_e32 v7, vcc, v7, v3, vcc
	s_movk_i32 s15, 0xff1d
	v_and_or_b32 v0, v0, s15, 34
	s_mov_b32 s16, 0
	v_mov_b32_e32 v3, v2
	v_readfirstlane_b32 s20, v6
	v_readfirstlane_b32 s21, v7
	s_mov_b32 s17, s16
	s_mov_b32 s18, s16
	;; [unrolled: 1-line block ×3, first 2 shown]
	s_nop 1
	global_store_dwordx4 v50, v[0:3], s[20:21]
	s_nop 0
	v_mov_b32_e32 v0, s16
	v_mov_b32_e32 v1, s17
	;; [unrolled: 1-line block ×4, first 2 shown]
	global_store_dwordx4 v50, v[0:3], s[20:21] offset:16
	global_store_dwordx4 v50, v[0:3], s[20:21] offset:32
	;; [unrolled: 1-line block ×3, first 2 shown]
	s_and_saveexec_b64 s[16:17], s[4:5]
	s_cbranch_execz .LBB8_241
; %bb.234:
	v_mov_b32_e32 v6, 0
	global_load_dwordx2 v[12:13], v6, s[42:43] offset:32 glc
	global_load_dwordx2 v[0:1], v6, s[42:43] offset:40
	v_mov_b32_e32 v10, s10
	v_mov_b32_e32 v11, s11
	s_waitcnt vmcnt(0)
	v_readfirstlane_b32 s18, v0
	v_readfirstlane_b32 s19, v1
	s_and_b64 s[18:19], s[18:19], s[10:11]
	s_mul_i32 s15, s19, 24
	s_mul_hi_u32 s19, s18, 24
	s_mul_i32 s18, s18, 24
	s_add_i32 s15, s19, s15
	v_mov_b32_e32 v0, s15
	v_add_co_u32_e32 v4, vcc, s18, v4
	v_addc_co_u32_e32 v5, vcc, v5, v0, vcc
	global_store_dwordx2 v[4:5], v[12:13], off
	s_waitcnt vmcnt(0)
	global_atomic_cmpswap_x2 v[2:3], v6, v[10:13], s[42:43] offset:32 glc
	s_waitcnt vmcnt(0)
	v_cmp_ne_u64_e32 vcc, v[2:3], v[12:13]
	s_and_saveexec_b64 s[18:19], vcc
	s_cbranch_execz .LBB8_237
; %bb.235:
	s_mov_b64 s[20:21], 0
.LBB8_236:                              ; =>This Inner Loop Header: Depth=1
	s_sleep 1
	global_store_dwordx2 v[4:5], v[2:3], off
	v_mov_b32_e32 v0, s10
	v_mov_b32_e32 v1, s11
	s_waitcnt vmcnt(0)
	global_atomic_cmpswap_x2 v[0:1], v6, v[0:3], s[42:43] offset:32 glc
	s_waitcnt vmcnt(0)
	v_cmp_eq_u64_e32 vcc, v[0:1], v[2:3]
	v_mov_b32_e32 v3, v1
	s_or_b64 s[20:21], vcc, s[20:21]
	v_mov_b32_e32 v2, v0
	s_andn2_b64 exec, exec, s[20:21]
	s_cbranch_execnz .LBB8_236
.LBB8_237:
	s_or_b64 exec, exec, s[18:19]
	v_mov_b32_e32 v3, 0
	global_load_dwordx2 v[0:1], v3, s[42:43] offset:16
	s_mov_b64 s[18:19], exec
	v_mbcnt_lo_u32_b32 v2, s18, 0
	v_mbcnt_hi_u32_b32 v2, s19, v2
	v_cmp_eq_u32_e32 vcc, 0, v2
	s_and_saveexec_b64 s[20:21], vcc
	s_cbranch_execz .LBB8_239
; %bb.238:
	s_bcnt1_i32_b64 s15, s[18:19]
	v_mov_b32_e32 v2, s15
	s_waitcnt vmcnt(0)
	global_atomic_add_x2 v[0:1], v[2:3], off offset:8
.LBB8_239:
	s_or_b64 exec, exec, s[20:21]
	s_waitcnt vmcnt(0)
	global_load_dwordx2 v[2:3], v[0:1], off offset:16
	s_waitcnt vmcnt(0)
	v_cmp_eq_u64_e32 vcc, 0, v[2:3]
	s_cbranch_vccnz .LBB8_241
; %bb.240:
	global_load_dword v0, v[0:1], off offset:24
	v_mov_b32_e32 v1, 0
	s_waitcnt vmcnt(0)
	global_store_dwordx2 v[2:3], v[0:1], off
	v_and_b32_e32 v0, 0xffffff, v0
	v_readfirstlane_b32 m0, v0
	s_sendmsg sendmsg(MSG_INTERRUPT)
.LBB8_241:
	s_or_b64 exec, exec, s[16:17]
	s_branch .LBB8_245
.LBB8_242:                              ;   in Loop: Header=BB8_245 Depth=1
	s_or_b64 exec, exec, s[16:17]
	v_readfirstlane_b32 s15, v0
	s_cmp_eq_u32 s15, 0
	s_cbranch_scc1 .LBB8_244
; %bb.243:                              ;   in Loop: Header=BB8_245 Depth=1
	s_sleep 1
	s_cbranch_execnz .LBB8_245
	s_branch .LBB8_247
.LBB8_244:
	s_branch .LBB8_247
.LBB8_245:                              ; =>This Inner Loop Header: Depth=1
	v_mov_b32_e32 v0, 1
	s_and_saveexec_b64 s[16:17], s[4:5]
	s_cbranch_execz .LBB8_242
; %bb.246:                              ;   in Loop: Header=BB8_245 Depth=1
	global_load_dword v0, v[8:9], off offset:20 glc
	s_waitcnt vmcnt(0)
	buffer_wbinvl1_vol
	v_and_b32_e32 v0, 1, v0
	s_branch .LBB8_242
.LBB8_247:
	s_and_saveexec_b64 s[16:17], s[4:5]
	s_cbranch_execz .LBB8_250
; %bb.248:
	v_mov_b32_e32 v6, 0
	global_load_dwordx2 v[2:3], v6, s[42:43] offset:40
	global_load_dwordx2 v[7:8], v6, s[42:43] offset:24 glc
	global_load_dwordx2 v[4:5], v6, s[42:43]
	v_mov_b32_e32 v1, s11
	s_mov_b64 s[4:5], 0
	s_waitcnt vmcnt(2)
	v_add_co_u32_e32 v9, vcc, 1, v2
	v_addc_co_u32_e32 v10, vcc, 0, v3, vcc
	v_add_co_u32_e32 v0, vcc, s10, v9
	v_addc_co_u32_e32 v1, vcc, v10, v1, vcc
	v_cmp_eq_u64_e32 vcc, 0, v[0:1]
	v_cndmask_b32_e32 v1, v1, v10, vcc
	v_cndmask_b32_e32 v0, v0, v9, vcc
	v_and_b32_e32 v3, v1, v3
	v_and_b32_e32 v2, v0, v2
	v_mul_lo_u32 v3, v3, 24
	v_mul_hi_u32 v9, v2, 24
	v_mul_lo_u32 v10, v2, 24
	s_waitcnt vmcnt(1)
	v_mov_b32_e32 v2, v7
	v_add_u32_e32 v3, v9, v3
	s_waitcnt vmcnt(0)
	v_add_co_u32_e32 v4, vcc, v4, v10
	v_addc_co_u32_e32 v5, vcc, v5, v3, vcc
	global_store_dwordx2 v[4:5], v[7:8], off
	v_mov_b32_e32 v3, v8
	s_waitcnt vmcnt(0)
	global_atomic_cmpswap_x2 v[2:3], v6, v[0:3], s[42:43] offset:24 glc
	s_waitcnt vmcnt(0)
	v_cmp_ne_u64_e32 vcc, v[2:3], v[7:8]
	s_and_b64 exec, exec, vcc
	s_cbranch_execz .LBB8_250
.LBB8_249:                              ; =>This Inner Loop Header: Depth=1
	s_sleep 1
	global_store_dwordx2 v[4:5], v[2:3], off
	s_waitcnt vmcnt(0)
	global_atomic_cmpswap_x2 v[7:8], v6, v[0:3], s[42:43] offset:24 glc
	s_waitcnt vmcnt(0)
	v_cmp_eq_u64_e32 vcc, v[7:8], v[2:3]
	v_mov_b32_e32 v2, v7
	s_or_b64 s[4:5], vcc, s[4:5]
	v_mov_b32_e32 v3, v8
	s_andn2_b64 exec, exec, s[4:5]
	s_cbranch_execnz .LBB8_249
.LBB8_250:
	s_or_b64 exec, exec, s[16:17]
.LBB8_251:
	v_readfirstlane_b32 s4, v51
	s_waitcnt vmcnt(0)
	v_mov_b32_e32 v5, 0
	v_mov_b32_e32 v6, 0
	v_cmp_eq_u32_e64 s[4:5], s4, v51
	s_and_saveexec_b64 s[10:11], s[4:5]
	s_cbranch_execz .LBB8_257
; %bb.252:
	v_mov_b32_e32 v0, 0
	global_load_dwordx2 v[3:4], v0, s[42:43] offset:24 glc
	s_waitcnt vmcnt(0)
	buffer_wbinvl1_vol
	global_load_dwordx2 v[1:2], v0, s[42:43] offset:40
	global_load_dwordx2 v[5:6], v0, s[42:43]
	s_waitcnt vmcnt(1)
	v_and_b32_e32 v1, v1, v3
	v_and_b32_e32 v2, v2, v4
	v_mul_lo_u32 v2, v2, 24
	v_mul_hi_u32 v7, v1, 24
	v_mul_lo_u32 v1, v1, 24
	v_add_u32_e32 v2, v7, v2
	s_waitcnt vmcnt(0)
	v_add_co_u32_e32 v1, vcc, v5, v1
	v_addc_co_u32_e32 v2, vcc, v6, v2, vcc
	global_load_dwordx2 v[1:2], v[1:2], off glc
	s_waitcnt vmcnt(0)
	global_atomic_cmpswap_x2 v[5:6], v0, v[1:4], s[42:43] offset:24 glc
	s_waitcnt vmcnt(0)
	buffer_wbinvl1_vol
	v_cmp_ne_u64_e32 vcc, v[5:6], v[3:4]
	s_and_saveexec_b64 s[16:17], vcc
	s_cbranch_execz .LBB8_256
; %bb.253:
	s_mov_b64 s[18:19], 0
.LBB8_254:                              ; =>This Inner Loop Header: Depth=1
	s_sleep 1
	global_load_dwordx2 v[1:2], v0, s[42:43] offset:40
	global_load_dwordx2 v[7:8], v0, s[42:43]
	v_mov_b32_e32 v3, v5
	v_mov_b32_e32 v4, v6
	s_waitcnt vmcnt(1)
	v_and_b32_e32 v1, v1, v3
	s_waitcnt vmcnt(0)
	v_mad_u64_u32 v[5:6], s[20:21], v1, 24, v[7:8]
	v_and_b32_e32 v2, v2, v4
	v_mov_b32_e32 v1, v6
	v_mad_u64_u32 v[1:2], s[20:21], v2, 24, v[1:2]
	v_mov_b32_e32 v6, v1
	global_load_dwordx2 v[1:2], v[5:6], off glc
	s_waitcnt vmcnt(0)
	global_atomic_cmpswap_x2 v[5:6], v0, v[1:4], s[42:43] offset:24 glc
	s_waitcnt vmcnt(0)
	buffer_wbinvl1_vol
	v_cmp_eq_u64_e32 vcc, v[5:6], v[3:4]
	s_or_b64 s[18:19], vcc, s[18:19]
	s_andn2_b64 exec, exec, s[18:19]
	s_cbranch_execnz .LBB8_254
; %bb.255:
	s_or_b64 exec, exec, s[18:19]
.LBB8_256:
	s_or_b64 exec, exec, s[16:17]
.LBB8_257:
	s_or_b64 exec, exec, s[10:11]
	v_mov_b32_e32 v4, 0
	global_load_dwordx2 v[7:8], v4, s[42:43] offset:40
	global_load_dwordx4 v[0:3], v4, s[42:43]
	v_readfirstlane_b32 s10, v5
	v_readfirstlane_b32 s11, v6
	s_mov_b64 s[16:17], exec
	s_waitcnt vmcnt(1)
	v_readfirstlane_b32 s18, v7
	v_readfirstlane_b32 s19, v8
	s_and_b64 s[18:19], s[10:11], s[18:19]
	s_mul_i32 s15, s19, 24
	s_mul_hi_u32 s20, s18, 24
	s_mul_i32 s21, s18, 24
	s_add_i32 s15, s20, s15
	v_mov_b32_e32 v5, s15
	s_waitcnt vmcnt(0)
	v_add_co_u32_e32 v7, vcc, s21, v0
	v_addc_co_u32_e32 v8, vcc, v1, v5, vcc
	s_and_saveexec_b64 s[20:21], s[4:5]
	s_cbranch_execz .LBB8_259
; %bb.258:
	v_mov_b32_e32 v9, s16
	v_mov_b32_e32 v10, s17
	v_mov_b32_e32 v11, 2
	v_mov_b32_e32 v12, 1
	global_store_dwordx4 v[7:8], v[9:12], off offset:8
.LBB8_259:
	s_or_b64 exec, exec, s[20:21]
	s_lshl_b64 s[16:17], s[18:19], 12
	v_mov_b32_e32 v5, s17
	v_add_co_u32_e32 v2, vcc, s16, v2
	v_addc_co_u32_e32 v11, vcc, v3, v5, vcc
	s_mov_b32 s16, 0
	v_mov_b32_e32 v3, 33
	v_mov_b32_e32 v5, v4
	;; [unrolled: 1-line block ×3, first 2 shown]
	v_readfirstlane_b32 s20, v2
	v_readfirstlane_b32 s21, v11
	v_add_co_u32_e32 v9, vcc, v2, v50
	s_mov_b32 s17, s16
	s_mov_b32 s18, s16
	;; [unrolled: 1-line block ×3, first 2 shown]
	s_nop 0
	global_store_dwordx4 v50, v[3:6], s[20:21]
	v_mov_b32_e32 v2, s16
	v_addc_co_u32_e32 v10, vcc, 0, v11, vcc
	v_mov_b32_e32 v3, s17
	v_mov_b32_e32 v4, s18
	;; [unrolled: 1-line block ×3, first 2 shown]
	global_store_dwordx4 v50, v[2:5], s[20:21] offset:16
	global_store_dwordx4 v50, v[2:5], s[20:21] offset:32
	;; [unrolled: 1-line block ×3, first 2 shown]
	s_and_saveexec_b64 s[16:17], s[4:5]
	s_cbranch_execz .LBB8_267
; %bb.260:
	v_mov_b32_e32 v6, 0
	global_load_dwordx2 v[13:14], v6, s[42:43] offset:32 glc
	global_load_dwordx2 v[2:3], v6, s[42:43] offset:40
	v_mov_b32_e32 v11, s10
	v_mov_b32_e32 v12, s11
	s_waitcnt vmcnt(0)
	v_readfirstlane_b32 s18, v2
	v_readfirstlane_b32 s19, v3
	s_and_b64 s[18:19], s[18:19], s[10:11]
	s_mul_i32 s15, s19, 24
	s_mul_hi_u32 s19, s18, 24
	s_mul_i32 s18, s18, 24
	s_add_i32 s15, s19, s15
	v_mov_b32_e32 v2, s15
	v_add_co_u32_e32 v4, vcc, s18, v0
	v_addc_co_u32_e32 v5, vcc, v1, v2, vcc
	global_store_dwordx2 v[4:5], v[13:14], off
	s_waitcnt vmcnt(0)
	global_atomic_cmpswap_x2 v[2:3], v6, v[11:14], s[42:43] offset:32 glc
	s_waitcnt vmcnt(0)
	v_cmp_ne_u64_e32 vcc, v[2:3], v[13:14]
	s_and_saveexec_b64 s[18:19], vcc
	s_cbranch_execz .LBB8_263
; %bb.261:
	s_mov_b64 s[20:21], 0
.LBB8_262:                              ; =>This Inner Loop Header: Depth=1
	s_sleep 1
	global_store_dwordx2 v[4:5], v[2:3], off
	v_mov_b32_e32 v0, s10
	v_mov_b32_e32 v1, s11
	s_waitcnt vmcnt(0)
	global_atomic_cmpswap_x2 v[0:1], v6, v[0:3], s[42:43] offset:32 glc
	s_waitcnt vmcnt(0)
	v_cmp_eq_u64_e32 vcc, v[0:1], v[2:3]
	v_mov_b32_e32 v3, v1
	s_or_b64 s[20:21], vcc, s[20:21]
	v_mov_b32_e32 v2, v0
	s_andn2_b64 exec, exec, s[20:21]
	s_cbranch_execnz .LBB8_262
.LBB8_263:
	s_or_b64 exec, exec, s[18:19]
	v_mov_b32_e32 v3, 0
	global_load_dwordx2 v[0:1], v3, s[42:43] offset:16
	s_mov_b64 s[18:19], exec
	v_mbcnt_lo_u32_b32 v2, s18, 0
	v_mbcnt_hi_u32_b32 v2, s19, v2
	v_cmp_eq_u32_e32 vcc, 0, v2
	s_and_saveexec_b64 s[20:21], vcc
	s_cbranch_execz .LBB8_265
; %bb.264:
	s_bcnt1_i32_b64 s15, s[18:19]
	v_mov_b32_e32 v2, s15
	s_waitcnt vmcnt(0)
	global_atomic_add_x2 v[0:1], v[2:3], off offset:8
.LBB8_265:
	s_or_b64 exec, exec, s[20:21]
	s_waitcnt vmcnt(0)
	global_load_dwordx2 v[2:3], v[0:1], off offset:16
	s_waitcnt vmcnt(0)
	v_cmp_eq_u64_e32 vcc, 0, v[2:3]
	s_cbranch_vccnz .LBB8_267
; %bb.266:
	global_load_dword v0, v[0:1], off offset:24
	v_mov_b32_e32 v1, 0
	s_waitcnt vmcnt(0)
	global_store_dwordx2 v[2:3], v[0:1], off
	v_and_b32_e32 v0, 0xffffff, v0
	v_readfirstlane_b32 m0, v0
	s_sendmsg sendmsg(MSG_INTERRUPT)
.LBB8_267:
	s_or_b64 exec, exec, s[16:17]
	s_branch .LBB8_271
.LBB8_268:                              ;   in Loop: Header=BB8_271 Depth=1
	s_or_b64 exec, exec, s[16:17]
	v_readfirstlane_b32 s15, v0
	s_cmp_eq_u32 s15, 0
	s_cbranch_scc1 .LBB8_270
; %bb.269:                              ;   in Loop: Header=BB8_271 Depth=1
	s_sleep 1
	s_cbranch_execnz .LBB8_271
	s_branch .LBB8_273
.LBB8_270:
	s_branch .LBB8_273
.LBB8_271:                              ; =>This Inner Loop Header: Depth=1
	v_mov_b32_e32 v0, 1
	s_and_saveexec_b64 s[16:17], s[4:5]
	s_cbranch_execz .LBB8_268
; %bb.272:                              ;   in Loop: Header=BB8_271 Depth=1
	global_load_dword v0, v[7:8], off offset:20 glc
	s_waitcnt vmcnt(0)
	buffer_wbinvl1_vol
	v_and_b32_e32 v0, 1, v0
	s_branch .LBB8_268
.LBB8_273:
	global_load_dwordx2 v[0:1], v[9:10], off
	s_and_saveexec_b64 s[16:17], s[4:5]
	s_cbranch_execz .LBB8_276
; %bb.274:
	v_mov_b32_e32 v8, 0
	global_load_dwordx2 v[4:5], v8, s[42:43] offset:40
	global_load_dwordx2 v[9:10], v8, s[42:43] offset:24 glc
	global_load_dwordx2 v[6:7], v8, s[42:43]
	v_mov_b32_e32 v3, s11
	s_mov_b64 s[4:5], 0
	s_waitcnt vmcnt(2)
	v_add_co_u32_e32 v11, vcc, 1, v4
	v_addc_co_u32_e32 v12, vcc, 0, v5, vcc
	v_add_co_u32_e32 v2, vcc, s10, v11
	v_addc_co_u32_e32 v3, vcc, v12, v3, vcc
	v_cmp_eq_u64_e32 vcc, 0, v[2:3]
	v_cndmask_b32_e32 v3, v3, v12, vcc
	v_cndmask_b32_e32 v2, v2, v11, vcc
	v_and_b32_e32 v5, v3, v5
	v_and_b32_e32 v4, v2, v4
	v_mul_lo_u32 v5, v5, 24
	v_mul_hi_u32 v11, v4, 24
	v_mul_lo_u32 v12, v4, 24
	s_waitcnt vmcnt(1)
	v_mov_b32_e32 v4, v9
	v_add_u32_e32 v5, v11, v5
	s_waitcnt vmcnt(0)
	v_add_co_u32_e32 v6, vcc, v6, v12
	v_addc_co_u32_e32 v7, vcc, v7, v5, vcc
	global_store_dwordx2 v[6:7], v[9:10], off
	v_mov_b32_e32 v5, v10
	s_waitcnt vmcnt(0)
	global_atomic_cmpswap_x2 v[4:5], v8, v[2:5], s[42:43] offset:24 glc
	s_waitcnt vmcnt(0)
	v_cmp_ne_u64_e32 vcc, v[4:5], v[9:10]
	s_and_b64 exec, exec, vcc
	s_cbranch_execz .LBB8_276
.LBB8_275:                              ; =>This Inner Loop Header: Depth=1
	s_sleep 1
	global_store_dwordx2 v[6:7], v[4:5], off
	s_waitcnt vmcnt(0)
	global_atomic_cmpswap_x2 v[9:10], v8, v[2:5], s[42:43] offset:24 glc
	s_waitcnt vmcnt(0)
	v_cmp_eq_u64_e32 vcc, v[9:10], v[4:5]
	v_mov_b32_e32 v4, v9
	s_or_b64 s[4:5], vcc, s[4:5]
	v_mov_b32_e32 v5, v10
	s_andn2_b64 exec, exec, s[4:5]
	s_cbranch_execnz .LBB8_275
.LBB8_276:
	s_or_b64 exec, exec, s[16:17]
	s_getpc_b64 s[10:11]
	s_add_u32 s10, s10, .str.8@rel32@lo+4
	s_addc_u32 s11, s11, .str.8@rel32@hi+12
	s_cmp_lg_u64 s[10:11], 0
	s_cselect_b64 s[44:45], -1, 0
	s_and_b64 vcc, exec, s[44:45]
	s_cbranch_vccz .LBB8_361
; %bb.277:
	s_waitcnt vmcnt(0)
	v_and_b32_e32 v31, 2, v0
	v_mov_b32_e32 v28, 0
	v_and_b32_e32 v2, -3, v0
	v_mov_b32_e32 v3, v1
	s_mov_b64 s[16:17], 3
	v_mov_b32_e32 v6, 2
	v_mov_b32_e32 v7, 1
	s_branch .LBB8_279
.LBB8_278:                              ;   in Loop: Header=BB8_279 Depth=1
	s_or_b64 exec, exec, s[22:23]
	s_sub_u32 s16, s16, s18
	s_subb_u32 s17, s17, s19
	s_add_u32 s10, s10, s18
	s_addc_u32 s11, s11, s19
	s_cmp_lg_u64 s[16:17], 0
	s_cbranch_scc0 .LBB8_360
.LBB8_279:                              ; =>This Loop Header: Depth=1
                                        ;     Child Loop BB8_282 Depth 2
                                        ;     Child Loop BB8_289 Depth 2
	;; [unrolled: 1-line block ×11, first 2 shown]
	v_cmp_lt_u64_e64 s[4:5], s[16:17], 56
	v_cmp_gt_u64_e64 s[20:21], s[16:17], 7
	s_and_b64 s[4:5], s[4:5], exec
	s_cselect_b32 s19, s17, 0
	s_cselect_b32 s18, s16, 56
	s_and_b64 vcc, exec, s[20:21]
	s_cbranch_vccnz .LBB8_284
; %bb.280:                              ;   in Loop: Header=BB8_279 Depth=1
	v_mov_b32_e32 v10, 0
	s_cmp_eq_u64 s[16:17], 0
	v_mov_b32_e32 v11, 0
	s_mov_b64 s[4:5], 0
	s_cbranch_scc1 .LBB8_283
; %bb.281:                              ;   in Loop: Header=BB8_279 Depth=1
	v_mov_b32_e32 v10, 0
	s_lshl_b64 s[20:21], s[18:19], 3
	s_mov_b64 s[22:23], 0
	v_mov_b32_e32 v11, 0
	s_mov_b64 s[24:25], s[10:11]
.LBB8_282:                              ;   Parent Loop BB8_279 Depth=1
                                        ; =>  This Inner Loop Header: Depth=2
	global_load_ubyte v4, v28, s[24:25]
	s_waitcnt vmcnt(0)
	v_and_b32_e32 v27, 0xffff, v4
	v_lshlrev_b64 v[4:5], s22, v[27:28]
	s_add_u32 s22, s22, 8
	s_addc_u32 s23, s23, 0
	s_add_u32 s24, s24, 1
	s_addc_u32 s25, s25, 0
	v_or_b32_e32 v10, v4, v10
	s_cmp_lg_u32 s20, s22
	v_or_b32_e32 v11, v5, v11
	s_cbranch_scc1 .LBB8_282
.LBB8_283:                              ;   in Loop: Header=BB8_279 Depth=1
	s_mov_b32 s15, 0
	s_andn2_b64 vcc, exec, s[4:5]
	s_mov_b64 s[4:5], s[10:11]
	s_cbranch_vccz .LBB8_285
	s_branch .LBB8_286
.LBB8_284:                              ;   in Loop: Header=BB8_279 Depth=1
                                        ; implicit-def: $vgpr10_vgpr11
                                        ; implicit-def: $sgpr15
	s_mov_b64 s[4:5], s[10:11]
.LBB8_285:                              ;   in Loop: Header=BB8_279 Depth=1
	global_load_dwordx2 v[10:11], v28, s[10:11]
	s_add_i32 s15, s18, -8
	s_add_u32 s4, s10, 8
	s_addc_u32 s5, s11, 0
.LBB8_286:                              ;   in Loop: Header=BB8_279 Depth=1
	s_cmp_gt_u32 s15, 7
	s_cbranch_scc1 .LBB8_290
; %bb.287:                              ;   in Loop: Header=BB8_279 Depth=1
	s_cmp_eq_u32 s15, 0
	s_cbranch_scc1 .LBB8_291
; %bb.288:                              ;   in Loop: Header=BB8_279 Depth=1
	v_mov_b32_e32 v12, 0
	s_mov_b64 s[20:21], 0
	v_mov_b32_e32 v13, 0
	s_mov_b64 s[22:23], 0
.LBB8_289:                              ;   Parent Loop BB8_279 Depth=1
                                        ; =>  This Inner Loop Header: Depth=2
	s_add_u32 s24, s4, s22
	s_addc_u32 s25, s5, s23
	global_load_ubyte v4, v28, s[24:25]
	s_add_u32 s22, s22, 1
	s_addc_u32 s23, s23, 0
	s_waitcnt vmcnt(0)
	v_and_b32_e32 v27, 0xffff, v4
	v_lshlrev_b64 v[4:5], s20, v[27:28]
	s_add_u32 s20, s20, 8
	s_addc_u32 s21, s21, 0
	v_or_b32_e32 v12, v4, v12
	s_cmp_lg_u32 s15, s22
	v_or_b32_e32 v13, v5, v13
	s_cbranch_scc1 .LBB8_289
	s_branch .LBB8_292
.LBB8_290:                              ;   in Loop: Header=BB8_279 Depth=1
                                        ; implicit-def: $vgpr12_vgpr13
                                        ; implicit-def: $sgpr24
	s_branch .LBB8_293
.LBB8_291:                              ;   in Loop: Header=BB8_279 Depth=1
	v_mov_b32_e32 v12, 0
	v_mov_b32_e32 v13, 0
.LBB8_292:                              ;   in Loop: Header=BB8_279 Depth=1
	s_mov_b32 s24, 0
	s_cbranch_execnz .LBB8_294
.LBB8_293:                              ;   in Loop: Header=BB8_279 Depth=1
	global_load_dwordx2 v[12:13], v28, s[4:5]
	s_add_i32 s24, s15, -8
	s_add_u32 s4, s4, 8
	s_addc_u32 s5, s5, 0
.LBB8_294:                              ;   in Loop: Header=BB8_279 Depth=1
	s_cmp_gt_u32 s24, 7
	s_cbranch_scc1 .LBB8_298
; %bb.295:                              ;   in Loop: Header=BB8_279 Depth=1
	s_cmp_eq_u32 s24, 0
	s_cbranch_scc1 .LBB8_299
; %bb.296:                              ;   in Loop: Header=BB8_279 Depth=1
	v_mov_b32_e32 v14, 0
	s_mov_b64 s[20:21], 0
	v_mov_b32_e32 v15, 0
	s_mov_b64 s[22:23], 0
.LBB8_297:                              ;   Parent Loop BB8_279 Depth=1
                                        ; =>  This Inner Loop Header: Depth=2
	s_add_u32 s26, s4, s22
	s_addc_u32 s27, s5, s23
	global_load_ubyte v4, v28, s[26:27]
	s_add_u32 s22, s22, 1
	s_addc_u32 s23, s23, 0
	s_waitcnt vmcnt(0)
	v_and_b32_e32 v27, 0xffff, v4
	v_lshlrev_b64 v[4:5], s20, v[27:28]
	s_add_u32 s20, s20, 8
	s_addc_u32 s21, s21, 0
	v_or_b32_e32 v14, v4, v14
	s_cmp_lg_u32 s24, s22
	v_or_b32_e32 v15, v5, v15
	s_cbranch_scc1 .LBB8_297
	s_branch .LBB8_300
.LBB8_298:                              ;   in Loop: Header=BB8_279 Depth=1
                                        ; implicit-def: $sgpr15
	s_branch .LBB8_301
.LBB8_299:                              ;   in Loop: Header=BB8_279 Depth=1
	v_mov_b32_e32 v14, 0
	v_mov_b32_e32 v15, 0
.LBB8_300:                              ;   in Loop: Header=BB8_279 Depth=1
	s_mov_b32 s15, 0
	s_cbranch_execnz .LBB8_302
.LBB8_301:                              ;   in Loop: Header=BB8_279 Depth=1
	global_load_dwordx2 v[14:15], v28, s[4:5]
	s_add_i32 s15, s24, -8
	s_add_u32 s4, s4, 8
	s_addc_u32 s5, s5, 0
.LBB8_302:                              ;   in Loop: Header=BB8_279 Depth=1
	s_cmp_gt_u32 s15, 7
	s_cbranch_scc1 .LBB8_306
; %bb.303:                              ;   in Loop: Header=BB8_279 Depth=1
	s_cmp_eq_u32 s15, 0
	s_cbranch_scc1 .LBB8_307
; %bb.304:                              ;   in Loop: Header=BB8_279 Depth=1
	v_mov_b32_e32 v16, 0
	s_mov_b64 s[20:21], 0
	v_mov_b32_e32 v17, 0
	s_mov_b64 s[22:23], 0
.LBB8_305:                              ;   Parent Loop BB8_279 Depth=1
                                        ; =>  This Inner Loop Header: Depth=2
	s_add_u32 s24, s4, s22
	s_addc_u32 s25, s5, s23
	global_load_ubyte v4, v28, s[24:25]
	s_add_u32 s22, s22, 1
	s_addc_u32 s23, s23, 0
	s_waitcnt vmcnt(0)
	v_and_b32_e32 v27, 0xffff, v4
	v_lshlrev_b64 v[4:5], s20, v[27:28]
	s_add_u32 s20, s20, 8
	s_addc_u32 s21, s21, 0
	v_or_b32_e32 v16, v4, v16
	s_cmp_lg_u32 s15, s22
	v_or_b32_e32 v17, v5, v17
	s_cbranch_scc1 .LBB8_305
	s_branch .LBB8_308
.LBB8_306:                              ;   in Loop: Header=BB8_279 Depth=1
                                        ; implicit-def: $vgpr16_vgpr17
                                        ; implicit-def: $sgpr24
	s_branch .LBB8_309
.LBB8_307:                              ;   in Loop: Header=BB8_279 Depth=1
	v_mov_b32_e32 v16, 0
	v_mov_b32_e32 v17, 0
.LBB8_308:                              ;   in Loop: Header=BB8_279 Depth=1
	s_mov_b32 s24, 0
	s_cbranch_execnz .LBB8_310
.LBB8_309:                              ;   in Loop: Header=BB8_279 Depth=1
	global_load_dwordx2 v[16:17], v28, s[4:5]
	s_add_i32 s24, s15, -8
	s_add_u32 s4, s4, 8
	s_addc_u32 s5, s5, 0
.LBB8_310:                              ;   in Loop: Header=BB8_279 Depth=1
	s_cmp_gt_u32 s24, 7
	s_cbranch_scc1 .LBB8_314
; %bb.311:                              ;   in Loop: Header=BB8_279 Depth=1
	s_cmp_eq_u32 s24, 0
	s_cbranch_scc1 .LBB8_315
; %bb.312:                              ;   in Loop: Header=BB8_279 Depth=1
	v_mov_b32_e32 v18, 0
	s_mov_b64 s[20:21], 0
	v_mov_b32_e32 v19, 0
	s_mov_b64 s[22:23], 0
.LBB8_313:                              ;   Parent Loop BB8_279 Depth=1
                                        ; =>  This Inner Loop Header: Depth=2
	s_add_u32 s26, s4, s22
	s_addc_u32 s27, s5, s23
	global_load_ubyte v4, v28, s[26:27]
	s_add_u32 s22, s22, 1
	s_addc_u32 s23, s23, 0
	s_waitcnt vmcnt(0)
	v_and_b32_e32 v27, 0xffff, v4
	v_lshlrev_b64 v[4:5], s20, v[27:28]
	s_add_u32 s20, s20, 8
	s_addc_u32 s21, s21, 0
	v_or_b32_e32 v18, v4, v18
	s_cmp_lg_u32 s24, s22
	v_or_b32_e32 v19, v5, v19
	s_cbranch_scc1 .LBB8_313
	s_branch .LBB8_316
.LBB8_314:                              ;   in Loop: Header=BB8_279 Depth=1
                                        ; implicit-def: $sgpr15
	s_branch .LBB8_317
.LBB8_315:                              ;   in Loop: Header=BB8_279 Depth=1
	v_mov_b32_e32 v18, 0
	v_mov_b32_e32 v19, 0
.LBB8_316:                              ;   in Loop: Header=BB8_279 Depth=1
	s_mov_b32 s15, 0
	s_cbranch_execnz .LBB8_318
.LBB8_317:                              ;   in Loop: Header=BB8_279 Depth=1
	global_load_dwordx2 v[18:19], v28, s[4:5]
	s_add_i32 s15, s24, -8
	s_add_u32 s4, s4, 8
	s_addc_u32 s5, s5, 0
.LBB8_318:                              ;   in Loop: Header=BB8_279 Depth=1
	s_cmp_gt_u32 s15, 7
	s_cbranch_scc1 .LBB8_322
; %bb.319:                              ;   in Loop: Header=BB8_279 Depth=1
	s_cmp_eq_u32 s15, 0
	s_cbranch_scc1 .LBB8_323
; %bb.320:                              ;   in Loop: Header=BB8_279 Depth=1
	v_mov_b32_e32 v20, 0
	s_mov_b64 s[20:21], 0
	v_mov_b32_e32 v21, 0
	s_mov_b64 s[22:23], 0
.LBB8_321:                              ;   Parent Loop BB8_279 Depth=1
                                        ; =>  This Inner Loop Header: Depth=2
	s_add_u32 s24, s4, s22
	s_addc_u32 s25, s5, s23
	global_load_ubyte v4, v28, s[24:25]
	s_add_u32 s22, s22, 1
	s_addc_u32 s23, s23, 0
	s_waitcnt vmcnt(0)
	v_and_b32_e32 v27, 0xffff, v4
	v_lshlrev_b64 v[4:5], s20, v[27:28]
	s_add_u32 s20, s20, 8
	s_addc_u32 s21, s21, 0
	v_or_b32_e32 v20, v4, v20
	s_cmp_lg_u32 s15, s22
	v_or_b32_e32 v21, v5, v21
	s_cbranch_scc1 .LBB8_321
	s_branch .LBB8_324
.LBB8_322:                              ;   in Loop: Header=BB8_279 Depth=1
                                        ; implicit-def: $vgpr20_vgpr21
                                        ; implicit-def: $sgpr24
	s_branch .LBB8_325
.LBB8_323:                              ;   in Loop: Header=BB8_279 Depth=1
	v_mov_b32_e32 v20, 0
	v_mov_b32_e32 v21, 0
.LBB8_324:                              ;   in Loop: Header=BB8_279 Depth=1
	s_mov_b32 s24, 0
	s_cbranch_execnz .LBB8_326
.LBB8_325:                              ;   in Loop: Header=BB8_279 Depth=1
	global_load_dwordx2 v[20:21], v28, s[4:5]
	s_add_i32 s24, s15, -8
	s_add_u32 s4, s4, 8
	s_addc_u32 s5, s5, 0
.LBB8_326:                              ;   in Loop: Header=BB8_279 Depth=1
	s_cmp_gt_u32 s24, 7
	s_cbranch_scc1 .LBB8_330
; %bb.327:                              ;   in Loop: Header=BB8_279 Depth=1
	s_cmp_eq_u32 s24, 0
	s_cbranch_scc1 .LBB8_331
; %bb.328:                              ;   in Loop: Header=BB8_279 Depth=1
	v_mov_b32_e32 v22, 0
	s_mov_b64 s[20:21], 0
	v_mov_b32_e32 v23, 0
	s_mov_b64 s[22:23], s[4:5]
.LBB8_329:                              ;   Parent Loop BB8_279 Depth=1
                                        ; =>  This Inner Loop Header: Depth=2
	global_load_ubyte v4, v28, s[22:23]
	s_add_i32 s24, s24, -1
	s_waitcnt vmcnt(0)
	v_and_b32_e32 v27, 0xffff, v4
	v_lshlrev_b64 v[4:5], s20, v[27:28]
	s_add_u32 s20, s20, 8
	s_addc_u32 s21, s21, 0
	s_add_u32 s22, s22, 1
	s_addc_u32 s23, s23, 0
	v_or_b32_e32 v22, v4, v22
	s_cmp_lg_u32 s24, 0
	v_or_b32_e32 v23, v5, v23
	s_cbranch_scc1 .LBB8_329
	s_branch .LBB8_332
.LBB8_330:                              ;   in Loop: Header=BB8_279 Depth=1
	s_branch .LBB8_333
.LBB8_331:                              ;   in Loop: Header=BB8_279 Depth=1
	v_mov_b32_e32 v22, 0
	v_mov_b32_e32 v23, 0
.LBB8_332:                              ;   in Loop: Header=BB8_279 Depth=1
	s_cbranch_execnz .LBB8_334
.LBB8_333:                              ;   in Loop: Header=BB8_279 Depth=1
	global_load_dwordx2 v[22:23], v28, s[4:5]
.LBB8_334:                              ;   in Loop: Header=BB8_279 Depth=1
	v_readfirstlane_b32 s4, v51
	s_waitcnt vmcnt(0)
	v_mov_b32_e32 v4, 0
	v_mov_b32_e32 v5, 0
	v_cmp_eq_u32_e64 s[4:5], s4, v51
	s_and_saveexec_b64 s[20:21], s[4:5]
	s_cbranch_execz .LBB8_340
; %bb.335:                              ;   in Loop: Header=BB8_279 Depth=1
	global_load_dwordx2 v[26:27], v28, s[42:43] offset:24 glc
	s_waitcnt vmcnt(0)
	buffer_wbinvl1_vol
	global_load_dwordx2 v[4:5], v28, s[42:43] offset:40
	global_load_dwordx2 v[8:9], v28, s[42:43]
	s_waitcnt vmcnt(1)
	v_and_b32_e32 v4, v4, v26
	v_and_b32_e32 v5, v5, v27
	v_mul_lo_u32 v5, v5, 24
	v_mul_hi_u32 v24, v4, 24
	v_mul_lo_u32 v4, v4, 24
	v_add_u32_e32 v5, v24, v5
	s_waitcnt vmcnt(0)
	v_add_co_u32_e32 v4, vcc, v8, v4
	v_addc_co_u32_e32 v5, vcc, v9, v5, vcc
	global_load_dwordx2 v[24:25], v[4:5], off glc
	s_waitcnt vmcnt(0)
	global_atomic_cmpswap_x2 v[4:5], v28, v[24:27], s[42:43] offset:24 glc
	s_waitcnt vmcnt(0)
	buffer_wbinvl1_vol
	v_cmp_ne_u64_e32 vcc, v[4:5], v[26:27]
	s_and_saveexec_b64 s[22:23], vcc
	s_cbranch_execz .LBB8_339
; %bb.336:                              ;   in Loop: Header=BB8_279 Depth=1
	s_mov_b64 s[24:25], 0
.LBB8_337:                              ;   Parent Loop BB8_279 Depth=1
                                        ; =>  This Inner Loop Header: Depth=2
	s_sleep 1
	global_load_dwordx2 v[8:9], v28, s[42:43] offset:40
	global_load_dwordx2 v[24:25], v28, s[42:43]
	v_mov_b32_e32 v27, v5
	v_mov_b32_e32 v26, v4
	s_waitcnt vmcnt(1)
	v_and_b32_e32 v4, v8, v26
	s_waitcnt vmcnt(0)
	v_mad_u64_u32 v[4:5], s[26:27], v4, 24, v[24:25]
	v_and_b32_e32 v8, v9, v27
	v_mad_u64_u32 v[8:9], s[26:27], v8, 24, v[5:6]
	v_mov_b32_e32 v5, v8
	global_load_dwordx2 v[24:25], v[4:5], off glc
	s_waitcnt vmcnt(0)
	global_atomic_cmpswap_x2 v[4:5], v28, v[24:27], s[42:43] offset:24 glc
	s_waitcnt vmcnt(0)
	buffer_wbinvl1_vol
	v_cmp_eq_u64_e32 vcc, v[4:5], v[26:27]
	s_or_b64 s[24:25], vcc, s[24:25]
	s_andn2_b64 exec, exec, s[24:25]
	s_cbranch_execnz .LBB8_337
; %bb.338:                              ;   in Loop: Header=BB8_279 Depth=1
	s_or_b64 exec, exec, s[24:25]
.LBB8_339:                              ;   in Loop: Header=BB8_279 Depth=1
	s_or_b64 exec, exec, s[22:23]
.LBB8_340:                              ;   in Loop: Header=BB8_279 Depth=1
	s_or_b64 exec, exec, s[20:21]
	global_load_dwordx2 v[8:9], v28, s[42:43] offset:40
	global_load_dwordx4 v[24:27], v28, s[42:43]
	v_readfirstlane_b32 s20, v4
	v_readfirstlane_b32 s21, v5
	s_mov_b64 s[22:23], exec
	s_waitcnt vmcnt(1)
	v_readfirstlane_b32 s24, v8
	v_readfirstlane_b32 s25, v9
	s_and_b64 s[24:25], s[20:21], s[24:25]
	s_mul_i32 s15, s25, 24
	s_mul_hi_u32 s26, s24, 24
	s_mul_i32 s27, s24, 24
	s_add_i32 s15, s26, s15
	v_mov_b32_e32 v4, s15
	s_waitcnt vmcnt(0)
	v_add_co_u32_e32 v29, vcc, s27, v24
	v_addc_co_u32_e32 v30, vcc, v25, v4, vcc
	s_and_saveexec_b64 s[26:27], s[4:5]
	s_cbranch_execz .LBB8_342
; %bb.341:                              ;   in Loop: Header=BB8_279 Depth=1
	v_mov_b32_e32 v4, s22
	v_mov_b32_e32 v5, s23
	global_store_dwordx4 v[29:30], v[4:7], off offset:8
.LBB8_342:                              ;   in Loop: Header=BB8_279 Depth=1
	s_or_b64 exec, exec, s[26:27]
	s_lshl_b64 s[22:23], s[24:25], 12
	v_mov_b32_e32 v4, s23
	v_add_co_u32_e32 v26, vcc, s22, v26
	v_addc_co_u32_e32 v32, vcc, v27, v4, vcc
	v_cmp_gt_u64_e64 vcc, s[16:17], 56
	v_or_b32_e32 v5, v2, v31
	s_lshl_b32 s15, s18, 2
	v_cndmask_b32_e32 v2, v5, v2, vcc
	s_add_i32 s15, s15, 28
	v_or_b32_e32 v4, 0, v3
	s_and_b32 s15, s15, 0x1e0
	v_and_b32_e32 v2, 0xffffff1f, v2
	v_cndmask_b32_e32 v9, v4, v3, vcc
	v_or_b32_e32 v8, s15, v2
	v_readfirstlane_b32 s22, v26
	v_readfirstlane_b32 s23, v32
	s_nop 4
	global_store_dwordx4 v50, v[8:11], s[22:23]
	global_store_dwordx4 v50, v[12:15], s[22:23] offset:16
	global_store_dwordx4 v50, v[16:19], s[22:23] offset:32
	;; [unrolled: 1-line block ×3, first 2 shown]
	s_and_saveexec_b64 s[22:23], s[4:5]
	s_cbranch_execz .LBB8_350
; %bb.343:                              ;   in Loop: Header=BB8_279 Depth=1
	global_load_dwordx2 v[12:13], v28, s[42:43] offset:32 glc
	global_load_dwordx2 v[2:3], v28, s[42:43] offset:40
	v_mov_b32_e32 v10, s20
	v_mov_b32_e32 v11, s21
	s_waitcnt vmcnt(0)
	v_readfirstlane_b32 s24, v2
	v_readfirstlane_b32 s25, v3
	s_and_b64 s[24:25], s[24:25], s[20:21]
	s_mul_i32 s15, s25, 24
	s_mul_hi_u32 s25, s24, 24
	s_mul_i32 s24, s24, 24
	s_add_i32 s15, s25, s15
	v_mov_b32_e32 v2, s15
	v_add_co_u32_e32 v8, vcc, s24, v24
	v_addc_co_u32_e32 v9, vcc, v25, v2, vcc
	global_store_dwordx2 v[8:9], v[12:13], off
	s_waitcnt vmcnt(0)
	global_atomic_cmpswap_x2 v[4:5], v28, v[10:13], s[42:43] offset:32 glc
	s_waitcnt vmcnt(0)
	v_cmp_ne_u64_e32 vcc, v[4:5], v[12:13]
	s_and_saveexec_b64 s[24:25], vcc
	s_cbranch_execz .LBB8_346
; %bb.344:                              ;   in Loop: Header=BB8_279 Depth=1
	s_mov_b64 s[26:27], 0
.LBB8_345:                              ;   Parent Loop BB8_279 Depth=1
                                        ; =>  This Inner Loop Header: Depth=2
	s_sleep 1
	global_store_dwordx2 v[8:9], v[4:5], off
	v_mov_b32_e32 v2, s20
	v_mov_b32_e32 v3, s21
	s_waitcnt vmcnt(0)
	global_atomic_cmpswap_x2 v[2:3], v28, v[2:5], s[42:43] offset:32 glc
	s_waitcnt vmcnt(0)
	v_cmp_eq_u64_e32 vcc, v[2:3], v[4:5]
	v_mov_b32_e32 v5, v3
	s_or_b64 s[26:27], vcc, s[26:27]
	v_mov_b32_e32 v4, v2
	s_andn2_b64 exec, exec, s[26:27]
	s_cbranch_execnz .LBB8_345
.LBB8_346:                              ;   in Loop: Header=BB8_279 Depth=1
	s_or_b64 exec, exec, s[24:25]
	global_load_dwordx2 v[2:3], v28, s[42:43] offset:16
	s_mov_b64 s[26:27], exec
	v_mbcnt_lo_u32_b32 v4, s26, 0
	v_mbcnt_hi_u32_b32 v4, s27, v4
	v_cmp_eq_u32_e32 vcc, 0, v4
	s_and_saveexec_b64 s[24:25], vcc
	s_cbranch_execz .LBB8_348
; %bb.347:                              ;   in Loop: Header=BB8_279 Depth=1
	s_bcnt1_i32_b64 s15, s[26:27]
	v_mov_b32_e32 v27, s15
	s_waitcnt vmcnt(0)
	global_atomic_add_x2 v[2:3], v[27:28], off offset:8
.LBB8_348:                              ;   in Loop: Header=BB8_279 Depth=1
	s_or_b64 exec, exec, s[24:25]
	s_waitcnt vmcnt(0)
	global_load_dwordx2 v[4:5], v[2:3], off offset:16
	s_waitcnt vmcnt(0)
	v_cmp_eq_u64_e32 vcc, 0, v[4:5]
	s_cbranch_vccnz .LBB8_350
; %bb.349:                              ;   in Loop: Header=BB8_279 Depth=1
	global_load_dword v27, v[2:3], off offset:24
	s_waitcnt vmcnt(0)
	v_and_b32_e32 v2, 0xffffff, v27
	v_readfirstlane_b32 m0, v2
	global_store_dwordx2 v[4:5], v[27:28], off
	s_sendmsg sendmsg(MSG_INTERRUPT)
.LBB8_350:                              ;   in Loop: Header=BB8_279 Depth=1
	s_or_b64 exec, exec, s[22:23]
	v_add_co_u32_e32 v2, vcc, v26, v50
	v_addc_co_u32_e32 v3, vcc, 0, v32, vcc
	s_branch .LBB8_354
.LBB8_351:                              ;   in Loop: Header=BB8_354 Depth=2
	s_or_b64 exec, exec, s[22:23]
	v_readfirstlane_b32 s15, v4
	s_cmp_eq_u32 s15, 0
	s_cbranch_scc1 .LBB8_353
; %bb.352:                              ;   in Loop: Header=BB8_354 Depth=2
	s_sleep 1
	s_cbranch_execnz .LBB8_354
	s_branch .LBB8_356
.LBB8_353:                              ;   in Loop: Header=BB8_279 Depth=1
	s_branch .LBB8_356
.LBB8_354:                              ;   Parent Loop BB8_279 Depth=1
                                        ; =>  This Inner Loop Header: Depth=2
	v_mov_b32_e32 v4, 1
	s_and_saveexec_b64 s[22:23], s[4:5]
	s_cbranch_execz .LBB8_351
; %bb.355:                              ;   in Loop: Header=BB8_354 Depth=2
	global_load_dword v4, v[29:30], off offset:20 glc
	s_waitcnt vmcnt(0)
	buffer_wbinvl1_vol
	v_and_b32_e32 v4, 1, v4
	s_branch .LBB8_351
.LBB8_356:                              ;   in Loop: Header=BB8_279 Depth=1
	global_load_dwordx4 v[2:5], v[2:3], off
	s_and_saveexec_b64 s[22:23], s[4:5]
	s_cbranch_execz .LBB8_278
; %bb.357:                              ;   in Loop: Header=BB8_279 Depth=1
	global_load_dwordx2 v[4:5], v28, s[42:43] offset:40
	global_load_dwordx2 v[12:13], v28, s[42:43] offset:24 glc
	global_load_dwordx2 v[14:15], v28, s[42:43]
	v_mov_b32_e32 v9, s21
	s_waitcnt vmcnt(2)
	v_add_co_u32_e32 v10, vcc, 1, v4
	v_addc_co_u32_e32 v11, vcc, 0, v5, vcc
	v_add_co_u32_e32 v8, vcc, s20, v10
	v_addc_co_u32_e32 v9, vcc, v11, v9, vcc
	v_cmp_eq_u64_e32 vcc, 0, v[8:9]
	v_cndmask_b32_e32 v9, v9, v11, vcc
	v_cndmask_b32_e32 v8, v8, v10, vcc
	v_and_b32_e32 v5, v9, v5
	v_and_b32_e32 v4, v8, v4
	v_mul_lo_u32 v5, v5, 24
	v_mul_hi_u32 v11, v4, 24
	v_mul_lo_u32 v4, v4, 24
	s_waitcnt vmcnt(1)
	v_mov_b32_e32 v10, v12
	v_add_u32_e32 v5, v11, v5
	s_waitcnt vmcnt(0)
	v_add_co_u32_e32 v4, vcc, v14, v4
	v_addc_co_u32_e32 v5, vcc, v15, v5, vcc
	global_store_dwordx2 v[4:5], v[12:13], off
	v_mov_b32_e32 v11, v13
	s_waitcnt vmcnt(0)
	global_atomic_cmpswap_x2 v[10:11], v28, v[8:11], s[42:43] offset:24 glc
	s_waitcnt vmcnt(0)
	v_cmp_ne_u64_e32 vcc, v[10:11], v[12:13]
	s_and_b64 exec, exec, vcc
	s_cbranch_execz .LBB8_278
; %bb.358:                              ;   in Loop: Header=BB8_279 Depth=1
	s_mov_b64 s[4:5], 0
.LBB8_359:                              ;   Parent Loop BB8_279 Depth=1
                                        ; =>  This Inner Loop Header: Depth=2
	s_sleep 1
	global_store_dwordx2 v[4:5], v[10:11], off
	s_waitcnt vmcnt(0)
	global_atomic_cmpswap_x2 v[12:13], v28, v[8:11], s[42:43] offset:24 glc
	s_waitcnt vmcnt(0)
	v_cmp_eq_u64_e32 vcc, v[12:13], v[10:11]
	v_mov_b32_e32 v10, v12
	s_or_b64 s[4:5], vcc, s[4:5]
	v_mov_b32_e32 v11, v13
	s_andn2_b64 exec, exec, s[4:5]
	s_cbranch_execnz .LBB8_359
	s_branch .LBB8_278
.LBB8_360:
	s_branch .LBB8_388
.LBB8_361:
                                        ; implicit-def: $vgpr2_vgpr3
	s_cbranch_execz .LBB8_388
; %bb.362:
	v_readfirstlane_b32 s4, v51
	v_mov_b32_e32 v8, 0
	v_mov_b32_e32 v9, 0
	v_cmp_eq_u32_e64 s[4:5], s4, v51
	s_and_saveexec_b64 s[10:11], s[4:5]
	s_cbranch_execz .LBB8_368
; %bb.363:
	s_waitcnt vmcnt(0)
	v_mov_b32_e32 v2, 0
	global_load_dwordx2 v[5:6], v2, s[42:43] offset:24 glc
	s_waitcnt vmcnt(0)
	buffer_wbinvl1_vol
	global_load_dwordx2 v[3:4], v2, s[42:43] offset:40
	global_load_dwordx2 v[7:8], v2, s[42:43]
	s_waitcnt vmcnt(1)
	v_and_b32_e32 v3, v3, v5
	v_and_b32_e32 v4, v4, v6
	v_mul_lo_u32 v4, v4, 24
	v_mul_hi_u32 v9, v3, 24
	v_mul_lo_u32 v3, v3, 24
	v_add_u32_e32 v4, v9, v4
	s_waitcnt vmcnt(0)
	v_add_co_u32_e32 v3, vcc, v7, v3
	v_addc_co_u32_e32 v4, vcc, v8, v4, vcc
	global_load_dwordx2 v[3:4], v[3:4], off glc
	s_waitcnt vmcnt(0)
	global_atomic_cmpswap_x2 v[8:9], v2, v[3:6], s[42:43] offset:24 glc
	s_waitcnt vmcnt(0)
	buffer_wbinvl1_vol
	v_cmp_ne_u64_e32 vcc, v[8:9], v[5:6]
	s_and_saveexec_b64 s[16:17], vcc
	s_cbranch_execz .LBB8_367
; %bb.364:
	s_mov_b64 s[18:19], 0
.LBB8_365:                              ; =>This Inner Loop Header: Depth=1
	s_sleep 1
	global_load_dwordx2 v[3:4], v2, s[42:43] offset:40
	global_load_dwordx2 v[10:11], v2, s[42:43]
	v_mov_b32_e32 v5, v8
	v_mov_b32_e32 v6, v9
	s_waitcnt vmcnt(1)
	v_and_b32_e32 v3, v3, v5
	s_waitcnt vmcnt(0)
	v_mad_u64_u32 v[7:8], s[20:21], v3, 24, v[10:11]
	v_and_b32_e32 v4, v4, v6
	v_mov_b32_e32 v3, v8
	v_mad_u64_u32 v[3:4], s[20:21], v4, 24, v[3:4]
	v_mov_b32_e32 v8, v3
	global_load_dwordx2 v[3:4], v[7:8], off glc
	s_waitcnt vmcnt(0)
	global_atomic_cmpswap_x2 v[8:9], v2, v[3:6], s[42:43] offset:24 glc
	s_waitcnt vmcnt(0)
	buffer_wbinvl1_vol
	v_cmp_eq_u64_e32 vcc, v[8:9], v[5:6]
	s_or_b64 s[18:19], vcc, s[18:19]
	s_andn2_b64 exec, exec, s[18:19]
	s_cbranch_execnz .LBB8_365
; %bb.366:
	s_or_b64 exec, exec, s[18:19]
.LBB8_367:
	s_or_b64 exec, exec, s[16:17]
.LBB8_368:
	s_or_b64 exec, exec, s[10:11]
	s_waitcnt vmcnt(0)
	v_mov_b32_e32 v2, 0
	global_load_dwordx2 v[10:11], v2, s[42:43] offset:40
	global_load_dwordx4 v[4:7], v2, s[42:43]
	v_readfirstlane_b32 s10, v8
	v_readfirstlane_b32 s11, v9
	s_mov_b64 s[16:17], exec
	s_waitcnt vmcnt(1)
	v_readfirstlane_b32 s18, v10
	v_readfirstlane_b32 s19, v11
	s_and_b64 s[18:19], s[10:11], s[18:19]
	s_mul_i32 s15, s19, 24
	s_mul_hi_u32 s20, s18, 24
	s_mul_i32 s21, s18, 24
	s_add_i32 s15, s20, s15
	v_mov_b32_e32 v3, s15
	s_waitcnt vmcnt(0)
	v_add_co_u32_e32 v8, vcc, s21, v4
	v_addc_co_u32_e32 v9, vcc, v5, v3, vcc
	s_and_saveexec_b64 s[20:21], s[4:5]
	s_cbranch_execz .LBB8_370
; %bb.369:
	v_mov_b32_e32 v10, s16
	v_mov_b32_e32 v11, s17
	;; [unrolled: 1-line block ×4, first 2 shown]
	global_store_dwordx4 v[8:9], v[10:13], off offset:8
.LBB8_370:
	s_or_b64 exec, exec, s[20:21]
	s_lshl_b64 s[16:17], s[18:19], 12
	v_mov_b32_e32 v3, s17
	v_add_co_u32_e32 v10, vcc, s16, v6
	v_addc_co_u32_e32 v11, vcc, v7, v3, vcc
	s_movk_i32 s15, 0xff1f
	v_and_or_b32 v0, v0, s15, 32
	s_mov_b32 s16, 0
	v_mov_b32_e32 v3, v2
	v_readfirstlane_b32 s20, v10
	v_readfirstlane_b32 s21, v11
	v_add_co_u32_e32 v6, vcc, v10, v50
	s_mov_b32 s17, s16
	s_mov_b32 s18, s16
	;; [unrolled: 1-line block ×3, first 2 shown]
	s_nop 0
	global_store_dwordx4 v50, v[0:3], s[20:21]
	v_addc_co_u32_e32 v7, vcc, 0, v11, vcc
	v_mov_b32_e32 v0, s16
	v_mov_b32_e32 v1, s17
	;; [unrolled: 1-line block ×4, first 2 shown]
	global_store_dwordx4 v50, v[0:3], s[20:21] offset:16
	global_store_dwordx4 v50, v[0:3], s[20:21] offset:32
	;; [unrolled: 1-line block ×3, first 2 shown]
	s_and_saveexec_b64 s[16:17], s[4:5]
	s_cbranch_execz .LBB8_378
; %bb.371:
	v_mov_b32_e32 v10, 0
	global_load_dwordx2 v[13:14], v10, s[42:43] offset:32 glc
	global_load_dwordx2 v[0:1], v10, s[42:43] offset:40
	v_mov_b32_e32 v11, s10
	v_mov_b32_e32 v12, s11
	s_waitcnt vmcnt(0)
	v_readfirstlane_b32 s18, v0
	v_readfirstlane_b32 s19, v1
	s_and_b64 s[18:19], s[18:19], s[10:11]
	s_mul_i32 s15, s19, 24
	s_mul_hi_u32 s19, s18, 24
	s_mul_i32 s18, s18, 24
	s_add_i32 s15, s19, s15
	v_mov_b32_e32 v0, s15
	v_add_co_u32_e32 v4, vcc, s18, v4
	v_addc_co_u32_e32 v5, vcc, v5, v0, vcc
	global_store_dwordx2 v[4:5], v[13:14], off
	s_waitcnt vmcnt(0)
	global_atomic_cmpswap_x2 v[2:3], v10, v[11:14], s[42:43] offset:32 glc
	s_waitcnt vmcnt(0)
	v_cmp_ne_u64_e32 vcc, v[2:3], v[13:14]
	s_and_saveexec_b64 s[18:19], vcc
	s_cbranch_execz .LBB8_374
; %bb.372:
	s_mov_b64 s[20:21], 0
.LBB8_373:                              ; =>This Inner Loop Header: Depth=1
	s_sleep 1
	global_store_dwordx2 v[4:5], v[2:3], off
	v_mov_b32_e32 v0, s10
	v_mov_b32_e32 v1, s11
	s_waitcnt vmcnt(0)
	global_atomic_cmpswap_x2 v[0:1], v10, v[0:3], s[42:43] offset:32 glc
	s_waitcnt vmcnt(0)
	v_cmp_eq_u64_e32 vcc, v[0:1], v[2:3]
	v_mov_b32_e32 v3, v1
	s_or_b64 s[20:21], vcc, s[20:21]
	v_mov_b32_e32 v2, v0
	s_andn2_b64 exec, exec, s[20:21]
	s_cbranch_execnz .LBB8_373
.LBB8_374:
	s_or_b64 exec, exec, s[18:19]
	v_mov_b32_e32 v3, 0
	global_load_dwordx2 v[0:1], v3, s[42:43] offset:16
	s_mov_b64 s[18:19], exec
	v_mbcnt_lo_u32_b32 v2, s18, 0
	v_mbcnt_hi_u32_b32 v2, s19, v2
	v_cmp_eq_u32_e32 vcc, 0, v2
	s_and_saveexec_b64 s[20:21], vcc
	s_cbranch_execz .LBB8_376
; %bb.375:
	s_bcnt1_i32_b64 s15, s[18:19]
	v_mov_b32_e32 v2, s15
	s_waitcnt vmcnt(0)
	global_atomic_add_x2 v[0:1], v[2:3], off offset:8
.LBB8_376:
	s_or_b64 exec, exec, s[20:21]
	s_waitcnt vmcnt(0)
	global_load_dwordx2 v[2:3], v[0:1], off offset:16
	s_waitcnt vmcnt(0)
	v_cmp_eq_u64_e32 vcc, 0, v[2:3]
	s_cbranch_vccnz .LBB8_378
; %bb.377:
	global_load_dword v0, v[0:1], off offset:24
	v_mov_b32_e32 v1, 0
	s_waitcnt vmcnt(0)
	global_store_dwordx2 v[2:3], v[0:1], off
	v_and_b32_e32 v0, 0xffffff, v0
	v_readfirstlane_b32 m0, v0
	s_sendmsg sendmsg(MSG_INTERRUPT)
.LBB8_378:
	s_or_b64 exec, exec, s[16:17]
	s_branch .LBB8_382
.LBB8_379:                              ;   in Loop: Header=BB8_382 Depth=1
	s_or_b64 exec, exec, s[16:17]
	v_readfirstlane_b32 s15, v0
	s_cmp_eq_u32 s15, 0
	s_cbranch_scc1 .LBB8_381
; %bb.380:                              ;   in Loop: Header=BB8_382 Depth=1
	s_sleep 1
	s_cbranch_execnz .LBB8_382
	s_branch .LBB8_384
.LBB8_381:
	s_branch .LBB8_384
.LBB8_382:                              ; =>This Inner Loop Header: Depth=1
	v_mov_b32_e32 v0, 1
	s_and_saveexec_b64 s[16:17], s[4:5]
	s_cbranch_execz .LBB8_379
; %bb.383:                              ;   in Loop: Header=BB8_382 Depth=1
	global_load_dword v0, v[8:9], off offset:20 glc
	s_waitcnt vmcnt(0)
	buffer_wbinvl1_vol
	v_and_b32_e32 v0, 1, v0
	s_branch .LBB8_379
.LBB8_384:
	global_load_dwordx2 v[2:3], v[6:7], off
	s_and_saveexec_b64 s[16:17], s[4:5]
	s_cbranch_execz .LBB8_387
; %bb.385:
	v_mov_b32_e32 v8, 0
	global_load_dwordx2 v[0:1], v8, s[42:43] offset:40
	global_load_dwordx2 v[9:10], v8, s[42:43] offset:24 glc
	global_load_dwordx2 v[11:12], v8, s[42:43]
	v_mov_b32_e32 v5, s11
	s_mov_b64 s[4:5], 0
	s_waitcnt vmcnt(2)
	v_add_co_u32_e32 v6, vcc, 1, v0
	v_addc_co_u32_e32 v7, vcc, 0, v1, vcc
	v_add_co_u32_e32 v4, vcc, s10, v6
	v_addc_co_u32_e32 v5, vcc, v7, v5, vcc
	v_cmp_eq_u64_e32 vcc, 0, v[4:5]
	v_cndmask_b32_e32 v5, v5, v7, vcc
	v_cndmask_b32_e32 v4, v4, v6, vcc
	v_and_b32_e32 v1, v5, v1
	v_and_b32_e32 v0, v4, v0
	v_mul_lo_u32 v1, v1, 24
	v_mul_hi_u32 v7, v0, 24
	v_mul_lo_u32 v0, v0, 24
	s_waitcnt vmcnt(1)
	v_mov_b32_e32 v6, v9
	v_add_u32_e32 v1, v7, v1
	s_waitcnt vmcnt(0)
	v_add_co_u32_e32 v0, vcc, v11, v0
	v_addc_co_u32_e32 v1, vcc, v12, v1, vcc
	global_store_dwordx2 v[0:1], v[9:10], off
	v_mov_b32_e32 v7, v10
	s_waitcnt vmcnt(0)
	global_atomic_cmpswap_x2 v[6:7], v8, v[4:7], s[42:43] offset:24 glc
	s_waitcnt vmcnt(0)
	v_cmp_ne_u64_e32 vcc, v[6:7], v[9:10]
	s_and_b64 exec, exec, vcc
	s_cbranch_execz .LBB8_387
.LBB8_386:                              ; =>This Inner Loop Header: Depth=1
	s_sleep 1
	global_store_dwordx2 v[0:1], v[6:7], off
	s_waitcnt vmcnt(0)
	global_atomic_cmpswap_x2 v[9:10], v8, v[4:7], s[42:43] offset:24 glc
	s_waitcnt vmcnt(0)
	v_cmp_eq_u64_e32 vcc, v[9:10], v[6:7]
	v_mov_b32_e32 v6, v9
	s_or_b64 s[4:5], vcc, s[4:5]
	v_mov_b32_e32 v7, v10
	s_andn2_b64 exec, exec, s[4:5]
	s_cbranch_execnz .LBB8_386
.LBB8_387:
	s_or_b64 exec, exec, s[16:17]
.LBB8_388:
	v_readfirstlane_b32 s4, v51
	s_waitcnt vmcnt(0)
	v_mov_b32_e32 v0, 0
	v_mov_b32_e32 v1, 0
	v_cmp_eq_u32_e64 s[4:5], s4, v51
	s_and_saveexec_b64 s[10:11], s[4:5]
	s_cbranch_execz .LBB8_394
; %bb.389:
	v_mov_b32_e32 v4, 0
	global_load_dwordx2 v[7:8], v4, s[42:43] offset:24 glc
	s_waitcnt vmcnt(0)
	buffer_wbinvl1_vol
	global_load_dwordx2 v[0:1], v4, s[42:43] offset:40
	global_load_dwordx2 v[5:6], v4, s[42:43]
	s_waitcnt vmcnt(1)
	v_and_b32_e32 v0, v0, v7
	v_and_b32_e32 v1, v1, v8
	v_mul_lo_u32 v1, v1, 24
	v_mul_hi_u32 v9, v0, 24
	v_mul_lo_u32 v0, v0, 24
	v_add_u32_e32 v1, v9, v1
	s_waitcnt vmcnt(0)
	v_add_co_u32_e32 v0, vcc, v5, v0
	v_addc_co_u32_e32 v1, vcc, v6, v1, vcc
	global_load_dwordx2 v[5:6], v[0:1], off glc
	s_waitcnt vmcnt(0)
	global_atomic_cmpswap_x2 v[0:1], v4, v[5:8], s[42:43] offset:24 glc
	s_waitcnt vmcnt(0)
	buffer_wbinvl1_vol
	v_cmp_ne_u64_e32 vcc, v[0:1], v[7:8]
	s_and_saveexec_b64 s[16:17], vcc
	s_cbranch_execz .LBB8_393
; %bb.390:
	s_mov_b64 s[18:19], 0
.LBB8_391:                              ; =>This Inner Loop Header: Depth=1
	s_sleep 1
	global_load_dwordx2 v[5:6], v4, s[42:43] offset:40
	global_load_dwordx2 v[9:10], v4, s[42:43]
	v_mov_b32_e32 v8, v1
	v_mov_b32_e32 v7, v0
	s_waitcnt vmcnt(1)
	v_and_b32_e32 v0, v5, v7
	s_waitcnt vmcnt(0)
	v_mad_u64_u32 v[0:1], s[20:21], v0, 24, v[9:10]
	v_and_b32_e32 v5, v6, v8
	v_mad_u64_u32 v[5:6], s[20:21], v5, 24, v[1:2]
	v_mov_b32_e32 v1, v5
	global_load_dwordx2 v[5:6], v[0:1], off glc
	s_waitcnt vmcnt(0)
	global_atomic_cmpswap_x2 v[0:1], v4, v[5:8], s[42:43] offset:24 glc
	s_waitcnt vmcnt(0)
	buffer_wbinvl1_vol
	v_cmp_eq_u64_e32 vcc, v[0:1], v[7:8]
	s_or_b64 s[18:19], vcc, s[18:19]
	s_andn2_b64 exec, exec, s[18:19]
	s_cbranch_execnz .LBB8_391
; %bb.392:
	s_or_b64 exec, exec, s[18:19]
.LBB8_393:
	s_or_b64 exec, exec, s[16:17]
.LBB8_394:
	s_or_b64 exec, exec, s[10:11]
	v_mov_b32_e32 v5, 0
	global_load_dwordx2 v[10:11], v5, s[42:43] offset:40
	global_load_dwordx4 v[6:9], v5, s[42:43]
	v_readfirstlane_b32 s10, v0
	v_readfirstlane_b32 s11, v1
	s_mov_b64 s[16:17], exec
	s_waitcnt vmcnt(1)
	v_readfirstlane_b32 s18, v10
	v_readfirstlane_b32 s19, v11
	s_and_b64 s[18:19], s[10:11], s[18:19]
	s_mul_i32 s15, s19, 24
	s_mul_hi_u32 s20, s18, 24
	s_mul_i32 s21, s18, 24
	s_add_i32 s15, s20, s15
	v_mov_b32_e32 v0, s15
	s_waitcnt vmcnt(0)
	v_add_co_u32_e32 v10, vcc, s21, v6
	v_addc_co_u32_e32 v11, vcc, v7, v0, vcc
	s_and_saveexec_b64 s[20:21], s[4:5]
	s_cbranch_execz .LBB8_396
; %bb.395:
	v_mov_b32_e32 v12, s16
	v_mov_b32_e32 v13, s17
	v_mov_b32_e32 v14, 2
	v_mov_b32_e32 v15, 1
	global_store_dwordx4 v[10:11], v[12:15], off offset:8
.LBB8_396:
	s_or_b64 exec, exec, s[20:21]
	s_lshl_b64 s[16:17], s[18:19], 12
	v_mov_b32_e32 v0, s17
	v_add_co_u32_e32 v1, vcc, s16, v8
	v_addc_co_u32_e32 v0, vcc, v9, v0, vcc
	s_movk_i32 s15, 0xff1d
	v_and_or_b32 v2, v2, s15, 34
	s_mov_b32 s16, 0
	v_mov_b32_e32 v4, 10
	v_readfirstlane_b32 s20, v1
	v_readfirstlane_b32 s21, v0
	s_mov_b32 s17, s16
	s_mov_b32 s18, s16
	;; [unrolled: 1-line block ×3, first 2 shown]
	s_nop 1
	global_store_dwordx4 v50, v[2:5], s[20:21]
	v_mov_b32_e32 v0, s16
	v_mov_b32_e32 v1, s17
	;; [unrolled: 1-line block ×4, first 2 shown]
	global_store_dwordx4 v50, v[0:3], s[20:21] offset:16
	global_store_dwordx4 v50, v[0:3], s[20:21] offset:32
	;; [unrolled: 1-line block ×3, first 2 shown]
	s_and_saveexec_b64 s[16:17], s[4:5]
	s_cbranch_execz .LBB8_404
; %bb.397:
	v_mov_b32_e32 v8, 0
	global_load_dwordx2 v[14:15], v8, s[42:43] offset:32 glc
	global_load_dwordx2 v[0:1], v8, s[42:43] offset:40
	v_mov_b32_e32 v12, s10
	v_mov_b32_e32 v13, s11
	s_waitcnt vmcnt(0)
	v_readfirstlane_b32 s18, v0
	v_readfirstlane_b32 s19, v1
	s_and_b64 s[18:19], s[18:19], s[10:11]
	s_mul_i32 s15, s19, 24
	s_mul_hi_u32 s19, s18, 24
	s_mul_i32 s18, s18, 24
	s_add_i32 s15, s19, s15
	v_mov_b32_e32 v0, s15
	v_add_co_u32_e32 v4, vcc, s18, v6
	v_addc_co_u32_e32 v5, vcc, v7, v0, vcc
	global_store_dwordx2 v[4:5], v[14:15], off
	s_waitcnt vmcnt(0)
	global_atomic_cmpswap_x2 v[2:3], v8, v[12:15], s[42:43] offset:32 glc
	s_waitcnt vmcnt(0)
	v_cmp_ne_u64_e32 vcc, v[2:3], v[14:15]
	s_and_saveexec_b64 s[18:19], vcc
	s_cbranch_execz .LBB8_400
; %bb.398:
	s_mov_b64 s[20:21], 0
.LBB8_399:                              ; =>This Inner Loop Header: Depth=1
	s_sleep 1
	global_store_dwordx2 v[4:5], v[2:3], off
	v_mov_b32_e32 v0, s10
	v_mov_b32_e32 v1, s11
	s_waitcnt vmcnt(0)
	global_atomic_cmpswap_x2 v[0:1], v8, v[0:3], s[42:43] offset:32 glc
	s_waitcnt vmcnt(0)
	v_cmp_eq_u64_e32 vcc, v[0:1], v[2:3]
	v_mov_b32_e32 v3, v1
	s_or_b64 s[20:21], vcc, s[20:21]
	v_mov_b32_e32 v2, v0
	s_andn2_b64 exec, exec, s[20:21]
	s_cbranch_execnz .LBB8_399
.LBB8_400:
	s_or_b64 exec, exec, s[18:19]
	v_mov_b32_e32 v3, 0
	global_load_dwordx2 v[0:1], v3, s[42:43] offset:16
	s_mov_b64 s[18:19], exec
	v_mbcnt_lo_u32_b32 v2, s18, 0
	v_mbcnt_hi_u32_b32 v2, s19, v2
	v_cmp_eq_u32_e32 vcc, 0, v2
	s_and_saveexec_b64 s[20:21], vcc
	s_cbranch_execz .LBB8_402
; %bb.401:
	s_bcnt1_i32_b64 s15, s[18:19]
	v_mov_b32_e32 v2, s15
	s_waitcnt vmcnt(0)
	global_atomic_add_x2 v[0:1], v[2:3], off offset:8
.LBB8_402:
	s_or_b64 exec, exec, s[20:21]
	s_waitcnt vmcnt(0)
	global_load_dwordx2 v[2:3], v[0:1], off offset:16
	s_waitcnt vmcnt(0)
	v_cmp_eq_u64_e32 vcc, 0, v[2:3]
	s_cbranch_vccnz .LBB8_404
; %bb.403:
	global_load_dword v0, v[0:1], off offset:24
	v_mov_b32_e32 v1, 0
	s_waitcnt vmcnt(0)
	global_store_dwordx2 v[2:3], v[0:1], off
	v_and_b32_e32 v0, 0xffffff, v0
	v_readfirstlane_b32 m0, v0
	s_sendmsg sendmsg(MSG_INTERRUPT)
.LBB8_404:
	s_or_b64 exec, exec, s[16:17]
	s_branch .LBB8_408
.LBB8_405:                              ;   in Loop: Header=BB8_408 Depth=1
	s_or_b64 exec, exec, s[16:17]
	v_readfirstlane_b32 s15, v0
	s_cmp_eq_u32 s15, 0
	s_cbranch_scc1 .LBB8_407
; %bb.406:                              ;   in Loop: Header=BB8_408 Depth=1
	s_sleep 1
	s_cbranch_execnz .LBB8_408
	s_branch .LBB8_410
.LBB8_407:
	s_branch .LBB8_410
.LBB8_408:                              ; =>This Inner Loop Header: Depth=1
	v_mov_b32_e32 v0, 1
	s_and_saveexec_b64 s[16:17], s[4:5]
	s_cbranch_execz .LBB8_405
; %bb.409:                              ;   in Loop: Header=BB8_408 Depth=1
	global_load_dword v0, v[10:11], off offset:20 glc
	s_waitcnt vmcnt(0)
	buffer_wbinvl1_vol
	v_and_b32_e32 v0, 1, v0
	s_branch .LBB8_405
.LBB8_410:
	s_and_saveexec_b64 s[16:17], s[4:5]
	s_cbranch_execz .LBB8_413
; %bb.411:
	v_mov_b32_e32 v6, 0
	global_load_dwordx2 v[2:3], v6, s[42:43] offset:40
	global_load_dwordx2 v[7:8], v6, s[42:43] offset:24 glc
	global_load_dwordx2 v[4:5], v6, s[42:43]
	v_mov_b32_e32 v1, s11
	s_mov_b64 s[4:5], 0
	s_waitcnt vmcnt(2)
	v_add_co_u32_e32 v9, vcc, 1, v2
	v_addc_co_u32_e32 v10, vcc, 0, v3, vcc
	v_add_co_u32_e32 v0, vcc, s10, v9
	v_addc_co_u32_e32 v1, vcc, v10, v1, vcc
	v_cmp_eq_u64_e32 vcc, 0, v[0:1]
	v_cndmask_b32_e32 v1, v1, v10, vcc
	v_cndmask_b32_e32 v0, v0, v9, vcc
	v_and_b32_e32 v3, v1, v3
	v_and_b32_e32 v2, v0, v2
	v_mul_lo_u32 v3, v3, 24
	v_mul_hi_u32 v9, v2, 24
	v_mul_lo_u32 v10, v2, 24
	s_waitcnt vmcnt(1)
	v_mov_b32_e32 v2, v7
	v_add_u32_e32 v3, v9, v3
	s_waitcnt vmcnt(0)
	v_add_co_u32_e32 v4, vcc, v4, v10
	v_addc_co_u32_e32 v5, vcc, v5, v3, vcc
	global_store_dwordx2 v[4:5], v[7:8], off
	v_mov_b32_e32 v3, v8
	s_waitcnt vmcnt(0)
	global_atomic_cmpswap_x2 v[2:3], v6, v[0:3], s[42:43] offset:24 glc
	s_waitcnt vmcnt(0)
	v_cmp_ne_u64_e32 vcc, v[2:3], v[7:8]
	s_and_b64 exec, exec, vcc
	s_cbranch_execz .LBB8_413
.LBB8_412:                              ; =>This Inner Loop Header: Depth=1
	s_sleep 1
	global_store_dwordx2 v[4:5], v[2:3], off
	s_waitcnt vmcnt(0)
	global_atomic_cmpswap_x2 v[7:8], v6, v[0:3], s[42:43] offset:24 glc
	s_waitcnt vmcnt(0)
	v_cmp_eq_u64_e32 vcc, v[7:8], v[2:3]
	v_mov_b32_e32 v2, v7
	s_or_b64 s[4:5], vcc, s[4:5]
	v_mov_b32_e32 v3, v8
	s_andn2_b64 exec, exec, s[4:5]
	s_cbranch_execnz .LBB8_412
.LBB8_413:
	s_or_b64 exec, exec, s[16:17]
	v_readfirstlane_b32 s4, v51
	v_mov_b32_e32 v5, 0
	v_mov_b32_e32 v6, 0
	v_cmp_eq_u32_e64 s[4:5], s4, v51
	s_and_saveexec_b64 s[10:11], s[4:5]
	s_cbranch_execz .LBB8_419
; %bb.414:
	v_mov_b32_e32 v0, 0
	global_load_dwordx2 v[3:4], v0, s[42:43] offset:24 glc
	s_waitcnt vmcnt(0)
	buffer_wbinvl1_vol
	global_load_dwordx2 v[1:2], v0, s[42:43] offset:40
	global_load_dwordx2 v[5:6], v0, s[42:43]
	s_waitcnt vmcnt(1)
	v_and_b32_e32 v1, v1, v3
	v_and_b32_e32 v2, v2, v4
	v_mul_lo_u32 v2, v2, 24
	v_mul_hi_u32 v7, v1, 24
	v_mul_lo_u32 v1, v1, 24
	v_add_u32_e32 v2, v7, v2
	s_waitcnt vmcnt(0)
	v_add_co_u32_e32 v1, vcc, v5, v1
	v_addc_co_u32_e32 v2, vcc, v6, v2, vcc
	global_load_dwordx2 v[1:2], v[1:2], off glc
	s_waitcnt vmcnt(0)
	global_atomic_cmpswap_x2 v[5:6], v0, v[1:4], s[42:43] offset:24 glc
	s_waitcnt vmcnt(0)
	buffer_wbinvl1_vol
	v_cmp_ne_u64_e32 vcc, v[5:6], v[3:4]
	s_and_saveexec_b64 s[16:17], vcc
	s_cbranch_execz .LBB8_418
; %bb.415:
	s_mov_b64 s[18:19], 0
.LBB8_416:                              ; =>This Inner Loop Header: Depth=1
	s_sleep 1
	global_load_dwordx2 v[1:2], v0, s[42:43] offset:40
	global_load_dwordx2 v[7:8], v0, s[42:43]
	v_mov_b32_e32 v3, v5
	v_mov_b32_e32 v4, v6
	s_waitcnt vmcnt(1)
	v_and_b32_e32 v1, v1, v3
	s_waitcnt vmcnt(0)
	v_mad_u64_u32 v[5:6], s[20:21], v1, 24, v[7:8]
	v_and_b32_e32 v2, v2, v4
	v_mov_b32_e32 v1, v6
	v_mad_u64_u32 v[1:2], s[20:21], v2, 24, v[1:2]
	v_mov_b32_e32 v6, v1
	global_load_dwordx2 v[1:2], v[5:6], off glc
	s_waitcnt vmcnt(0)
	global_atomic_cmpswap_x2 v[5:6], v0, v[1:4], s[42:43] offset:24 glc
	s_waitcnt vmcnt(0)
	buffer_wbinvl1_vol
	v_cmp_eq_u64_e32 vcc, v[5:6], v[3:4]
	s_or_b64 s[18:19], vcc, s[18:19]
	s_andn2_b64 exec, exec, s[18:19]
	s_cbranch_execnz .LBB8_416
; %bb.417:
	s_or_b64 exec, exec, s[18:19]
.LBB8_418:
	s_or_b64 exec, exec, s[16:17]
.LBB8_419:
	s_or_b64 exec, exec, s[10:11]
	v_mov_b32_e32 v4, 0
	global_load_dwordx2 v[7:8], v4, s[42:43] offset:40
	global_load_dwordx4 v[0:3], v4, s[42:43]
	v_readfirstlane_b32 s10, v5
	v_readfirstlane_b32 s11, v6
	s_mov_b64 s[16:17], exec
	s_waitcnt vmcnt(1)
	v_readfirstlane_b32 s18, v7
	v_readfirstlane_b32 s19, v8
	s_and_b64 s[18:19], s[10:11], s[18:19]
	s_mul_i32 s15, s19, 24
	s_mul_hi_u32 s20, s18, 24
	s_mul_i32 s21, s18, 24
	s_add_i32 s15, s20, s15
	v_mov_b32_e32 v5, s15
	s_waitcnt vmcnt(0)
	v_add_co_u32_e32 v7, vcc, s21, v0
	v_addc_co_u32_e32 v8, vcc, v1, v5, vcc
	s_and_saveexec_b64 s[20:21], s[4:5]
	s_cbranch_execz .LBB8_421
; %bb.420:
	v_mov_b32_e32 v9, s16
	v_mov_b32_e32 v10, s17
	;; [unrolled: 1-line block ×4, first 2 shown]
	global_store_dwordx4 v[7:8], v[9:12], off offset:8
.LBB8_421:
	s_or_b64 exec, exec, s[20:21]
	s_lshl_b64 s[16:17], s[18:19], 12
	v_mov_b32_e32 v5, s17
	v_add_co_u32_e32 v2, vcc, s16, v2
	v_addc_co_u32_e32 v11, vcc, v3, v5, vcc
	s_mov_b32 s16, 0
	v_mov_b32_e32 v3, 33
	v_mov_b32_e32 v5, v4
	;; [unrolled: 1-line block ×3, first 2 shown]
	v_readfirstlane_b32 s20, v2
	v_readfirstlane_b32 s21, v11
	v_add_co_u32_e32 v9, vcc, v2, v50
	s_mov_b32 s17, s16
	s_mov_b32 s18, s16
	;; [unrolled: 1-line block ×3, first 2 shown]
	s_nop 0
	global_store_dwordx4 v50, v[3:6], s[20:21]
	v_mov_b32_e32 v2, s16
	v_addc_co_u32_e32 v10, vcc, 0, v11, vcc
	v_mov_b32_e32 v3, s17
	v_mov_b32_e32 v4, s18
	;; [unrolled: 1-line block ×3, first 2 shown]
	global_store_dwordx4 v50, v[2:5], s[20:21] offset:16
	global_store_dwordx4 v50, v[2:5], s[20:21] offset:32
	;; [unrolled: 1-line block ×3, first 2 shown]
	s_and_saveexec_b64 s[16:17], s[4:5]
	s_cbranch_execz .LBB8_429
; %bb.422:
	v_mov_b32_e32 v6, 0
	global_load_dwordx2 v[13:14], v6, s[42:43] offset:32 glc
	global_load_dwordx2 v[2:3], v6, s[42:43] offset:40
	v_mov_b32_e32 v11, s10
	v_mov_b32_e32 v12, s11
	s_waitcnt vmcnt(0)
	v_readfirstlane_b32 s18, v2
	v_readfirstlane_b32 s19, v3
	s_and_b64 s[18:19], s[18:19], s[10:11]
	s_mul_i32 s15, s19, 24
	s_mul_hi_u32 s19, s18, 24
	s_mul_i32 s18, s18, 24
	s_add_i32 s15, s19, s15
	v_mov_b32_e32 v2, s15
	v_add_co_u32_e32 v4, vcc, s18, v0
	v_addc_co_u32_e32 v5, vcc, v1, v2, vcc
	global_store_dwordx2 v[4:5], v[13:14], off
	s_waitcnt vmcnt(0)
	global_atomic_cmpswap_x2 v[2:3], v6, v[11:14], s[42:43] offset:32 glc
	s_waitcnt vmcnt(0)
	v_cmp_ne_u64_e32 vcc, v[2:3], v[13:14]
	s_and_saveexec_b64 s[18:19], vcc
	s_cbranch_execz .LBB8_425
; %bb.423:
	s_mov_b64 s[20:21], 0
.LBB8_424:                              ; =>This Inner Loop Header: Depth=1
	s_sleep 1
	global_store_dwordx2 v[4:5], v[2:3], off
	v_mov_b32_e32 v0, s10
	v_mov_b32_e32 v1, s11
	s_waitcnt vmcnt(0)
	global_atomic_cmpswap_x2 v[0:1], v6, v[0:3], s[42:43] offset:32 glc
	s_waitcnt vmcnt(0)
	v_cmp_eq_u64_e32 vcc, v[0:1], v[2:3]
	v_mov_b32_e32 v3, v1
	s_or_b64 s[20:21], vcc, s[20:21]
	v_mov_b32_e32 v2, v0
	s_andn2_b64 exec, exec, s[20:21]
	s_cbranch_execnz .LBB8_424
.LBB8_425:
	s_or_b64 exec, exec, s[18:19]
	v_mov_b32_e32 v3, 0
	global_load_dwordx2 v[0:1], v3, s[42:43] offset:16
	s_mov_b64 s[18:19], exec
	v_mbcnt_lo_u32_b32 v2, s18, 0
	v_mbcnt_hi_u32_b32 v2, s19, v2
	v_cmp_eq_u32_e32 vcc, 0, v2
	s_and_saveexec_b64 s[20:21], vcc
	s_cbranch_execz .LBB8_427
; %bb.426:
	s_bcnt1_i32_b64 s15, s[18:19]
	v_mov_b32_e32 v2, s15
	s_waitcnt vmcnt(0)
	global_atomic_add_x2 v[0:1], v[2:3], off offset:8
.LBB8_427:
	s_or_b64 exec, exec, s[20:21]
	s_waitcnt vmcnt(0)
	global_load_dwordx2 v[2:3], v[0:1], off offset:16
	s_waitcnt vmcnt(0)
	v_cmp_eq_u64_e32 vcc, 0, v[2:3]
	s_cbranch_vccnz .LBB8_429
; %bb.428:
	global_load_dword v0, v[0:1], off offset:24
	v_mov_b32_e32 v1, 0
	s_waitcnt vmcnt(0)
	global_store_dwordx2 v[2:3], v[0:1], off
	v_and_b32_e32 v0, 0xffffff, v0
	v_readfirstlane_b32 m0, v0
	s_sendmsg sendmsg(MSG_INTERRUPT)
.LBB8_429:
	s_or_b64 exec, exec, s[16:17]
	s_branch .LBB8_433
.LBB8_430:                              ;   in Loop: Header=BB8_433 Depth=1
	s_or_b64 exec, exec, s[16:17]
	v_readfirstlane_b32 s15, v0
	s_cmp_eq_u32 s15, 0
	s_cbranch_scc1 .LBB8_432
; %bb.431:                              ;   in Loop: Header=BB8_433 Depth=1
	s_sleep 1
	s_cbranch_execnz .LBB8_433
	s_branch .LBB8_435
.LBB8_432:
	s_branch .LBB8_435
.LBB8_433:                              ; =>This Inner Loop Header: Depth=1
	v_mov_b32_e32 v0, 1
	s_and_saveexec_b64 s[16:17], s[4:5]
	s_cbranch_execz .LBB8_430
; %bb.434:                              ;   in Loop: Header=BB8_433 Depth=1
	global_load_dword v0, v[7:8], off offset:20 glc
	s_waitcnt vmcnt(0)
	buffer_wbinvl1_vol
	v_and_b32_e32 v0, 1, v0
	s_branch .LBB8_430
.LBB8_435:
	global_load_dwordx2 v[4:5], v[9:10], off
	s_and_saveexec_b64 s[16:17], s[4:5]
	s_cbranch_execz .LBB8_438
; %bb.436:
	v_mov_b32_e32 v8, 0
	global_load_dwordx2 v[2:3], v8, s[42:43] offset:40
	global_load_dwordx2 v[9:10], v8, s[42:43] offset:24 glc
	global_load_dwordx2 v[6:7], v8, s[42:43]
	v_mov_b32_e32 v1, s11
	s_mov_b64 s[4:5], 0
	s_waitcnt vmcnt(2)
	v_add_co_u32_e32 v11, vcc, 1, v2
	v_addc_co_u32_e32 v12, vcc, 0, v3, vcc
	v_add_co_u32_e32 v0, vcc, s10, v11
	v_addc_co_u32_e32 v1, vcc, v12, v1, vcc
	v_cmp_eq_u64_e32 vcc, 0, v[0:1]
	v_cndmask_b32_e32 v1, v1, v12, vcc
	v_cndmask_b32_e32 v0, v0, v11, vcc
	v_and_b32_e32 v3, v1, v3
	v_and_b32_e32 v2, v0, v2
	v_mul_lo_u32 v3, v3, 24
	v_mul_hi_u32 v11, v2, 24
	v_mul_lo_u32 v12, v2, 24
	s_waitcnt vmcnt(1)
	v_mov_b32_e32 v2, v9
	v_add_u32_e32 v3, v11, v3
	s_waitcnt vmcnt(0)
	v_add_co_u32_e32 v6, vcc, v6, v12
	v_addc_co_u32_e32 v7, vcc, v7, v3, vcc
	global_store_dwordx2 v[6:7], v[9:10], off
	v_mov_b32_e32 v3, v10
	s_waitcnt vmcnt(0)
	global_atomic_cmpswap_x2 v[2:3], v8, v[0:3], s[42:43] offset:24 glc
	s_waitcnt vmcnt(0)
	v_cmp_ne_u64_e32 vcc, v[2:3], v[9:10]
	s_and_b64 exec, exec, vcc
	s_cbranch_execz .LBB8_438
.LBB8_437:                              ; =>This Inner Loop Header: Depth=1
	s_sleep 1
	global_store_dwordx2 v[6:7], v[2:3], off
	s_waitcnt vmcnt(0)
	global_atomic_cmpswap_x2 v[9:10], v8, v[0:3], s[42:43] offset:24 glc
	s_waitcnt vmcnt(0)
	v_cmp_eq_u64_e32 vcc, v[9:10], v[2:3]
	v_mov_b32_e32 v2, v9
	s_or_b64 s[4:5], vcc, s[4:5]
	v_mov_b32_e32 v3, v10
	s_andn2_b64 exec, exec, s[4:5]
	s_cbranch_execnz .LBB8_437
.LBB8_438:
	s_or_b64 exec, exec, s[16:17]
	s_and_b64 vcc, exec, s[6:7]
	s_cbranch_vccz .LBB8_523
; %bb.439:
	s_waitcnt vmcnt(0)
	v_and_b32_e32 v29, 2, v4
	v_mov_b32_e32 v26, 0
	v_and_b32_e32 v0, -3, v4
	v_mov_b32_e32 v1, v5
	s_mov_b64 s[16:17], 3
	v_mov_b32_e32 v8, 2
	v_mov_b32_e32 v9, 1
	s_getpc_b64 s[10:11]
	s_add_u32 s10, s10, .str.7@rel32@lo+4
	s_addc_u32 s11, s11, .str.7@rel32@hi+12
	s_branch .LBB8_441
.LBB8_440:                              ;   in Loop: Header=BB8_441 Depth=1
	s_or_b64 exec, exec, s[22:23]
	s_sub_u32 s16, s16, s18
	s_subb_u32 s17, s17, s19
	s_add_u32 s10, s10, s18
	s_addc_u32 s11, s11, s19
	s_cmp_lg_u64 s[16:17], 0
	s_cbranch_scc0 .LBB8_522
.LBB8_441:                              ; =>This Loop Header: Depth=1
                                        ;     Child Loop BB8_444 Depth 2
                                        ;     Child Loop BB8_451 Depth 2
	;; [unrolled: 1-line block ×11, first 2 shown]
	v_cmp_lt_u64_e64 s[4:5], s[16:17], 56
	v_cmp_gt_u64_e64 s[20:21], s[16:17], 7
	s_and_b64 s[4:5], s[4:5], exec
	s_cselect_b32 s19, s17, 0
	s_cselect_b32 s18, s16, 56
	s_and_b64 vcc, exec, s[20:21]
	s_cbranch_vccnz .LBB8_446
; %bb.442:                              ;   in Loop: Header=BB8_441 Depth=1
	s_waitcnt vmcnt(0)
	v_mov_b32_e32 v2, 0
	s_cmp_eq_u64 s[16:17], 0
	v_mov_b32_e32 v3, 0
	s_mov_b64 s[4:5], 0
	s_cbranch_scc1 .LBB8_445
; %bb.443:                              ;   in Loop: Header=BB8_441 Depth=1
	v_mov_b32_e32 v2, 0
	s_lshl_b64 s[20:21], s[18:19], 3
	s_mov_b64 s[22:23], 0
	v_mov_b32_e32 v3, 0
	s_mov_b64 s[24:25], s[10:11]
.LBB8_444:                              ;   Parent Loop BB8_441 Depth=1
                                        ; =>  This Inner Loop Header: Depth=2
	global_load_ubyte v6, v26, s[24:25]
	s_waitcnt vmcnt(0)
	v_and_b32_e32 v25, 0xffff, v6
	v_lshlrev_b64 v[6:7], s22, v[25:26]
	s_add_u32 s22, s22, 8
	s_addc_u32 s23, s23, 0
	s_add_u32 s24, s24, 1
	s_addc_u32 s25, s25, 0
	v_or_b32_e32 v2, v6, v2
	s_cmp_lg_u32 s20, s22
	v_or_b32_e32 v3, v7, v3
	s_cbranch_scc1 .LBB8_444
.LBB8_445:                              ;   in Loop: Header=BB8_441 Depth=1
	s_mov_b32 s15, 0
	s_andn2_b64 vcc, exec, s[4:5]
	s_mov_b64 s[4:5], s[10:11]
	s_cbranch_vccz .LBB8_447
	s_branch .LBB8_448
.LBB8_446:                              ;   in Loop: Header=BB8_441 Depth=1
                                        ; implicit-def: $vgpr2_vgpr3
                                        ; implicit-def: $sgpr15
	s_mov_b64 s[4:5], s[10:11]
.LBB8_447:                              ;   in Loop: Header=BB8_441 Depth=1
	global_load_dwordx2 v[2:3], v26, s[10:11]
	s_add_i32 s15, s18, -8
	s_add_u32 s4, s10, 8
	s_addc_u32 s5, s11, 0
.LBB8_448:                              ;   in Loop: Header=BB8_441 Depth=1
	s_cmp_gt_u32 s15, 7
	s_cbranch_scc1 .LBB8_452
; %bb.449:                              ;   in Loop: Header=BB8_441 Depth=1
	s_cmp_eq_u32 s15, 0
	s_cbranch_scc1 .LBB8_453
; %bb.450:                              ;   in Loop: Header=BB8_441 Depth=1
	v_mov_b32_e32 v10, 0
	s_mov_b64 s[20:21], 0
	v_mov_b32_e32 v11, 0
	s_mov_b64 s[22:23], 0
.LBB8_451:                              ;   Parent Loop BB8_441 Depth=1
                                        ; =>  This Inner Loop Header: Depth=2
	s_add_u32 s24, s4, s22
	s_addc_u32 s25, s5, s23
	global_load_ubyte v6, v26, s[24:25]
	s_add_u32 s22, s22, 1
	s_addc_u32 s23, s23, 0
	s_waitcnt vmcnt(0)
	v_and_b32_e32 v25, 0xffff, v6
	v_lshlrev_b64 v[6:7], s20, v[25:26]
	s_add_u32 s20, s20, 8
	s_addc_u32 s21, s21, 0
	v_or_b32_e32 v10, v6, v10
	s_cmp_lg_u32 s15, s22
	v_or_b32_e32 v11, v7, v11
	s_cbranch_scc1 .LBB8_451
	s_branch .LBB8_454
.LBB8_452:                              ;   in Loop: Header=BB8_441 Depth=1
                                        ; implicit-def: $vgpr10_vgpr11
                                        ; implicit-def: $sgpr24
	s_branch .LBB8_455
.LBB8_453:                              ;   in Loop: Header=BB8_441 Depth=1
	v_mov_b32_e32 v10, 0
	v_mov_b32_e32 v11, 0
.LBB8_454:                              ;   in Loop: Header=BB8_441 Depth=1
	s_mov_b32 s24, 0
	s_cbranch_execnz .LBB8_456
.LBB8_455:                              ;   in Loop: Header=BB8_441 Depth=1
	global_load_dwordx2 v[10:11], v26, s[4:5]
	s_add_i32 s24, s15, -8
	s_add_u32 s4, s4, 8
	s_addc_u32 s5, s5, 0
.LBB8_456:                              ;   in Loop: Header=BB8_441 Depth=1
	s_cmp_gt_u32 s24, 7
	s_cbranch_scc1 .LBB8_460
; %bb.457:                              ;   in Loop: Header=BB8_441 Depth=1
	s_cmp_eq_u32 s24, 0
	s_cbranch_scc1 .LBB8_461
; %bb.458:                              ;   in Loop: Header=BB8_441 Depth=1
	v_mov_b32_e32 v12, 0
	s_mov_b64 s[20:21], 0
	v_mov_b32_e32 v13, 0
	s_mov_b64 s[22:23], 0
.LBB8_459:                              ;   Parent Loop BB8_441 Depth=1
                                        ; =>  This Inner Loop Header: Depth=2
	s_add_u32 s26, s4, s22
	s_addc_u32 s27, s5, s23
	global_load_ubyte v6, v26, s[26:27]
	s_add_u32 s22, s22, 1
	s_addc_u32 s23, s23, 0
	s_waitcnt vmcnt(0)
	v_and_b32_e32 v25, 0xffff, v6
	v_lshlrev_b64 v[6:7], s20, v[25:26]
	s_add_u32 s20, s20, 8
	s_addc_u32 s21, s21, 0
	v_or_b32_e32 v12, v6, v12
	s_cmp_lg_u32 s24, s22
	v_or_b32_e32 v13, v7, v13
	s_cbranch_scc1 .LBB8_459
	s_branch .LBB8_462
.LBB8_460:                              ;   in Loop: Header=BB8_441 Depth=1
                                        ; implicit-def: $sgpr15
	s_branch .LBB8_463
.LBB8_461:                              ;   in Loop: Header=BB8_441 Depth=1
	v_mov_b32_e32 v12, 0
	v_mov_b32_e32 v13, 0
.LBB8_462:                              ;   in Loop: Header=BB8_441 Depth=1
	s_mov_b32 s15, 0
	s_cbranch_execnz .LBB8_464
.LBB8_463:                              ;   in Loop: Header=BB8_441 Depth=1
	global_load_dwordx2 v[12:13], v26, s[4:5]
	s_add_i32 s15, s24, -8
	s_add_u32 s4, s4, 8
	s_addc_u32 s5, s5, 0
.LBB8_464:                              ;   in Loop: Header=BB8_441 Depth=1
	s_cmp_gt_u32 s15, 7
	s_cbranch_scc1 .LBB8_468
; %bb.465:                              ;   in Loop: Header=BB8_441 Depth=1
	s_cmp_eq_u32 s15, 0
	s_cbranch_scc1 .LBB8_469
; %bb.466:                              ;   in Loop: Header=BB8_441 Depth=1
	v_mov_b32_e32 v14, 0
	s_mov_b64 s[20:21], 0
	v_mov_b32_e32 v15, 0
	s_mov_b64 s[22:23], 0
.LBB8_467:                              ;   Parent Loop BB8_441 Depth=1
                                        ; =>  This Inner Loop Header: Depth=2
	s_add_u32 s24, s4, s22
	s_addc_u32 s25, s5, s23
	global_load_ubyte v6, v26, s[24:25]
	s_add_u32 s22, s22, 1
	s_addc_u32 s23, s23, 0
	s_waitcnt vmcnt(0)
	v_and_b32_e32 v25, 0xffff, v6
	v_lshlrev_b64 v[6:7], s20, v[25:26]
	s_add_u32 s20, s20, 8
	s_addc_u32 s21, s21, 0
	v_or_b32_e32 v14, v6, v14
	s_cmp_lg_u32 s15, s22
	v_or_b32_e32 v15, v7, v15
	s_cbranch_scc1 .LBB8_467
	s_branch .LBB8_470
.LBB8_468:                              ;   in Loop: Header=BB8_441 Depth=1
                                        ; implicit-def: $vgpr14_vgpr15
                                        ; implicit-def: $sgpr24
	s_branch .LBB8_471
.LBB8_469:                              ;   in Loop: Header=BB8_441 Depth=1
	v_mov_b32_e32 v14, 0
	v_mov_b32_e32 v15, 0
.LBB8_470:                              ;   in Loop: Header=BB8_441 Depth=1
	s_mov_b32 s24, 0
	s_cbranch_execnz .LBB8_472
.LBB8_471:                              ;   in Loop: Header=BB8_441 Depth=1
	global_load_dwordx2 v[14:15], v26, s[4:5]
	s_add_i32 s24, s15, -8
	s_add_u32 s4, s4, 8
	s_addc_u32 s5, s5, 0
.LBB8_472:                              ;   in Loop: Header=BB8_441 Depth=1
	s_cmp_gt_u32 s24, 7
	s_cbranch_scc1 .LBB8_476
; %bb.473:                              ;   in Loop: Header=BB8_441 Depth=1
	s_cmp_eq_u32 s24, 0
	s_cbranch_scc1 .LBB8_477
; %bb.474:                              ;   in Loop: Header=BB8_441 Depth=1
	v_mov_b32_e32 v16, 0
	s_mov_b64 s[20:21], 0
	v_mov_b32_e32 v17, 0
	s_mov_b64 s[22:23], 0
.LBB8_475:                              ;   Parent Loop BB8_441 Depth=1
                                        ; =>  This Inner Loop Header: Depth=2
	s_add_u32 s26, s4, s22
	s_addc_u32 s27, s5, s23
	global_load_ubyte v6, v26, s[26:27]
	s_add_u32 s22, s22, 1
	s_addc_u32 s23, s23, 0
	s_waitcnt vmcnt(0)
	v_and_b32_e32 v25, 0xffff, v6
	v_lshlrev_b64 v[6:7], s20, v[25:26]
	s_add_u32 s20, s20, 8
	s_addc_u32 s21, s21, 0
	v_or_b32_e32 v16, v6, v16
	s_cmp_lg_u32 s24, s22
	v_or_b32_e32 v17, v7, v17
	s_cbranch_scc1 .LBB8_475
	s_branch .LBB8_478
.LBB8_476:                              ;   in Loop: Header=BB8_441 Depth=1
                                        ; implicit-def: $sgpr15
	s_branch .LBB8_479
.LBB8_477:                              ;   in Loop: Header=BB8_441 Depth=1
	v_mov_b32_e32 v16, 0
	v_mov_b32_e32 v17, 0
.LBB8_478:                              ;   in Loop: Header=BB8_441 Depth=1
	s_mov_b32 s15, 0
	s_cbranch_execnz .LBB8_480
.LBB8_479:                              ;   in Loop: Header=BB8_441 Depth=1
	global_load_dwordx2 v[16:17], v26, s[4:5]
	s_add_i32 s15, s24, -8
	s_add_u32 s4, s4, 8
	s_addc_u32 s5, s5, 0
.LBB8_480:                              ;   in Loop: Header=BB8_441 Depth=1
	s_cmp_gt_u32 s15, 7
	s_cbranch_scc1 .LBB8_484
; %bb.481:                              ;   in Loop: Header=BB8_441 Depth=1
	s_cmp_eq_u32 s15, 0
	s_cbranch_scc1 .LBB8_485
; %bb.482:                              ;   in Loop: Header=BB8_441 Depth=1
	v_mov_b32_e32 v18, 0
	s_mov_b64 s[20:21], 0
	v_mov_b32_e32 v19, 0
	s_mov_b64 s[22:23], 0
.LBB8_483:                              ;   Parent Loop BB8_441 Depth=1
                                        ; =>  This Inner Loop Header: Depth=2
	s_add_u32 s24, s4, s22
	s_addc_u32 s25, s5, s23
	global_load_ubyte v6, v26, s[24:25]
	s_add_u32 s22, s22, 1
	s_addc_u32 s23, s23, 0
	s_waitcnt vmcnt(0)
	v_and_b32_e32 v25, 0xffff, v6
	v_lshlrev_b64 v[6:7], s20, v[25:26]
	s_add_u32 s20, s20, 8
	s_addc_u32 s21, s21, 0
	v_or_b32_e32 v18, v6, v18
	s_cmp_lg_u32 s15, s22
	v_or_b32_e32 v19, v7, v19
	s_cbranch_scc1 .LBB8_483
	s_branch .LBB8_486
.LBB8_484:                              ;   in Loop: Header=BB8_441 Depth=1
                                        ; implicit-def: $vgpr18_vgpr19
                                        ; implicit-def: $sgpr24
	s_branch .LBB8_487
.LBB8_485:                              ;   in Loop: Header=BB8_441 Depth=1
	v_mov_b32_e32 v18, 0
	v_mov_b32_e32 v19, 0
.LBB8_486:                              ;   in Loop: Header=BB8_441 Depth=1
	s_mov_b32 s24, 0
	s_cbranch_execnz .LBB8_488
.LBB8_487:                              ;   in Loop: Header=BB8_441 Depth=1
	global_load_dwordx2 v[18:19], v26, s[4:5]
	s_add_i32 s24, s15, -8
	s_add_u32 s4, s4, 8
	s_addc_u32 s5, s5, 0
.LBB8_488:                              ;   in Loop: Header=BB8_441 Depth=1
	s_cmp_gt_u32 s24, 7
	s_cbranch_scc1 .LBB8_492
; %bb.489:                              ;   in Loop: Header=BB8_441 Depth=1
	s_cmp_eq_u32 s24, 0
	s_cbranch_scc1 .LBB8_493
; %bb.490:                              ;   in Loop: Header=BB8_441 Depth=1
	v_mov_b32_e32 v20, 0
	s_mov_b64 s[20:21], 0
	v_mov_b32_e32 v21, 0
	s_mov_b64 s[22:23], s[4:5]
.LBB8_491:                              ;   Parent Loop BB8_441 Depth=1
                                        ; =>  This Inner Loop Header: Depth=2
	global_load_ubyte v6, v26, s[22:23]
	s_add_i32 s24, s24, -1
	s_waitcnt vmcnt(0)
	v_and_b32_e32 v25, 0xffff, v6
	v_lshlrev_b64 v[6:7], s20, v[25:26]
	s_add_u32 s20, s20, 8
	s_addc_u32 s21, s21, 0
	s_add_u32 s22, s22, 1
	s_addc_u32 s23, s23, 0
	v_or_b32_e32 v20, v6, v20
	s_cmp_lg_u32 s24, 0
	v_or_b32_e32 v21, v7, v21
	s_cbranch_scc1 .LBB8_491
	s_branch .LBB8_494
.LBB8_492:                              ;   in Loop: Header=BB8_441 Depth=1
	s_branch .LBB8_495
.LBB8_493:                              ;   in Loop: Header=BB8_441 Depth=1
	v_mov_b32_e32 v20, 0
	v_mov_b32_e32 v21, 0
.LBB8_494:                              ;   in Loop: Header=BB8_441 Depth=1
	s_cbranch_execnz .LBB8_496
.LBB8_495:                              ;   in Loop: Header=BB8_441 Depth=1
	global_load_dwordx2 v[20:21], v26, s[4:5]
.LBB8_496:                              ;   in Loop: Header=BB8_441 Depth=1
	v_readfirstlane_b32 s4, v51
	v_mov_b32_e32 v6, 0
	v_mov_b32_e32 v7, 0
	v_cmp_eq_u32_e64 s[4:5], s4, v51
	s_and_saveexec_b64 s[20:21], s[4:5]
	s_cbranch_execz .LBB8_502
; %bb.497:                              ;   in Loop: Header=BB8_441 Depth=1
	global_load_dwordx2 v[24:25], v26, s[42:43] offset:24 glc
	s_waitcnt vmcnt(0)
	buffer_wbinvl1_vol
	global_load_dwordx2 v[6:7], v26, s[42:43] offset:40
	global_load_dwordx2 v[22:23], v26, s[42:43]
	s_waitcnt vmcnt(1)
	v_and_b32_e32 v6, v6, v24
	v_and_b32_e32 v7, v7, v25
	v_mul_lo_u32 v7, v7, 24
	v_mul_hi_u32 v27, v6, 24
	v_mul_lo_u32 v6, v6, 24
	v_add_u32_e32 v7, v27, v7
	s_waitcnt vmcnt(0)
	v_add_co_u32_e32 v6, vcc, v22, v6
	v_addc_co_u32_e32 v7, vcc, v23, v7, vcc
	global_load_dwordx2 v[22:23], v[6:7], off glc
	s_waitcnt vmcnt(0)
	global_atomic_cmpswap_x2 v[6:7], v26, v[22:25], s[42:43] offset:24 glc
	s_waitcnt vmcnt(0)
	buffer_wbinvl1_vol
	v_cmp_ne_u64_e32 vcc, v[6:7], v[24:25]
	s_and_saveexec_b64 s[22:23], vcc
	s_cbranch_execz .LBB8_501
; %bb.498:                              ;   in Loop: Header=BB8_441 Depth=1
	s_mov_b64 s[24:25], 0
.LBB8_499:                              ;   Parent Loop BB8_441 Depth=1
                                        ; =>  This Inner Loop Header: Depth=2
	s_sleep 1
	global_load_dwordx2 v[22:23], v26, s[42:43] offset:40
	global_load_dwordx2 v[27:28], v26, s[42:43]
	v_mov_b32_e32 v25, v7
	v_mov_b32_e32 v24, v6
	s_waitcnt vmcnt(1)
	v_and_b32_e32 v6, v22, v24
	s_waitcnt vmcnt(0)
	v_mad_u64_u32 v[6:7], s[26:27], v6, 24, v[27:28]
	v_and_b32_e32 v22, v23, v25
	v_mad_u64_u32 v[22:23], s[26:27], v22, 24, v[7:8]
	v_mov_b32_e32 v7, v22
	global_load_dwordx2 v[22:23], v[6:7], off glc
	s_waitcnt vmcnt(0)
	global_atomic_cmpswap_x2 v[6:7], v26, v[22:25], s[42:43] offset:24 glc
	s_waitcnt vmcnt(0)
	buffer_wbinvl1_vol
	v_cmp_eq_u64_e32 vcc, v[6:7], v[24:25]
	s_or_b64 s[24:25], vcc, s[24:25]
	s_andn2_b64 exec, exec, s[24:25]
	s_cbranch_execnz .LBB8_499
; %bb.500:                              ;   in Loop: Header=BB8_441 Depth=1
	s_or_b64 exec, exec, s[24:25]
.LBB8_501:                              ;   in Loop: Header=BB8_441 Depth=1
	s_or_b64 exec, exec, s[22:23]
.LBB8_502:                              ;   in Loop: Header=BB8_441 Depth=1
	s_or_b64 exec, exec, s[20:21]
	global_load_dwordx2 v[27:28], v26, s[42:43] offset:40
	global_load_dwordx4 v[22:25], v26, s[42:43]
	v_readfirstlane_b32 s20, v6
	v_readfirstlane_b32 s21, v7
	s_mov_b64 s[22:23], exec
	s_waitcnt vmcnt(1)
	v_readfirstlane_b32 s24, v27
	v_readfirstlane_b32 s25, v28
	s_and_b64 s[24:25], s[20:21], s[24:25]
	s_mul_i32 s15, s25, 24
	s_mul_hi_u32 s26, s24, 24
	s_mul_i32 s27, s24, 24
	s_add_i32 s15, s26, s15
	v_mov_b32_e32 v6, s15
	s_waitcnt vmcnt(0)
	v_add_co_u32_e32 v27, vcc, s27, v22
	v_addc_co_u32_e32 v28, vcc, v23, v6, vcc
	s_and_saveexec_b64 s[26:27], s[4:5]
	s_cbranch_execz .LBB8_504
; %bb.503:                              ;   in Loop: Header=BB8_441 Depth=1
	v_mov_b32_e32 v6, s22
	v_mov_b32_e32 v7, s23
	global_store_dwordx4 v[27:28], v[6:9], off offset:8
.LBB8_504:                              ;   in Loop: Header=BB8_441 Depth=1
	s_or_b64 exec, exec, s[26:27]
	s_lshl_b64 s[22:23], s[24:25], 12
	v_mov_b32_e32 v6, s23
	v_add_co_u32_e32 v24, vcc, s22, v24
	v_addc_co_u32_e32 v30, vcc, v25, v6, vcc
	v_cmp_gt_u64_e64 vcc, s[16:17], 56
	v_or_b32_e32 v7, v0, v29
	s_lshl_b32 s15, s18, 2
	v_cndmask_b32_e32 v0, v7, v0, vcc
	s_add_i32 s15, s15, 28
	v_or_b32_e32 v6, 0, v1
	s_and_b32 s15, s15, 0x1e0
	v_and_b32_e32 v0, 0xffffff1f, v0
	v_cndmask_b32_e32 v1, v6, v1, vcc
	v_or_b32_e32 v0, s15, v0
	v_readfirstlane_b32 s22, v24
	v_readfirstlane_b32 s23, v30
	s_nop 4
	global_store_dwordx4 v50, v[0:3], s[22:23]
	global_store_dwordx4 v50, v[10:13], s[22:23] offset:16
	global_store_dwordx4 v50, v[14:17], s[22:23] offset:32
	;; [unrolled: 1-line block ×3, first 2 shown]
	s_and_saveexec_b64 s[22:23], s[4:5]
	s_cbranch_execz .LBB8_512
; %bb.505:                              ;   in Loop: Header=BB8_441 Depth=1
	global_load_dwordx2 v[12:13], v26, s[42:43] offset:32 glc
	global_load_dwordx2 v[0:1], v26, s[42:43] offset:40
	v_mov_b32_e32 v10, s20
	v_mov_b32_e32 v11, s21
	s_waitcnt vmcnt(0)
	v_readfirstlane_b32 s24, v0
	v_readfirstlane_b32 s25, v1
	s_and_b64 s[24:25], s[24:25], s[20:21]
	s_mul_i32 s15, s25, 24
	s_mul_hi_u32 s25, s24, 24
	s_mul_i32 s24, s24, 24
	s_add_i32 s15, s25, s15
	v_mov_b32_e32 v0, s15
	v_add_co_u32_e32 v6, vcc, s24, v22
	v_addc_co_u32_e32 v7, vcc, v23, v0, vcc
	global_store_dwordx2 v[6:7], v[12:13], off
	s_waitcnt vmcnt(0)
	global_atomic_cmpswap_x2 v[2:3], v26, v[10:13], s[42:43] offset:32 glc
	s_waitcnt vmcnt(0)
	v_cmp_ne_u64_e32 vcc, v[2:3], v[12:13]
	s_and_saveexec_b64 s[24:25], vcc
	s_cbranch_execz .LBB8_508
; %bb.506:                              ;   in Loop: Header=BB8_441 Depth=1
	s_mov_b64 s[26:27], 0
.LBB8_507:                              ;   Parent Loop BB8_441 Depth=1
                                        ; =>  This Inner Loop Header: Depth=2
	s_sleep 1
	global_store_dwordx2 v[6:7], v[2:3], off
	v_mov_b32_e32 v0, s20
	v_mov_b32_e32 v1, s21
	s_waitcnt vmcnt(0)
	global_atomic_cmpswap_x2 v[0:1], v26, v[0:3], s[42:43] offset:32 glc
	s_waitcnt vmcnt(0)
	v_cmp_eq_u64_e32 vcc, v[0:1], v[2:3]
	v_mov_b32_e32 v3, v1
	s_or_b64 s[26:27], vcc, s[26:27]
	v_mov_b32_e32 v2, v0
	s_andn2_b64 exec, exec, s[26:27]
	s_cbranch_execnz .LBB8_507
.LBB8_508:                              ;   in Loop: Header=BB8_441 Depth=1
	s_or_b64 exec, exec, s[24:25]
	global_load_dwordx2 v[0:1], v26, s[42:43] offset:16
	s_mov_b64 s[26:27], exec
	v_mbcnt_lo_u32_b32 v2, s26, 0
	v_mbcnt_hi_u32_b32 v2, s27, v2
	v_cmp_eq_u32_e32 vcc, 0, v2
	s_and_saveexec_b64 s[24:25], vcc
	s_cbranch_execz .LBB8_510
; %bb.509:                              ;   in Loop: Header=BB8_441 Depth=1
	s_bcnt1_i32_b64 s15, s[26:27]
	v_mov_b32_e32 v25, s15
	s_waitcnt vmcnt(0)
	global_atomic_add_x2 v[0:1], v[25:26], off offset:8
.LBB8_510:                              ;   in Loop: Header=BB8_441 Depth=1
	s_or_b64 exec, exec, s[24:25]
	s_waitcnt vmcnt(0)
	global_load_dwordx2 v[2:3], v[0:1], off offset:16
	s_waitcnt vmcnt(0)
	v_cmp_eq_u64_e32 vcc, 0, v[2:3]
	s_cbranch_vccnz .LBB8_512
; %bb.511:                              ;   in Loop: Header=BB8_441 Depth=1
	global_load_dword v25, v[0:1], off offset:24
	s_waitcnt vmcnt(0)
	v_and_b32_e32 v0, 0xffffff, v25
	v_readfirstlane_b32 m0, v0
	global_store_dwordx2 v[2:3], v[25:26], off
	s_sendmsg sendmsg(MSG_INTERRUPT)
.LBB8_512:                              ;   in Loop: Header=BB8_441 Depth=1
	s_or_b64 exec, exec, s[22:23]
	v_add_co_u32_e32 v0, vcc, v24, v50
	v_addc_co_u32_e32 v1, vcc, 0, v30, vcc
	s_branch .LBB8_516
.LBB8_513:                              ;   in Loop: Header=BB8_516 Depth=2
	s_or_b64 exec, exec, s[22:23]
	v_readfirstlane_b32 s15, v2
	s_cmp_eq_u32 s15, 0
	s_cbranch_scc1 .LBB8_515
; %bb.514:                              ;   in Loop: Header=BB8_516 Depth=2
	s_sleep 1
	s_cbranch_execnz .LBB8_516
	s_branch .LBB8_518
.LBB8_515:                              ;   in Loop: Header=BB8_441 Depth=1
	s_branch .LBB8_518
.LBB8_516:                              ;   Parent Loop BB8_441 Depth=1
                                        ; =>  This Inner Loop Header: Depth=2
	v_mov_b32_e32 v2, 1
	s_and_saveexec_b64 s[22:23], s[4:5]
	s_cbranch_execz .LBB8_513
; %bb.517:                              ;   in Loop: Header=BB8_516 Depth=2
	global_load_dword v2, v[27:28], off offset:20 glc
	s_waitcnt vmcnt(0)
	buffer_wbinvl1_vol
	v_and_b32_e32 v2, 1, v2
	s_branch .LBB8_513
.LBB8_518:                              ;   in Loop: Header=BB8_441 Depth=1
	global_load_dwordx4 v[0:3], v[0:1], off
	s_and_saveexec_b64 s[22:23], s[4:5]
	s_cbranch_execz .LBB8_440
; %bb.519:                              ;   in Loop: Header=BB8_441 Depth=1
	global_load_dwordx2 v[2:3], v26, s[42:43] offset:40
	global_load_dwordx2 v[6:7], v26, s[42:43] offset:24 glc
	global_load_dwordx2 v[13:14], v26, s[42:43]
	v_mov_b32_e32 v11, s21
	s_waitcnt vmcnt(2)
	v_add_co_u32_e32 v12, vcc, 1, v2
	v_addc_co_u32_e32 v15, vcc, 0, v3, vcc
	v_add_co_u32_e32 v10, vcc, s20, v12
	v_addc_co_u32_e32 v11, vcc, v15, v11, vcc
	v_cmp_eq_u64_e32 vcc, 0, v[10:11]
	v_cndmask_b32_e32 v11, v11, v15, vcc
	v_cndmask_b32_e32 v10, v10, v12, vcc
	v_and_b32_e32 v3, v11, v3
	v_and_b32_e32 v2, v10, v2
	v_mul_lo_u32 v3, v3, 24
	v_mul_hi_u32 v15, v2, 24
	v_mul_lo_u32 v2, v2, 24
	s_waitcnt vmcnt(1)
	v_mov_b32_e32 v12, v6
	v_add_u32_e32 v3, v15, v3
	s_waitcnt vmcnt(0)
	v_add_co_u32_e32 v2, vcc, v13, v2
	v_addc_co_u32_e32 v3, vcc, v14, v3, vcc
	global_store_dwordx2 v[2:3], v[6:7], off
	v_mov_b32_e32 v13, v7
	s_waitcnt vmcnt(0)
	global_atomic_cmpswap_x2 v[12:13], v26, v[10:13], s[42:43] offset:24 glc
	s_waitcnt vmcnt(0)
	v_cmp_ne_u64_e32 vcc, v[12:13], v[6:7]
	s_and_b64 exec, exec, vcc
	s_cbranch_execz .LBB8_440
; %bb.520:                              ;   in Loop: Header=BB8_441 Depth=1
	s_mov_b64 s[4:5], 0
.LBB8_521:                              ;   Parent Loop BB8_441 Depth=1
                                        ; =>  This Inner Loop Header: Depth=2
	s_sleep 1
	global_store_dwordx2 v[2:3], v[12:13], off
	s_waitcnt vmcnt(0)
	global_atomic_cmpswap_x2 v[6:7], v26, v[10:13], s[42:43] offset:24 glc
	s_waitcnt vmcnt(0)
	v_cmp_eq_u64_e32 vcc, v[6:7], v[12:13]
	v_mov_b32_e32 v13, v7
	s_or_b64 s[4:5], vcc, s[4:5]
	v_mov_b32_e32 v12, v6
	s_andn2_b64 exec, exec, s[4:5]
	s_cbranch_execnz .LBB8_521
	s_branch .LBB8_440
.LBB8_522:
	s_branch .LBB8_550
.LBB8_523:
                                        ; implicit-def: $vgpr0_vgpr1
	s_cbranch_execz .LBB8_550
; %bb.524:
	v_readfirstlane_b32 s4, v51
	v_mov_b32_e32 v7, 0
	v_mov_b32_e32 v8, 0
	v_cmp_eq_u32_e64 s[4:5], s4, v51
	s_and_saveexec_b64 s[10:11], s[4:5]
	s_cbranch_execz .LBB8_530
; %bb.525:
	s_waitcnt vmcnt(0)
	v_mov_b32_e32 v0, 0
	global_load_dwordx2 v[9:10], v0, s[42:43] offset:24 glc
	s_waitcnt vmcnt(0)
	buffer_wbinvl1_vol
	global_load_dwordx2 v[1:2], v0, s[42:43] offset:40
	global_load_dwordx2 v[6:7], v0, s[42:43]
	s_waitcnt vmcnt(1)
	v_and_b32_e32 v1, v1, v9
	v_and_b32_e32 v2, v2, v10
	v_mul_lo_u32 v2, v2, 24
	v_mul_hi_u32 v3, v1, 24
	v_mul_lo_u32 v1, v1, 24
	v_add_u32_e32 v2, v3, v2
	s_waitcnt vmcnt(0)
	v_add_co_u32_e32 v1, vcc, v6, v1
	v_addc_co_u32_e32 v2, vcc, v7, v2, vcc
	global_load_dwordx2 v[7:8], v[1:2], off glc
	s_waitcnt vmcnt(0)
	global_atomic_cmpswap_x2 v[7:8], v0, v[7:10], s[42:43] offset:24 glc
	s_waitcnt vmcnt(0)
	buffer_wbinvl1_vol
	v_cmp_ne_u64_e32 vcc, v[7:8], v[9:10]
	s_and_saveexec_b64 s[16:17], vcc
	s_cbranch_execz .LBB8_529
; %bb.526:
	s_mov_b64 s[18:19], 0
.LBB8_527:                              ; =>This Inner Loop Header: Depth=1
	s_sleep 1
	global_load_dwordx2 v[1:2], v0, s[42:43] offset:40
	global_load_dwordx2 v[11:12], v0, s[42:43]
	v_mov_b32_e32 v10, v8
	v_mov_b32_e32 v9, v7
	s_waitcnt vmcnt(1)
	v_and_b32_e32 v1, v1, v9
	s_waitcnt vmcnt(0)
	v_mad_u64_u32 v[6:7], s[20:21], v1, 24, v[11:12]
	v_and_b32_e32 v2, v2, v10
	v_mov_b32_e32 v1, v7
	v_mad_u64_u32 v[1:2], s[20:21], v2, 24, v[1:2]
	v_mov_b32_e32 v7, v1
	global_load_dwordx2 v[7:8], v[6:7], off glc
	s_waitcnt vmcnt(0)
	global_atomic_cmpswap_x2 v[7:8], v0, v[7:10], s[42:43] offset:24 glc
	s_waitcnt vmcnt(0)
	buffer_wbinvl1_vol
	v_cmp_eq_u64_e32 vcc, v[7:8], v[9:10]
	s_or_b64 s[18:19], vcc, s[18:19]
	s_andn2_b64 exec, exec, s[18:19]
	s_cbranch_execnz .LBB8_527
; %bb.528:
	s_or_b64 exec, exec, s[18:19]
.LBB8_529:
	s_or_b64 exec, exec, s[16:17]
.LBB8_530:
	s_or_b64 exec, exec, s[10:11]
	v_mov_b32_e32 v6, 0
	global_load_dwordx2 v[9:10], v6, s[42:43] offset:40
	global_load_dwordx4 v[0:3], v6, s[42:43]
	v_readfirstlane_b32 s10, v7
	v_readfirstlane_b32 s11, v8
	s_mov_b64 s[16:17], exec
	s_waitcnt vmcnt(1)
	v_readfirstlane_b32 s18, v9
	v_readfirstlane_b32 s19, v10
	s_and_b64 s[18:19], s[10:11], s[18:19]
	s_mul_i32 s15, s19, 24
	s_mul_hi_u32 s20, s18, 24
	s_mul_i32 s21, s18, 24
	s_add_i32 s15, s20, s15
	v_mov_b32_e32 v7, s15
	s_waitcnt vmcnt(0)
	v_add_co_u32_e32 v8, vcc, s21, v0
	v_addc_co_u32_e32 v9, vcc, v1, v7, vcc
	s_and_saveexec_b64 s[20:21], s[4:5]
	s_cbranch_execz .LBB8_532
; %bb.531:
	v_mov_b32_e32 v10, s16
	v_mov_b32_e32 v11, s17
	;; [unrolled: 1-line block ×4, first 2 shown]
	global_store_dwordx4 v[8:9], v[10:13], off offset:8
.LBB8_532:
	s_or_b64 exec, exec, s[20:21]
	s_lshl_b64 s[16:17], s[18:19], 12
	v_mov_b32_e32 v7, s17
	v_add_co_u32_e32 v2, vcc, s16, v2
	v_addc_co_u32_e32 v3, vcc, v3, v7, vcc
	s_movk_i32 s15, 0xff1f
	v_and_or_b32 v4, v4, s15, 32
	v_add_co_u32_e32 v10, vcc, v2, v50
	s_mov_b32 s16, 0
	v_mov_b32_e32 v7, v6
	v_readfirstlane_b32 s20, v2
	v_readfirstlane_b32 s21, v3
	v_addc_co_u32_e32 v11, vcc, 0, v3, vcc
	s_mov_b32 s17, s16
	s_mov_b32 s18, s16
	;; [unrolled: 1-line block ×3, first 2 shown]
	s_nop 0
	global_store_dwordx4 v50, v[4:7], s[20:21]
	v_mov_b32_e32 v2, s16
	v_mov_b32_e32 v3, s17
	;; [unrolled: 1-line block ×4, first 2 shown]
	global_store_dwordx4 v50, v[2:5], s[20:21] offset:16
	global_store_dwordx4 v50, v[2:5], s[20:21] offset:32
	;; [unrolled: 1-line block ×3, first 2 shown]
	s_and_saveexec_b64 s[16:17], s[4:5]
	s_cbranch_execz .LBB8_540
; %bb.533:
	v_mov_b32_e32 v6, 0
	global_load_dwordx2 v[14:15], v6, s[42:43] offset:32 glc
	global_load_dwordx2 v[2:3], v6, s[42:43] offset:40
	v_mov_b32_e32 v12, s10
	v_mov_b32_e32 v13, s11
	s_waitcnt vmcnt(0)
	v_readfirstlane_b32 s18, v2
	v_readfirstlane_b32 s19, v3
	s_and_b64 s[18:19], s[18:19], s[10:11]
	s_mul_i32 s15, s19, 24
	s_mul_hi_u32 s19, s18, 24
	s_mul_i32 s18, s18, 24
	s_add_i32 s15, s19, s15
	v_mov_b32_e32 v2, s15
	v_add_co_u32_e32 v4, vcc, s18, v0
	v_addc_co_u32_e32 v5, vcc, v1, v2, vcc
	global_store_dwordx2 v[4:5], v[14:15], off
	s_waitcnt vmcnt(0)
	global_atomic_cmpswap_x2 v[2:3], v6, v[12:15], s[42:43] offset:32 glc
	s_waitcnt vmcnt(0)
	v_cmp_ne_u64_e32 vcc, v[2:3], v[14:15]
	s_and_saveexec_b64 s[18:19], vcc
	s_cbranch_execz .LBB8_536
; %bb.534:
	s_mov_b64 s[20:21], 0
.LBB8_535:                              ; =>This Inner Loop Header: Depth=1
	s_sleep 1
	global_store_dwordx2 v[4:5], v[2:3], off
	v_mov_b32_e32 v0, s10
	v_mov_b32_e32 v1, s11
	s_waitcnt vmcnt(0)
	global_atomic_cmpswap_x2 v[0:1], v6, v[0:3], s[42:43] offset:32 glc
	s_waitcnt vmcnt(0)
	v_cmp_eq_u64_e32 vcc, v[0:1], v[2:3]
	v_mov_b32_e32 v3, v1
	s_or_b64 s[20:21], vcc, s[20:21]
	v_mov_b32_e32 v2, v0
	s_andn2_b64 exec, exec, s[20:21]
	s_cbranch_execnz .LBB8_535
.LBB8_536:
	s_or_b64 exec, exec, s[18:19]
	v_mov_b32_e32 v3, 0
	global_load_dwordx2 v[0:1], v3, s[42:43] offset:16
	s_mov_b64 s[18:19], exec
	v_mbcnt_lo_u32_b32 v2, s18, 0
	v_mbcnt_hi_u32_b32 v2, s19, v2
	v_cmp_eq_u32_e32 vcc, 0, v2
	s_and_saveexec_b64 s[20:21], vcc
	s_cbranch_execz .LBB8_538
; %bb.537:
	s_bcnt1_i32_b64 s15, s[18:19]
	v_mov_b32_e32 v2, s15
	s_waitcnt vmcnt(0)
	global_atomic_add_x2 v[0:1], v[2:3], off offset:8
.LBB8_538:
	s_or_b64 exec, exec, s[20:21]
	s_waitcnt vmcnt(0)
	global_load_dwordx2 v[2:3], v[0:1], off offset:16
	s_waitcnt vmcnt(0)
	v_cmp_eq_u64_e32 vcc, 0, v[2:3]
	s_cbranch_vccnz .LBB8_540
; %bb.539:
	global_load_dword v0, v[0:1], off offset:24
	v_mov_b32_e32 v1, 0
	s_waitcnt vmcnt(0)
	global_store_dwordx2 v[2:3], v[0:1], off
	v_and_b32_e32 v0, 0xffffff, v0
	v_readfirstlane_b32 m0, v0
	s_sendmsg sendmsg(MSG_INTERRUPT)
.LBB8_540:
	s_or_b64 exec, exec, s[16:17]
	s_branch .LBB8_544
.LBB8_541:                              ;   in Loop: Header=BB8_544 Depth=1
	s_or_b64 exec, exec, s[16:17]
	v_readfirstlane_b32 s15, v0
	s_cmp_eq_u32 s15, 0
	s_cbranch_scc1 .LBB8_543
; %bb.542:                              ;   in Loop: Header=BB8_544 Depth=1
	s_sleep 1
	s_cbranch_execnz .LBB8_544
	s_branch .LBB8_546
.LBB8_543:
	s_branch .LBB8_546
.LBB8_544:                              ; =>This Inner Loop Header: Depth=1
	v_mov_b32_e32 v0, 1
	s_and_saveexec_b64 s[16:17], s[4:5]
	s_cbranch_execz .LBB8_541
; %bb.545:                              ;   in Loop: Header=BB8_544 Depth=1
	global_load_dword v0, v[8:9], off offset:20 glc
	s_waitcnt vmcnt(0)
	buffer_wbinvl1_vol
	v_and_b32_e32 v0, 1, v0
	s_branch .LBB8_541
.LBB8_546:
	global_load_dwordx2 v[0:1], v[10:11], off
	s_and_saveexec_b64 s[16:17], s[4:5]
	s_cbranch_execz .LBB8_549
; %bb.547:
	v_mov_b32_e32 v8, 0
	global_load_dwordx2 v[4:5], v8, s[42:43] offset:40
	global_load_dwordx2 v[9:10], v8, s[42:43] offset:24 glc
	global_load_dwordx2 v[6:7], v8, s[42:43]
	v_mov_b32_e32 v3, s11
	s_mov_b64 s[4:5], 0
	s_waitcnt vmcnt(2)
	v_add_co_u32_e32 v11, vcc, 1, v4
	v_addc_co_u32_e32 v12, vcc, 0, v5, vcc
	v_add_co_u32_e32 v2, vcc, s10, v11
	v_addc_co_u32_e32 v3, vcc, v12, v3, vcc
	v_cmp_eq_u64_e32 vcc, 0, v[2:3]
	v_cndmask_b32_e32 v3, v3, v12, vcc
	v_cndmask_b32_e32 v2, v2, v11, vcc
	v_and_b32_e32 v5, v3, v5
	v_and_b32_e32 v4, v2, v4
	v_mul_lo_u32 v5, v5, 24
	v_mul_hi_u32 v11, v4, 24
	v_mul_lo_u32 v12, v4, 24
	s_waitcnt vmcnt(1)
	v_mov_b32_e32 v4, v9
	v_add_u32_e32 v5, v11, v5
	s_waitcnt vmcnt(0)
	v_add_co_u32_e32 v6, vcc, v6, v12
	v_addc_co_u32_e32 v7, vcc, v7, v5, vcc
	global_store_dwordx2 v[6:7], v[9:10], off
	v_mov_b32_e32 v5, v10
	s_waitcnt vmcnt(0)
	global_atomic_cmpswap_x2 v[4:5], v8, v[2:5], s[42:43] offset:24 glc
	s_waitcnt vmcnt(0)
	v_cmp_ne_u64_e32 vcc, v[4:5], v[9:10]
	s_and_b64 exec, exec, vcc
	s_cbranch_execz .LBB8_549
.LBB8_548:                              ; =>This Inner Loop Header: Depth=1
	s_sleep 1
	global_store_dwordx2 v[6:7], v[4:5], off
	s_waitcnt vmcnt(0)
	global_atomic_cmpswap_x2 v[9:10], v8, v[2:5], s[42:43] offset:24 glc
	s_waitcnt vmcnt(0)
	v_cmp_eq_u64_e32 vcc, v[9:10], v[4:5]
	v_mov_b32_e32 v4, v9
	s_or_b64 s[4:5], vcc, s[4:5]
	v_mov_b32_e32 v5, v10
	s_andn2_b64 exec, exec, s[4:5]
	s_cbranch_execnz .LBB8_548
.LBB8_549:
	s_or_b64 exec, exec, s[16:17]
.LBB8_550:
	s_getpc_b64 s[10:11]
	s_add_u32 s10, s10, .str.1@rel32@lo+4
	s_addc_u32 s11, s11, .str.1@rel32@hi+12
	s_cmp_lg_u64 s[10:11], 0
	s_cbranch_scc0 .LBB8_635
; %bb.551:
	s_waitcnt vmcnt(0)
	v_and_b32_e32 v6, -3, v0
	v_mov_b32_e32 v7, v1
	s_mov_b64 s[16:17], 0x4f
	v_mov_b32_e32 v26, 0
	v_mov_b32_e32 v4, 2
	;; [unrolled: 1-line block ×3, first 2 shown]
	s_branch .LBB8_553
.LBB8_552:                              ;   in Loop: Header=BB8_553 Depth=1
	s_or_b64 exec, exec, s[22:23]
	s_sub_u32 s16, s16, s18
	s_subb_u32 s17, s17, s19
	s_add_u32 s10, s10, s18
	s_addc_u32 s11, s11, s19
	s_cmp_lg_u64 s[16:17], 0
	s_cbranch_scc0 .LBB8_634
.LBB8_553:                              ; =>This Loop Header: Depth=1
                                        ;     Child Loop BB8_556 Depth 2
                                        ;     Child Loop BB8_563 Depth 2
	;; [unrolled: 1-line block ×11, first 2 shown]
	v_cmp_lt_u64_e64 s[4:5], s[16:17], 56
	v_cmp_gt_u64_e64 s[20:21], s[16:17], 7
	s_and_b64 s[4:5], s[4:5], exec
	s_cselect_b32 s19, s17, 0
	s_cselect_b32 s18, s16, 56
	s_and_b64 vcc, exec, s[20:21]
	s_cbranch_vccnz .LBB8_558
; %bb.554:                              ;   in Loop: Header=BB8_553 Depth=1
	s_waitcnt vmcnt(0)
	v_mov_b32_e32 v8, 0
	s_cmp_eq_u64 s[16:17], 0
	v_mov_b32_e32 v9, 0
	s_mov_b64 s[4:5], 0
	s_cbranch_scc1 .LBB8_557
; %bb.555:                              ;   in Loop: Header=BB8_553 Depth=1
	v_mov_b32_e32 v8, 0
	s_lshl_b64 s[20:21], s[18:19], 3
	s_mov_b64 s[22:23], 0
	v_mov_b32_e32 v9, 0
	s_mov_b64 s[24:25], s[10:11]
.LBB8_556:                              ;   Parent Loop BB8_553 Depth=1
                                        ; =>  This Inner Loop Header: Depth=2
	global_load_ubyte v2, v26, s[24:25]
	s_waitcnt vmcnt(0)
	v_and_b32_e32 v25, 0xffff, v2
	v_lshlrev_b64 v[2:3], s22, v[25:26]
	s_add_u32 s22, s22, 8
	s_addc_u32 s23, s23, 0
	s_add_u32 s24, s24, 1
	s_addc_u32 s25, s25, 0
	v_or_b32_e32 v8, v2, v8
	s_cmp_lg_u32 s20, s22
	v_or_b32_e32 v9, v3, v9
	s_cbranch_scc1 .LBB8_556
.LBB8_557:                              ;   in Loop: Header=BB8_553 Depth=1
	s_mov_b32 s15, 0
	s_andn2_b64 vcc, exec, s[4:5]
	s_mov_b64 s[4:5], s[10:11]
	s_cbranch_vccz .LBB8_559
	s_branch .LBB8_560
.LBB8_558:                              ;   in Loop: Header=BB8_553 Depth=1
                                        ; implicit-def: $sgpr15
	s_mov_b64 s[4:5], s[10:11]
.LBB8_559:                              ;   in Loop: Header=BB8_553 Depth=1
	global_load_dwordx2 v[8:9], v26, s[10:11]
	s_add_i32 s15, s18, -8
	s_add_u32 s4, s10, 8
	s_addc_u32 s5, s11, 0
.LBB8_560:                              ;   in Loop: Header=BB8_553 Depth=1
	s_cmp_gt_u32 s15, 7
	s_cbranch_scc1 .LBB8_564
; %bb.561:                              ;   in Loop: Header=BB8_553 Depth=1
	s_cmp_eq_u32 s15, 0
	s_cbranch_scc1 .LBB8_565
; %bb.562:                              ;   in Loop: Header=BB8_553 Depth=1
	v_mov_b32_e32 v10, 0
	s_mov_b64 s[20:21], 0
	v_mov_b32_e32 v11, 0
	s_mov_b64 s[22:23], 0
.LBB8_563:                              ;   Parent Loop BB8_553 Depth=1
                                        ; =>  This Inner Loop Header: Depth=2
	s_add_u32 s24, s4, s22
	s_addc_u32 s25, s5, s23
	global_load_ubyte v2, v26, s[24:25]
	s_add_u32 s22, s22, 1
	s_addc_u32 s23, s23, 0
	s_waitcnt vmcnt(0)
	v_and_b32_e32 v25, 0xffff, v2
	v_lshlrev_b64 v[2:3], s20, v[25:26]
	s_add_u32 s20, s20, 8
	s_addc_u32 s21, s21, 0
	v_or_b32_e32 v10, v2, v10
	s_cmp_lg_u32 s15, s22
	v_or_b32_e32 v11, v3, v11
	s_cbranch_scc1 .LBB8_563
	s_branch .LBB8_566
.LBB8_564:                              ;   in Loop: Header=BB8_553 Depth=1
                                        ; implicit-def: $vgpr10_vgpr11
                                        ; implicit-def: $sgpr24
	s_branch .LBB8_567
.LBB8_565:                              ;   in Loop: Header=BB8_553 Depth=1
	v_mov_b32_e32 v10, 0
	v_mov_b32_e32 v11, 0
.LBB8_566:                              ;   in Loop: Header=BB8_553 Depth=1
	s_mov_b32 s24, 0
	s_cbranch_execnz .LBB8_568
.LBB8_567:                              ;   in Loop: Header=BB8_553 Depth=1
	global_load_dwordx2 v[10:11], v26, s[4:5]
	s_add_i32 s24, s15, -8
	s_add_u32 s4, s4, 8
	s_addc_u32 s5, s5, 0
.LBB8_568:                              ;   in Loop: Header=BB8_553 Depth=1
	s_cmp_gt_u32 s24, 7
	s_cbranch_scc1 .LBB8_572
; %bb.569:                              ;   in Loop: Header=BB8_553 Depth=1
	s_cmp_eq_u32 s24, 0
	s_cbranch_scc1 .LBB8_573
; %bb.570:                              ;   in Loop: Header=BB8_553 Depth=1
	v_mov_b32_e32 v12, 0
	s_mov_b64 s[20:21], 0
	v_mov_b32_e32 v13, 0
	s_mov_b64 s[22:23], 0
.LBB8_571:                              ;   Parent Loop BB8_553 Depth=1
                                        ; =>  This Inner Loop Header: Depth=2
	s_add_u32 s26, s4, s22
	s_addc_u32 s27, s5, s23
	global_load_ubyte v2, v26, s[26:27]
	s_add_u32 s22, s22, 1
	s_addc_u32 s23, s23, 0
	s_waitcnt vmcnt(0)
	v_and_b32_e32 v25, 0xffff, v2
	v_lshlrev_b64 v[2:3], s20, v[25:26]
	s_add_u32 s20, s20, 8
	s_addc_u32 s21, s21, 0
	v_or_b32_e32 v12, v2, v12
	s_cmp_lg_u32 s24, s22
	v_or_b32_e32 v13, v3, v13
	s_cbranch_scc1 .LBB8_571
	s_branch .LBB8_574
.LBB8_572:                              ;   in Loop: Header=BB8_553 Depth=1
                                        ; implicit-def: $sgpr15
	s_branch .LBB8_575
.LBB8_573:                              ;   in Loop: Header=BB8_553 Depth=1
	v_mov_b32_e32 v12, 0
	v_mov_b32_e32 v13, 0
.LBB8_574:                              ;   in Loop: Header=BB8_553 Depth=1
	s_mov_b32 s15, 0
	s_cbranch_execnz .LBB8_576
.LBB8_575:                              ;   in Loop: Header=BB8_553 Depth=1
	global_load_dwordx2 v[12:13], v26, s[4:5]
	s_add_i32 s15, s24, -8
	s_add_u32 s4, s4, 8
	s_addc_u32 s5, s5, 0
.LBB8_576:                              ;   in Loop: Header=BB8_553 Depth=1
	s_cmp_gt_u32 s15, 7
	s_cbranch_scc1 .LBB8_580
; %bb.577:                              ;   in Loop: Header=BB8_553 Depth=1
	s_cmp_eq_u32 s15, 0
	s_cbranch_scc1 .LBB8_581
; %bb.578:                              ;   in Loop: Header=BB8_553 Depth=1
	v_mov_b32_e32 v14, 0
	s_mov_b64 s[20:21], 0
	v_mov_b32_e32 v15, 0
	s_mov_b64 s[22:23], 0
.LBB8_579:                              ;   Parent Loop BB8_553 Depth=1
                                        ; =>  This Inner Loop Header: Depth=2
	s_add_u32 s24, s4, s22
	s_addc_u32 s25, s5, s23
	global_load_ubyte v2, v26, s[24:25]
	s_add_u32 s22, s22, 1
	s_addc_u32 s23, s23, 0
	s_waitcnt vmcnt(0)
	v_and_b32_e32 v25, 0xffff, v2
	v_lshlrev_b64 v[2:3], s20, v[25:26]
	s_add_u32 s20, s20, 8
	s_addc_u32 s21, s21, 0
	v_or_b32_e32 v14, v2, v14
	s_cmp_lg_u32 s15, s22
	v_or_b32_e32 v15, v3, v15
	s_cbranch_scc1 .LBB8_579
	s_branch .LBB8_582
.LBB8_580:                              ;   in Loop: Header=BB8_553 Depth=1
                                        ; implicit-def: $vgpr14_vgpr15
                                        ; implicit-def: $sgpr24
	s_branch .LBB8_583
.LBB8_581:                              ;   in Loop: Header=BB8_553 Depth=1
	v_mov_b32_e32 v14, 0
	v_mov_b32_e32 v15, 0
.LBB8_582:                              ;   in Loop: Header=BB8_553 Depth=1
	s_mov_b32 s24, 0
	s_cbranch_execnz .LBB8_584
.LBB8_583:                              ;   in Loop: Header=BB8_553 Depth=1
	global_load_dwordx2 v[14:15], v26, s[4:5]
	s_add_i32 s24, s15, -8
	s_add_u32 s4, s4, 8
	s_addc_u32 s5, s5, 0
.LBB8_584:                              ;   in Loop: Header=BB8_553 Depth=1
	s_cmp_gt_u32 s24, 7
	s_cbranch_scc1 .LBB8_588
; %bb.585:                              ;   in Loop: Header=BB8_553 Depth=1
	s_cmp_eq_u32 s24, 0
	s_cbranch_scc1 .LBB8_589
; %bb.586:                              ;   in Loop: Header=BB8_553 Depth=1
	v_mov_b32_e32 v16, 0
	s_mov_b64 s[20:21], 0
	v_mov_b32_e32 v17, 0
	s_mov_b64 s[22:23], 0
.LBB8_587:                              ;   Parent Loop BB8_553 Depth=1
                                        ; =>  This Inner Loop Header: Depth=2
	s_add_u32 s26, s4, s22
	s_addc_u32 s27, s5, s23
	global_load_ubyte v2, v26, s[26:27]
	s_add_u32 s22, s22, 1
	s_addc_u32 s23, s23, 0
	s_waitcnt vmcnt(0)
	v_and_b32_e32 v25, 0xffff, v2
	v_lshlrev_b64 v[2:3], s20, v[25:26]
	s_add_u32 s20, s20, 8
	s_addc_u32 s21, s21, 0
	v_or_b32_e32 v16, v2, v16
	s_cmp_lg_u32 s24, s22
	v_or_b32_e32 v17, v3, v17
	s_cbranch_scc1 .LBB8_587
	s_branch .LBB8_590
.LBB8_588:                              ;   in Loop: Header=BB8_553 Depth=1
                                        ; implicit-def: $sgpr15
	s_branch .LBB8_591
.LBB8_589:                              ;   in Loop: Header=BB8_553 Depth=1
	v_mov_b32_e32 v16, 0
	v_mov_b32_e32 v17, 0
.LBB8_590:                              ;   in Loop: Header=BB8_553 Depth=1
	s_mov_b32 s15, 0
	s_cbranch_execnz .LBB8_592
.LBB8_591:                              ;   in Loop: Header=BB8_553 Depth=1
	global_load_dwordx2 v[16:17], v26, s[4:5]
	s_add_i32 s15, s24, -8
	s_add_u32 s4, s4, 8
	s_addc_u32 s5, s5, 0
.LBB8_592:                              ;   in Loop: Header=BB8_553 Depth=1
	s_cmp_gt_u32 s15, 7
	s_cbranch_scc1 .LBB8_596
; %bb.593:                              ;   in Loop: Header=BB8_553 Depth=1
	s_cmp_eq_u32 s15, 0
	s_cbranch_scc1 .LBB8_597
; %bb.594:                              ;   in Loop: Header=BB8_553 Depth=1
	v_mov_b32_e32 v18, 0
	s_mov_b64 s[20:21], 0
	v_mov_b32_e32 v19, 0
	s_mov_b64 s[22:23], 0
.LBB8_595:                              ;   Parent Loop BB8_553 Depth=1
                                        ; =>  This Inner Loop Header: Depth=2
	s_add_u32 s24, s4, s22
	s_addc_u32 s25, s5, s23
	global_load_ubyte v2, v26, s[24:25]
	s_add_u32 s22, s22, 1
	s_addc_u32 s23, s23, 0
	s_waitcnt vmcnt(0)
	v_and_b32_e32 v25, 0xffff, v2
	v_lshlrev_b64 v[2:3], s20, v[25:26]
	s_add_u32 s20, s20, 8
	s_addc_u32 s21, s21, 0
	v_or_b32_e32 v18, v2, v18
	s_cmp_lg_u32 s15, s22
	v_or_b32_e32 v19, v3, v19
	s_cbranch_scc1 .LBB8_595
	s_branch .LBB8_598
.LBB8_596:                              ;   in Loop: Header=BB8_553 Depth=1
                                        ; implicit-def: $vgpr18_vgpr19
                                        ; implicit-def: $sgpr24
	s_branch .LBB8_599
.LBB8_597:                              ;   in Loop: Header=BB8_553 Depth=1
	v_mov_b32_e32 v18, 0
	v_mov_b32_e32 v19, 0
.LBB8_598:                              ;   in Loop: Header=BB8_553 Depth=1
	s_mov_b32 s24, 0
	s_cbranch_execnz .LBB8_600
.LBB8_599:                              ;   in Loop: Header=BB8_553 Depth=1
	global_load_dwordx2 v[18:19], v26, s[4:5]
	s_add_i32 s24, s15, -8
	s_add_u32 s4, s4, 8
	s_addc_u32 s5, s5, 0
.LBB8_600:                              ;   in Loop: Header=BB8_553 Depth=1
	s_cmp_gt_u32 s24, 7
	s_cbranch_scc1 .LBB8_604
; %bb.601:                              ;   in Loop: Header=BB8_553 Depth=1
	s_cmp_eq_u32 s24, 0
	s_cbranch_scc1 .LBB8_605
; %bb.602:                              ;   in Loop: Header=BB8_553 Depth=1
	v_mov_b32_e32 v20, 0
	s_mov_b64 s[20:21], 0
	v_mov_b32_e32 v21, 0
	s_mov_b64 s[22:23], s[4:5]
.LBB8_603:                              ;   Parent Loop BB8_553 Depth=1
                                        ; =>  This Inner Loop Header: Depth=2
	global_load_ubyte v2, v26, s[22:23]
	s_add_i32 s24, s24, -1
	s_waitcnt vmcnt(0)
	v_and_b32_e32 v25, 0xffff, v2
	v_lshlrev_b64 v[2:3], s20, v[25:26]
	s_add_u32 s20, s20, 8
	s_addc_u32 s21, s21, 0
	s_add_u32 s22, s22, 1
	s_addc_u32 s23, s23, 0
	v_or_b32_e32 v20, v2, v20
	s_cmp_lg_u32 s24, 0
	v_or_b32_e32 v21, v3, v21
	s_cbranch_scc1 .LBB8_603
	s_branch .LBB8_606
.LBB8_604:                              ;   in Loop: Header=BB8_553 Depth=1
	s_branch .LBB8_607
.LBB8_605:                              ;   in Loop: Header=BB8_553 Depth=1
	v_mov_b32_e32 v20, 0
	v_mov_b32_e32 v21, 0
.LBB8_606:                              ;   in Loop: Header=BB8_553 Depth=1
	s_cbranch_execnz .LBB8_608
.LBB8_607:                              ;   in Loop: Header=BB8_553 Depth=1
	global_load_dwordx2 v[20:21], v26, s[4:5]
.LBB8_608:                              ;   in Loop: Header=BB8_553 Depth=1
	v_readfirstlane_b32 s4, v51
	v_mov_b32_e32 v2, 0
	v_mov_b32_e32 v3, 0
	v_cmp_eq_u32_e64 s[4:5], s4, v51
	s_and_saveexec_b64 s[20:21], s[4:5]
	s_cbranch_execz .LBB8_614
; %bb.609:                              ;   in Loop: Header=BB8_553 Depth=1
	global_load_dwordx2 v[24:25], v26, s[42:43] offset:24 glc
	s_waitcnt vmcnt(0)
	buffer_wbinvl1_vol
	global_load_dwordx2 v[2:3], v26, s[42:43] offset:40
	global_load_dwordx2 v[22:23], v26, s[42:43]
	s_waitcnt vmcnt(1)
	v_and_b32_e32 v2, v2, v24
	v_and_b32_e32 v3, v3, v25
	v_mul_lo_u32 v3, v3, 24
	v_mul_hi_u32 v27, v2, 24
	v_mul_lo_u32 v2, v2, 24
	v_add_u32_e32 v3, v27, v3
	s_waitcnt vmcnt(0)
	v_add_co_u32_e32 v2, vcc, v22, v2
	v_addc_co_u32_e32 v3, vcc, v23, v3, vcc
	global_load_dwordx2 v[22:23], v[2:3], off glc
	s_waitcnt vmcnt(0)
	global_atomic_cmpswap_x2 v[2:3], v26, v[22:25], s[42:43] offset:24 glc
	s_waitcnt vmcnt(0)
	buffer_wbinvl1_vol
	v_cmp_ne_u64_e32 vcc, v[2:3], v[24:25]
	s_and_saveexec_b64 s[22:23], vcc
	s_cbranch_execz .LBB8_613
; %bb.610:                              ;   in Loop: Header=BB8_553 Depth=1
	s_mov_b64 s[24:25], 0
.LBB8_611:                              ;   Parent Loop BB8_553 Depth=1
                                        ; =>  This Inner Loop Header: Depth=2
	s_sleep 1
	global_load_dwordx2 v[22:23], v26, s[42:43] offset:40
	global_load_dwordx2 v[27:28], v26, s[42:43]
	v_mov_b32_e32 v25, v3
	v_mov_b32_e32 v24, v2
	s_waitcnt vmcnt(1)
	v_and_b32_e32 v2, v22, v24
	s_waitcnt vmcnt(0)
	v_mad_u64_u32 v[2:3], s[26:27], v2, 24, v[27:28]
	v_and_b32_e32 v22, v23, v25
	v_mad_u64_u32 v[22:23], s[26:27], v22, 24, v[3:4]
	v_mov_b32_e32 v3, v22
	global_load_dwordx2 v[22:23], v[2:3], off glc
	s_waitcnt vmcnt(0)
	global_atomic_cmpswap_x2 v[2:3], v26, v[22:25], s[42:43] offset:24 glc
	s_waitcnt vmcnt(0)
	buffer_wbinvl1_vol
	v_cmp_eq_u64_e32 vcc, v[2:3], v[24:25]
	s_or_b64 s[24:25], vcc, s[24:25]
	s_andn2_b64 exec, exec, s[24:25]
	s_cbranch_execnz .LBB8_611
; %bb.612:                              ;   in Loop: Header=BB8_553 Depth=1
	s_or_b64 exec, exec, s[24:25]
.LBB8_613:                              ;   in Loop: Header=BB8_553 Depth=1
	s_or_b64 exec, exec, s[22:23]
.LBB8_614:                              ;   in Loop: Header=BB8_553 Depth=1
	s_or_b64 exec, exec, s[20:21]
	global_load_dwordx2 v[27:28], v26, s[42:43] offset:40
	global_load_dwordx4 v[22:25], v26, s[42:43]
	v_readfirstlane_b32 s20, v2
	v_readfirstlane_b32 s21, v3
	s_mov_b64 s[22:23], exec
	s_waitcnt vmcnt(1)
	v_readfirstlane_b32 s24, v27
	v_readfirstlane_b32 s25, v28
	s_and_b64 s[24:25], s[20:21], s[24:25]
	s_mul_i32 s15, s25, 24
	s_mul_hi_u32 s26, s24, 24
	s_mul_i32 s27, s24, 24
	s_add_i32 s15, s26, s15
	v_mov_b32_e32 v2, s15
	s_waitcnt vmcnt(0)
	v_add_co_u32_e32 v27, vcc, s27, v22
	v_addc_co_u32_e32 v28, vcc, v23, v2, vcc
	s_and_saveexec_b64 s[26:27], s[4:5]
	s_cbranch_execz .LBB8_616
; %bb.615:                              ;   in Loop: Header=BB8_553 Depth=1
	v_mov_b32_e32 v2, s22
	v_mov_b32_e32 v3, s23
	global_store_dwordx4 v[27:28], v[2:5], off offset:8
.LBB8_616:                              ;   in Loop: Header=BB8_553 Depth=1
	s_or_b64 exec, exec, s[26:27]
	s_lshl_b64 s[22:23], s[24:25], 12
	v_mov_b32_e32 v2, s23
	v_add_co_u32_e32 v24, vcc, s22, v24
	v_addc_co_u32_e32 v29, vcc, v25, v2, vcc
	v_cmp_gt_u64_e64 vcc, s[16:17], 56
	v_or_b32_e32 v2, 2, v6
	s_lshl_b32 s15, s18, 2
	v_cndmask_b32_e32 v2, v2, v6, vcc
	s_add_i32 s15, s15, 28
	s_and_b32 s15, s15, 0x1e0
	v_and_b32_e32 v2, 0xffffff1f, v2
	v_or_b32_e32 v6, s15, v2
	v_readfirstlane_b32 s22, v24
	v_readfirstlane_b32 s23, v29
	s_nop 4
	global_store_dwordx4 v50, v[6:9], s[22:23]
	global_store_dwordx4 v50, v[10:13], s[22:23] offset:16
	global_store_dwordx4 v50, v[14:17], s[22:23] offset:32
	;; [unrolled: 1-line block ×3, first 2 shown]
	s_and_saveexec_b64 s[22:23], s[4:5]
	s_cbranch_execz .LBB8_624
; %bb.617:                              ;   in Loop: Header=BB8_553 Depth=1
	global_load_dwordx2 v[10:11], v26, s[42:43] offset:32 glc
	global_load_dwordx2 v[2:3], v26, s[42:43] offset:40
	v_mov_b32_e32 v8, s20
	v_mov_b32_e32 v9, s21
	s_waitcnt vmcnt(0)
	v_readfirstlane_b32 s24, v2
	v_readfirstlane_b32 s25, v3
	s_and_b64 s[24:25], s[24:25], s[20:21]
	s_mul_i32 s15, s25, 24
	s_mul_hi_u32 s25, s24, 24
	s_mul_i32 s24, s24, 24
	s_add_i32 s15, s25, s15
	v_mov_b32_e32 v3, s15
	v_add_co_u32_e32 v2, vcc, s24, v22
	v_addc_co_u32_e32 v3, vcc, v23, v3, vcc
	global_store_dwordx2 v[2:3], v[10:11], off
	s_waitcnt vmcnt(0)
	global_atomic_cmpswap_x2 v[8:9], v26, v[8:11], s[42:43] offset:32 glc
	s_waitcnt vmcnt(0)
	v_cmp_ne_u64_e32 vcc, v[8:9], v[10:11]
	s_and_saveexec_b64 s[24:25], vcc
	s_cbranch_execz .LBB8_620
; %bb.618:                              ;   in Loop: Header=BB8_553 Depth=1
	s_mov_b64 s[26:27], 0
.LBB8_619:                              ;   Parent Loop BB8_553 Depth=1
                                        ; =>  This Inner Loop Header: Depth=2
	s_sleep 1
	global_store_dwordx2 v[2:3], v[8:9], off
	v_mov_b32_e32 v6, s20
	v_mov_b32_e32 v7, s21
	s_waitcnt vmcnt(0)
	global_atomic_cmpswap_x2 v[6:7], v26, v[6:9], s[42:43] offset:32 glc
	s_waitcnt vmcnt(0)
	v_cmp_eq_u64_e32 vcc, v[6:7], v[8:9]
	v_mov_b32_e32 v9, v7
	s_or_b64 s[26:27], vcc, s[26:27]
	v_mov_b32_e32 v8, v6
	s_andn2_b64 exec, exec, s[26:27]
	s_cbranch_execnz .LBB8_619
.LBB8_620:                              ;   in Loop: Header=BB8_553 Depth=1
	s_or_b64 exec, exec, s[24:25]
	global_load_dwordx2 v[2:3], v26, s[42:43] offset:16
	s_mov_b64 s[26:27], exec
	v_mbcnt_lo_u32_b32 v6, s26, 0
	v_mbcnt_hi_u32_b32 v6, s27, v6
	v_cmp_eq_u32_e32 vcc, 0, v6
	s_and_saveexec_b64 s[24:25], vcc
	s_cbranch_execz .LBB8_622
; %bb.621:                              ;   in Loop: Header=BB8_553 Depth=1
	s_bcnt1_i32_b64 s15, s[26:27]
	v_mov_b32_e32 v25, s15
	s_waitcnt vmcnt(0)
	global_atomic_add_x2 v[2:3], v[25:26], off offset:8
.LBB8_622:                              ;   in Loop: Header=BB8_553 Depth=1
	s_or_b64 exec, exec, s[24:25]
	s_waitcnt vmcnt(0)
	global_load_dwordx2 v[6:7], v[2:3], off offset:16
	s_waitcnt vmcnt(0)
	v_cmp_eq_u64_e32 vcc, 0, v[6:7]
	s_cbranch_vccnz .LBB8_624
; %bb.623:                              ;   in Loop: Header=BB8_553 Depth=1
	global_load_dword v25, v[2:3], off offset:24
	s_waitcnt vmcnt(0)
	v_and_b32_e32 v2, 0xffffff, v25
	v_readfirstlane_b32 m0, v2
	global_store_dwordx2 v[6:7], v[25:26], off
	s_sendmsg sendmsg(MSG_INTERRUPT)
.LBB8_624:                              ;   in Loop: Header=BB8_553 Depth=1
	s_or_b64 exec, exec, s[22:23]
	v_add_co_u32_e32 v2, vcc, v24, v50
	v_addc_co_u32_e32 v3, vcc, 0, v29, vcc
	s_branch .LBB8_628
.LBB8_625:                              ;   in Loop: Header=BB8_628 Depth=2
	s_or_b64 exec, exec, s[22:23]
	v_readfirstlane_b32 s15, v6
	s_cmp_eq_u32 s15, 0
	s_cbranch_scc1 .LBB8_627
; %bb.626:                              ;   in Loop: Header=BB8_628 Depth=2
	s_sleep 1
	s_cbranch_execnz .LBB8_628
	s_branch .LBB8_630
.LBB8_627:                              ;   in Loop: Header=BB8_553 Depth=1
	s_branch .LBB8_630
.LBB8_628:                              ;   Parent Loop BB8_553 Depth=1
                                        ; =>  This Inner Loop Header: Depth=2
	v_mov_b32_e32 v6, 1
	s_and_saveexec_b64 s[22:23], s[4:5]
	s_cbranch_execz .LBB8_625
; %bb.629:                              ;   in Loop: Header=BB8_628 Depth=2
	global_load_dword v6, v[27:28], off offset:20 glc
	s_waitcnt vmcnt(0)
	buffer_wbinvl1_vol
	v_and_b32_e32 v6, 1, v6
	s_branch .LBB8_625
.LBB8_630:                              ;   in Loop: Header=BB8_553 Depth=1
	global_load_dwordx4 v[6:9], v[2:3], off
	s_and_saveexec_b64 s[22:23], s[4:5]
	s_cbranch_execz .LBB8_552
; %bb.631:                              ;   in Loop: Header=BB8_553 Depth=1
	global_load_dwordx2 v[2:3], v26, s[42:43] offset:40
	global_load_dwordx2 v[12:13], v26, s[42:43] offset:24 glc
	global_load_dwordx2 v[14:15], v26, s[42:43]
	s_waitcnt vmcnt(3)
	v_mov_b32_e32 v9, s21
	s_waitcnt vmcnt(2)
	v_add_co_u32_e32 v10, vcc, 1, v2
	v_addc_co_u32_e32 v11, vcc, 0, v3, vcc
	v_add_co_u32_e32 v8, vcc, s20, v10
	v_addc_co_u32_e32 v9, vcc, v11, v9, vcc
	v_cmp_eq_u64_e32 vcc, 0, v[8:9]
	v_cndmask_b32_e32 v9, v9, v11, vcc
	v_cndmask_b32_e32 v8, v8, v10, vcc
	v_and_b32_e32 v3, v9, v3
	v_and_b32_e32 v2, v8, v2
	v_mul_lo_u32 v3, v3, 24
	v_mul_hi_u32 v11, v2, 24
	v_mul_lo_u32 v2, v2, 24
	s_waitcnt vmcnt(1)
	v_mov_b32_e32 v10, v12
	v_add_u32_e32 v3, v11, v3
	s_waitcnt vmcnt(0)
	v_add_co_u32_e32 v2, vcc, v14, v2
	v_addc_co_u32_e32 v3, vcc, v15, v3, vcc
	global_store_dwordx2 v[2:3], v[12:13], off
	v_mov_b32_e32 v11, v13
	s_waitcnt vmcnt(0)
	global_atomic_cmpswap_x2 v[10:11], v26, v[8:11], s[42:43] offset:24 glc
	s_waitcnt vmcnt(0)
	v_cmp_ne_u64_e32 vcc, v[10:11], v[12:13]
	s_and_b64 exec, exec, vcc
	s_cbranch_execz .LBB8_552
; %bb.632:                              ;   in Loop: Header=BB8_553 Depth=1
	s_mov_b64 s[4:5], 0
.LBB8_633:                              ;   Parent Loop BB8_553 Depth=1
                                        ; =>  This Inner Loop Header: Depth=2
	s_sleep 1
	global_store_dwordx2 v[2:3], v[10:11], off
	s_waitcnt vmcnt(0)
	global_atomic_cmpswap_x2 v[12:13], v26, v[8:11], s[42:43] offset:24 glc
	s_waitcnt vmcnt(0)
	v_cmp_eq_u64_e32 vcc, v[12:13], v[10:11]
	v_mov_b32_e32 v10, v12
	s_or_b64 s[4:5], vcc, s[4:5]
	v_mov_b32_e32 v11, v13
	s_andn2_b64 exec, exec, s[4:5]
	s_cbranch_execnz .LBB8_633
	s_branch .LBB8_552
.LBB8_634:
	s_branch .LBB8_662
.LBB8_635:
	s_cbranch_execz .LBB8_662
; %bb.636:
	v_readfirstlane_b32 s4, v51
	s_waitcnt vmcnt(0)
	v_mov_b32_e32 v8, 0
	v_mov_b32_e32 v9, 0
	v_cmp_eq_u32_e64 s[4:5], s4, v51
	s_and_saveexec_b64 s[10:11], s[4:5]
	s_cbranch_execz .LBB8_642
; %bb.637:
	v_mov_b32_e32 v2, 0
	global_load_dwordx2 v[5:6], v2, s[42:43] offset:24 glc
	s_waitcnt vmcnt(0)
	buffer_wbinvl1_vol
	global_load_dwordx2 v[3:4], v2, s[42:43] offset:40
	global_load_dwordx2 v[7:8], v2, s[42:43]
	s_waitcnt vmcnt(1)
	v_and_b32_e32 v3, v3, v5
	v_and_b32_e32 v4, v4, v6
	v_mul_lo_u32 v4, v4, 24
	v_mul_hi_u32 v9, v3, 24
	v_mul_lo_u32 v3, v3, 24
	v_add_u32_e32 v4, v9, v4
	s_waitcnt vmcnt(0)
	v_add_co_u32_e32 v3, vcc, v7, v3
	v_addc_co_u32_e32 v4, vcc, v8, v4, vcc
	global_load_dwordx2 v[3:4], v[3:4], off glc
	s_waitcnt vmcnt(0)
	global_atomic_cmpswap_x2 v[8:9], v2, v[3:6], s[42:43] offset:24 glc
	s_waitcnt vmcnt(0)
	buffer_wbinvl1_vol
	v_cmp_ne_u64_e32 vcc, v[8:9], v[5:6]
	s_and_saveexec_b64 s[16:17], vcc
	s_cbranch_execz .LBB8_641
; %bb.638:
	s_mov_b64 s[18:19], 0
.LBB8_639:                              ; =>This Inner Loop Header: Depth=1
	s_sleep 1
	global_load_dwordx2 v[3:4], v2, s[42:43] offset:40
	global_load_dwordx2 v[10:11], v2, s[42:43]
	v_mov_b32_e32 v5, v8
	v_mov_b32_e32 v6, v9
	s_waitcnt vmcnt(1)
	v_and_b32_e32 v3, v3, v5
	s_waitcnt vmcnt(0)
	v_mad_u64_u32 v[7:8], s[20:21], v3, 24, v[10:11]
	v_and_b32_e32 v4, v4, v6
	v_mov_b32_e32 v3, v8
	v_mad_u64_u32 v[3:4], s[20:21], v4, 24, v[3:4]
	v_mov_b32_e32 v8, v3
	global_load_dwordx2 v[3:4], v[7:8], off glc
	s_waitcnt vmcnt(0)
	global_atomic_cmpswap_x2 v[8:9], v2, v[3:6], s[42:43] offset:24 glc
	s_waitcnt vmcnt(0)
	buffer_wbinvl1_vol
	v_cmp_eq_u64_e32 vcc, v[8:9], v[5:6]
	s_or_b64 s[18:19], vcc, s[18:19]
	s_andn2_b64 exec, exec, s[18:19]
	s_cbranch_execnz .LBB8_639
; %bb.640:
	s_or_b64 exec, exec, s[18:19]
.LBB8_641:
	s_or_b64 exec, exec, s[16:17]
.LBB8_642:
	s_or_b64 exec, exec, s[10:11]
	v_mov_b32_e32 v2, 0
	global_load_dwordx2 v[10:11], v2, s[42:43] offset:40
	global_load_dwordx4 v[4:7], v2, s[42:43]
	v_readfirstlane_b32 s10, v8
	v_readfirstlane_b32 s11, v9
	s_mov_b64 s[16:17], exec
	s_waitcnt vmcnt(1)
	v_readfirstlane_b32 s18, v10
	v_readfirstlane_b32 s19, v11
	s_and_b64 s[18:19], s[10:11], s[18:19]
	s_mul_i32 s15, s19, 24
	s_mul_hi_u32 s20, s18, 24
	s_mul_i32 s21, s18, 24
	s_add_i32 s15, s20, s15
	v_mov_b32_e32 v3, s15
	s_waitcnt vmcnt(0)
	v_add_co_u32_e32 v8, vcc, s21, v4
	v_addc_co_u32_e32 v9, vcc, v5, v3, vcc
	s_and_saveexec_b64 s[20:21], s[4:5]
	s_cbranch_execz .LBB8_644
; %bb.643:
	v_mov_b32_e32 v10, s16
	v_mov_b32_e32 v11, s17
	;; [unrolled: 1-line block ×4, first 2 shown]
	global_store_dwordx4 v[8:9], v[10:13], off offset:8
.LBB8_644:
	s_or_b64 exec, exec, s[20:21]
	s_lshl_b64 s[16:17], s[18:19], 12
	v_mov_b32_e32 v3, s17
	v_add_co_u32_e32 v6, vcc, s16, v6
	v_addc_co_u32_e32 v7, vcc, v7, v3, vcc
	s_movk_i32 s15, 0xff1d
	v_and_or_b32 v0, v0, s15, 34
	s_mov_b32 s16, 0
	v_mov_b32_e32 v3, v2
	v_readfirstlane_b32 s20, v6
	v_readfirstlane_b32 s21, v7
	s_mov_b32 s17, s16
	s_mov_b32 s18, s16
	;; [unrolled: 1-line block ×3, first 2 shown]
	s_nop 1
	global_store_dwordx4 v50, v[0:3], s[20:21]
	s_nop 0
	v_mov_b32_e32 v0, s16
	v_mov_b32_e32 v1, s17
	v_mov_b32_e32 v2, s18
	v_mov_b32_e32 v3, s19
	global_store_dwordx4 v50, v[0:3], s[20:21] offset:16
	global_store_dwordx4 v50, v[0:3], s[20:21] offset:32
	;; [unrolled: 1-line block ×3, first 2 shown]
	s_and_saveexec_b64 s[16:17], s[4:5]
	s_cbranch_execz .LBB8_652
; %bb.645:
	v_mov_b32_e32 v6, 0
	global_load_dwordx2 v[12:13], v6, s[42:43] offset:32 glc
	global_load_dwordx2 v[0:1], v6, s[42:43] offset:40
	v_mov_b32_e32 v10, s10
	v_mov_b32_e32 v11, s11
	s_waitcnt vmcnt(0)
	v_readfirstlane_b32 s18, v0
	v_readfirstlane_b32 s19, v1
	s_and_b64 s[18:19], s[18:19], s[10:11]
	s_mul_i32 s15, s19, 24
	s_mul_hi_u32 s19, s18, 24
	s_mul_i32 s18, s18, 24
	s_add_i32 s15, s19, s15
	v_mov_b32_e32 v0, s15
	v_add_co_u32_e32 v4, vcc, s18, v4
	v_addc_co_u32_e32 v5, vcc, v5, v0, vcc
	global_store_dwordx2 v[4:5], v[12:13], off
	s_waitcnt vmcnt(0)
	global_atomic_cmpswap_x2 v[2:3], v6, v[10:13], s[42:43] offset:32 glc
	s_waitcnt vmcnt(0)
	v_cmp_ne_u64_e32 vcc, v[2:3], v[12:13]
	s_and_saveexec_b64 s[18:19], vcc
	s_cbranch_execz .LBB8_648
; %bb.646:
	s_mov_b64 s[20:21], 0
.LBB8_647:                              ; =>This Inner Loop Header: Depth=1
	s_sleep 1
	global_store_dwordx2 v[4:5], v[2:3], off
	v_mov_b32_e32 v0, s10
	v_mov_b32_e32 v1, s11
	s_waitcnt vmcnt(0)
	global_atomic_cmpswap_x2 v[0:1], v6, v[0:3], s[42:43] offset:32 glc
	s_waitcnt vmcnt(0)
	v_cmp_eq_u64_e32 vcc, v[0:1], v[2:3]
	v_mov_b32_e32 v3, v1
	s_or_b64 s[20:21], vcc, s[20:21]
	v_mov_b32_e32 v2, v0
	s_andn2_b64 exec, exec, s[20:21]
	s_cbranch_execnz .LBB8_647
.LBB8_648:
	s_or_b64 exec, exec, s[18:19]
	v_mov_b32_e32 v3, 0
	global_load_dwordx2 v[0:1], v3, s[42:43] offset:16
	s_mov_b64 s[18:19], exec
	v_mbcnt_lo_u32_b32 v2, s18, 0
	v_mbcnt_hi_u32_b32 v2, s19, v2
	v_cmp_eq_u32_e32 vcc, 0, v2
	s_and_saveexec_b64 s[20:21], vcc
	s_cbranch_execz .LBB8_650
; %bb.649:
	s_bcnt1_i32_b64 s15, s[18:19]
	v_mov_b32_e32 v2, s15
	s_waitcnt vmcnt(0)
	global_atomic_add_x2 v[0:1], v[2:3], off offset:8
.LBB8_650:
	s_or_b64 exec, exec, s[20:21]
	s_waitcnt vmcnt(0)
	global_load_dwordx2 v[2:3], v[0:1], off offset:16
	s_waitcnt vmcnt(0)
	v_cmp_eq_u64_e32 vcc, 0, v[2:3]
	s_cbranch_vccnz .LBB8_652
; %bb.651:
	global_load_dword v0, v[0:1], off offset:24
	v_mov_b32_e32 v1, 0
	s_waitcnt vmcnt(0)
	global_store_dwordx2 v[2:3], v[0:1], off
	v_and_b32_e32 v0, 0xffffff, v0
	v_readfirstlane_b32 m0, v0
	s_sendmsg sendmsg(MSG_INTERRUPT)
.LBB8_652:
	s_or_b64 exec, exec, s[16:17]
	s_branch .LBB8_656
.LBB8_653:                              ;   in Loop: Header=BB8_656 Depth=1
	s_or_b64 exec, exec, s[16:17]
	v_readfirstlane_b32 s15, v0
	s_cmp_eq_u32 s15, 0
	s_cbranch_scc1 .LBB8_655
; %bb.654:                              ;   in Loop: Header=BB8_656 Depth=1
	s_sleep 1
	s_cbranch_execnz .LBB8_656
	s_branch .LBB8_658
.LBB8_655:
	s_branch .LBB8_658
.LBB8_656:                              ; =>This Inner Loop Header: Depth=1
	v_mov_b32_e32 v0, 1
	s_and_saveexec_b64 s[16:17], s[4:5]
	s_cbranch_execz .LBB8_653
; %bb.657:                              ;   in Loop: Header=BB8_656 Depth=1
	global_load_dword v0, v[8:9], off offset:20 glc
	s_waitcnt vmcnt(0)
	buffer_wbinvl1_vol
	v_and_b32_e32 v0, 1, v0
	s_branch .LBB8_653
.LBB8_658:
	s_and_saveexec_b64 s[16:17], s[4:5]
	s_cbranch_execz .LBB8_661
; %bb.659:
	v_mov_b32_e32 v6, 0
	global_load_dwordx2 v[2:3], v6, s[42:43] offset:40
	global_load_dwordx2 v[7:8], v6, s[42:43] offset:24 glc
	global_load_dwordx2 v[4:5], v6, s[42:43]
	v_mov_b32_e32 v1, s11
	s_mov_b64 s[4:5], 0
	s_waitcnt vmcnt(2)
	v_add_co_u32_e32 v9, vcc, 1, v2
	v_addc_co_u32_e32 v10, vcc, 0, v3, vcc
	v_add_co_u32_e32 v0, vcc, s10, v9
	v_addc_co_u32_e32 v1, vcc, v10, v1, vcc
	v_cmp_eq_u64_e32 vcc, 0, v[0:1]
	v_cndmask_b32_e32 v1, v1, v10, vcc
	v_cndmask_b32_e32 v0, v0, v9, vcc
	v_and_b32_e32 v3, v1, v3
	v_and_b32_e32 v2, v0, v2
	v_mul_lo_u32 v3, v3, 24
	v_mul_hi_u32 v9, v2, 24
	v_mul_lo_u32 v10, v2, 24
	s_waitcnt vmcnt(1)
	v_mov_b32_e32 v2, v7
	v_add_u32_e32 v3, v9, v3
	s_waitcnt vmcnt(0)
	v_add_co_u32_e32 v4, vcc, v4, v10
	v_addc_co_u32_e32 v5, vcc, v5, v3, vcc
	global_store_dwordx2 v[4:5], v[7:8], off
	v_mov_b32_e32 v3, v8
	s_waitcnt vmcnt(0)
	global_atomic_cmpswap_x2 v[2:3], v6, v[0:3], s[42:43] offset:24 glc
	s_waitcnt vmcnt(0)
	v_cmp_ne_u64_e32 vcc, v[2:3], v[7:8]
	s_and_b64 exec, exec, vcc
	s_cbranch_execz .LBB8_661
.LBB8_660:                              ; =>This Inner Loop Header: Depth=1
	s_sleep 1
	global_store_dwordx2 v[4:5], v[2:3], off
	s_waitcnt vmcnt(0)
	global_atomic_cmpswap_x2 v[7:8], v6, v[0:3], s[42:43] offset:24 glc
	s_waitcnt vmcnt(0)
	v_cmp_eq_u64_e32 vcc, v[7:8], v[2:3]
	v_mov_b32_e32 v2, v7
	s_or_b64 s[4:5], vcc, s[4:5]
	v_mov_b32_e32 v3, v8
	s_andn2_b64 exec, exec, s[4:5]
	s_cbranch_execnz .LBB8_660
.LBB8_661:
	s_or_b64 exec, exec, s[16:17]
.LBB8_662:
	v_readfirstlane_b32 s4, v51
	s_waitcnt vmcnt(0)
	v_mov_b32_e32 v5, 0
	v_mov_b32_e32 v6, 0
	v_cmp_eq_u32_e64 s[4:5], s4, v51
	s_and_saveexec_b64 s[10:11], s[4:5]
	s_cbranch_execz .LBB8_668
; %bb.663:
	v_mov_b32_e32 v0, 0
	global_load_dwordx2 v[3:4], v0, s[42:43] offset:24 glc
	s_waitcnt vmcnt(0)
	buffer_wbinvl1_vol
	global_load_dwordx2 v[1:2], v0, s[42:43] offset:40
	global_load_dwordx2 v[5:6], v0, s[42:43]
	s_waitcnt vmcnt(1)
	v_and_b32_e32 v1, v1, v3
	v_and_b32_e32 v2, v2, v4
	v_mul_lo_u32 v2, v2, 24
	v_mul_hi_u32 v7, v1, 24
	v_mul_lo_u32 v1, v1, 24
	v_add_u32_e32 v2, v7, v2
	s_waitcnt vmcnt(0)
	v_add_co_u32_e32 v1, vcc, v5, v1
	v_addc_co_u32_e32 v2, vcc, v6, v2, vcc
	global_load_dwordx2 v[1:2], v[1:2], off glc
	s_waitcnt vmcnt(0)
	global_atomic_cmpswap_x2 v[5:6], v0, v[1:4], s[42:43] offset:24 glc
	s_waitcnt vmcnt(0)
	buffer_wbinvl1_vol
	v_cmp_ne_u64_e32 vcc, v[5:6], v[3:4]
	s_and_saveexec_b64 s[16:17], vcc
	s_cbranch_execz .LBB8_667
; %bb.664:
	s_mov_b64 s[18:19], 0
.LBB8_665:                              ; =>This Inner Loop Header: Depth=1
	s_sleep 1
	global_load_dwordx2 v[1:2], v0, s[42:43] offset:40
	global_load_dwordx2 v[7:8], v0, s[42:43]
	v_mov_b32_e32 v3, v5
	v_mov_b32_e32 v4, v6
	s_waitcnt vmcnt(1)
	v_and_b32_e32 v1, v1, v3
	s_waitcnt vmcnt(0)
	v_mad_u64_u32 v[5:6], s[20:21], v1, 24, v[7:8]
	v_and_b32_e32 v2, v2, v4
	v_mov_b32_e32 v1, v6
	v_mad_u64_u32 v[1:2], s[20:21], v2, 24, v[1:2]
	v_mov_b32_e32 v6, v1
	global_load_dwordx2 v[1:2], v[5:6], off glc
	s_waitcnt vmcnt(0)
	global_atomic_cmpswap_x2 v[5:6], v0, v[1:4], s[42:43] offset:24 glc
	s_waitcnt vmcnt(0)
	buffer_wbinvl1_vol
	v_cmp_eq_u64_e32 vcc, v[5:6], v[3:4]
	s_or_b64 s[18:19], vcc, s[18:19]
	s_andn2_b64 exec, exec, s[18:19]
	s_cbranch_execnz .LBB8_665
; %bb.666:
	s_or_b64 exec, exec, s[18:19]
.LBB8_667:
	s_or_b64 exec, exec, s[16:17]
.LBB8_668:
	s_or_b64 exec, exec, s[10:11]
	v_mov_b32_e32 v4, 0
	global_load_dwordx2 v[7:8], v4, s[42:43] offset:40
	global_load_dwordx4 v[0:3], v4, s[42:43]
	v_readfirstlane_b32 s10, v5
	v_readfirstlane_b32 s11, v6
	s_mov_b64 s[16:17], exec
	s_waitcnt vmcnt(1)
	v_readfirstlane_b32 s18, v7
	v_readfirstlane_b32 s19, v8
	s_and_b64 s[18:19], s[10:11], s[18:19]
	s_mul_i32 s15, s19, 24
	s_mul_hi_u32 s20, s18, 24
	s_mul_i32 s21, s18, 24
	s_add_i32 s15, s20, s15
	v_mov_b32_e32 v5, s15
	s_waitcnt vmcnt(0)
	v_add_co_u32_e32 v7, vcc, s21, v0
	v_addc_co_u32_e32 v8, vcc, v1, v5, vcc
	s_and_saveexec_b64 s[20:21], s[4:5]
	s_cbranch_execz .LBB8_670
; %bb.669:
	v_mov_b32_e32 v9, s16
	v_mov_b32_e32 v10, s17
	;; [unrolled: 1-line block ×4, first 2 shown]
	global_store_dwordx4 v[7:8], v[9:12], off offset:8
.LBB8_670:
	s_or_b64 exec, exec, s[20:21]
	s_lshl_b64 s[16:17], s[18:19], 12
	v_mov_b32_e32 v5, s17
	v_add_co_u32_e32 v2, vcc, s16, v2
	v_addc_co_u32_e32 v11, vcc, v3, v5, vcc
	s_mov_b32 s16, 0
	v_mov_b32_e32 v3, 33
	v_mov_b32_e32 v5, v4
	;; [unrolled: 1-line block ×3, first 2 shown]
	v_readfirstlane_b32 s20, v2
	v_readfirstlane_b32 s21, v11
	v_add_co_u32_e32 v9, vcc, v2, v50
	s_mov_b32 s17, s16
	s_mov_b32 s18, s16
	;; [unrolled: 1-line block ×3, first 2 shown]
	s_nop 0
	global_store_dwordx4 v50, v[3:6], s[20:21]
	v_mov_b32_e32 v2, s16
	v_addc_co_u32_e32 v10, vcc, 0, v11, vcc
	v_mov_b32_e32 v3, s17
	v_mov_b32_e32 v4, s18
	;; [unrolled: 1-line block ×3, first 2 shown]
	global_store_dwordx4 v50, v[2:5], s[20:21] offset:16
	global_store_dwordx4 v50, v[2:5], s[20:21] offset:32
	;; [unrolled: 1-line block ×3, first 2 shown]
	s_and_saveexec_b64 s[16:17], s[4:5]
	s_cbranch_execz .LBB8_678
; %bb.671:
	v_mov_b32_e32 v6, 0
	global_load_dwordx2 v[13:14], v6, s[42:43] offset:32 glc
	global_load_dwordx2 v[2:3], v6, s[42:43] offset:40
	v_mov_b32_e32 v11, s10
	v_mov_b32_e32 v12, s11
	s_waitcnt vmcnt(0)
	v_readfirstlane_b32 s18, v2
	v_readfirstlane_b32 s19, v3
	s_and_b64 s[18:19], s[18:19], s[10:11]
	s_mul_i32 s15, s19, 24
	s_mul_hi_u32 s19, s18, 24
	s_mul_i32 s18, s18, 24
	s_add_i32 s15, s19, s15
	v_mov_b32_e32 v2, s15
	v_add_co_u32_e32 v4, vcc, s18, v0
	v_addc_co_u32_e32 v5, vcc, v1, v2, vcc
	global_store_dwordx2 v[4:5], v[13:14], off
	s_waitcnt vmcnt(0)
	global_atomic_cmpswap_x2 v[2:3], v6, v[11:14], s[42:43] offset:32 glc
	s_waitcnt vmcnt(0)
	v_cmp_ne_u64_e32 vcc, v[2:3], v[13:14]
	s_and_saveexec_b64 s[18:19], vcc
	s_cbranch_execz .LBB8_674
; %bb.672:
	s_mov_b64 s[20:21], 0
.LBB8_673:                              ; =>This Inner Loop Header: Depth=1
	s_sleep 1
	global_store_dwordx2 v[4:5], v[2:3], off
	v_mov_b32_e32 v0, s10
	v_mov_b32_e32 v1, s11
	s_waitcnt vmcnt(0)
	global_atomic_cmpswap_x2 v[0:1], v6, v[0:3], s[42:43] offset:32 glc
	s_waitcnt vmcnt(0)
	v_cmp_eq_u64_e32 vcc, v[0:1], v[2:3]
	v_mov_b32_e32 v3, v1
	s_or_b64 s[20:21], vcc, s[20:21]
	v_mov_b32_e32 v2, v0
	s_andn2_b64 exec, exec, s[20:21]
	s_cbranch_execnz .LBB8_673
.LBB8_674:
	s_or_b64 exec, exec, s[18:19]
	v_mov_b32_e32 v3, 0
	global_load_dwordx2 v[0:1], v3, s[42:43] offset:16
	s_mov_b64 s[18:19], exec
	v_mbcnt_lo_u32_b32 v2, s18, 0
	v_mbcnt_hi_u32_b32 v2, s19, v2
	v_cmp_eq_u32_e32 vcc, 0, v2
	s_and_saveexec_b64 s[20:21], vcc
	s_cbranch_execz .LBB8_676
; %bb.675:
	s_bcnt1_i32_b64 s15, s[18:19]
	v_mov_b32_e32 v2, s15
	s_waitcnt vmcnt(0)
	global_atomic_add_x2 v[0:1], v[2:3], off offset:8
.LBB8_676:
	s_or_b64 exec, exec, s[20:21]
	s_waitcnt vmcnt(0)
	global_load_dwordx2 v[2:3], v[0:1], off offset:16
	s_waitcnt vmcnt(0)
	v_cmp_eq_u64_e32 vcc, 0, v[2:3]
	s_cbranch_vccnz .LBB8_678
; %bb.677:
	global_load_dword v0, v[0:1], off offset:24
	v_mov_b32_e32 v1, 0
	s_waitcnt vmcnt(0)
	global_store_dwordx2 v[2:3], v[0:1], off
	v_and_b32_e32 v0, 0xffffff, v0
	v_readfirstlane_b32 m0, v0
	s_sendmsg sendmsg(MSG_INTERRUPT)
.LBB8_678:
	s_or_b64 exec, exec, s[16:17]
	s_branch .LBB8_682
.LBB8_679:                              ;   in Loop: Header=BB8_682 Depth=1
	s_or_b64 exec, exec, s[16:17]
	v_readfirstlane_b32 s15, v0
	s_cmp_eq_u32 s15, 0
	s_cbranch_scc1 .LBB8_681
; %bb.680:                              ;   in Loop: Header=BB8_682 Depth=1
	s_sleep 1
	s_cbranch_execnz .LBB8_682
	s_branch .LBB8_684
.LBB8_681:
	s_branch .LBB8_684
.LBB8_682:                              ; =>This Inner Loop Header: Depth=1
	v_mov_b32_e32 v0, 1
	s_and_saveexec_b64 s[16:17], s[4:5]
	s_cbranch_execz .LBB8_679
; %bb.683:                              ;   in Loop: Header=BB8_682 Depth=1
	global_load_dword v0, v[7:8], off offset:20 glc
	s_waitcnt vmcnt(0)
	buffer_wbinvl1_vol
	v_and_b32_e32 v0, 1, v0
	s_branch .LBB8_679
.LBB8_684:
	global_load_dwordx2 v[0:1], v[9:10], off
	s_and_saveexec_b64 s[16:17], s[4:5]
	s_cbranch_execz .LBB8_687
; %bb.685:
	v_mov_b32_e32 v8, 0
	global_load_dwordx2 v[4:5], v8, s[42:43] offset:40
	global_load_dwordx2 v[9:10], v8, s[42:43] offset:24 glc
	global_load_dwordx2 v[6:7], v8, s[42:43]
	v_mov_b32_e32 v3, s11
	s_mov_b64 s[4:5], 0
	s_waitcnt vmcnt(2)
	v_add_co_u32_e32 v11, vcc, 1, v4
	v_addc_co_u32_e32 v12, vcc, 0, v5, vcc
	v_add_co_u32_e32 v2, vcc, s10, v11
	v_addc_co_u32_e32 v3, vcc, v12, v3, vcc
	v_cmp_eq_u64_e32 vcc, 0, v[2:3]
	v_cndmask_b32_e32 v3, v3, v12, vcc
	v_cndmask_b32_e32 v2, v2, v11, vcc
	v_and_b32_e32 v5, v3, v5
	v_and_b32_e32 v4, v2, v4
	v_mul_lo_u32 v5, v5, 24
	v_mul_hi_u32 v11, v4, 24
	v_mul_lo_u32 v12, v4, 24
	s_waitcnt vmcnt(1)
	v_mov_b32_e32 v4, v9
	v_add_u32_e32 v5, v11, v5
	s_waitcnt vmcnt(0)
	v_add_co_u32_e32 v6, vcc, v6, v12
	v_addc_co_u32_e32 v7, vcc, v7, v5, vcc
	global_store_dwordx2 v[6:7], v[9:10], off
	v_mov_b32_e32 v5, v10
	s_waitcnt vmcnt(0)
	global_atomic_cmpswap_x2 v[4:5], v8, v[2:5], s[42:43] offset:24 glc
	s_waitcnt vmcnt(0)
	v_cmp_ne_u64_e32 vcc, v[4:5], v[9:10]
	s_and_b64 exec, exec, vcc
	s_cbranch_execz .LBB8_687
.LBB8_686:                              ; =>This Inner Loop Header: Depth=1
	s_sleep 1
	global_store_dwordx2 v[6:7], v[4:5], off
	s_waitcnt vmcnt(0)
	global_atomic_cmpswap_x2 v[9:10], v8, v[2:5], s[42:43] offset:24 glc
	s_waitcnt vmcnt(0)
	v_cmp_eq_u64_e32 vcc, v[9:10], v[4:5]
	v_mov_b32_e32 v4, v9
	s_or_b64 s[4:5], vcc, s[4:5]
	v_mov_b32_e32 v5, v10
	s_andn2_b64 exec, exec, s[4:5]
	s_cbranch_execnz .LBB8_686
.LBB8_687:
	s_or_b64 exec, exec, s[16:17]
	s_and_b64 vcc, exec, s[44:45]
	s_cbranch_vccz .LBB8_772
; %bb.688:
	s_waitcnt vmcnt(0)
	v_and_b32_e32 v31, 2, v0
	v_mov_b32_e32 v28, 0
	v_and_b32_e32 v2, -3, v0
	v_mov_b32_e32 v3, v1
	s_mov_b64 s[16:17], 3
	v_mov_b32_e32 v6, 2
	v_mov_b32_e32 v7, 1
	s_getpc_b64 s[10:11]
	s_add_u32 s10, s10, .str.8@rel32@lo+4
	s_addc_u32 s11, s11, .str.8@rel32@hi+12
	s_branch .LBB8_690
.LBB8_689:                              ;   in Loop: Header=BB8_690 Depth=1
	s_or_b64 exec, exec, s[22:23]
	s_sub_u32 s16, s16, s18
	s_subb_u32 s17, s17, s19
	s_add_u32 s10, s10, s18
	s_addc_u32 s11, s11, s19
	s_cmp_lg_u64 s[16:17], 0
	s_cbranch_scc0 .LBB8_771
.LBB8_690:                              ; =>This Loop Header: Depth=1
                                        ;     Child Loop BB8_693 Depth 2
                                        ;     Child Loop BB8_700 Depth 2
	;; [unrolled: 1-line block ×11, first 2 shown]
	v_cmp_lt_u64_e64 s[4:5], s[16:17], 56
	v_cmp_gt_u64_e64 s[20:21], s[16:17], 7
	s_and_b64 s[4:5], s[4:5], exec
	s_cselect_b32 s19, s17, 0
	s_cselect_b32 s18, s16, 56
	s_and_b64 vcc, exec, s[20:21]
	s_cbranch_vccnz .LBB8_695
; %bb.691:                              ;   in Loop: Header=BB8_690 Depth=1
	v_mov_b32_e32 v10, 0
	s_cmp_eq_u64 s[16:17], 0
	v_mov_b32_e32 v11, 0
	s_mov_b64 s[4:5], 0
	s_cbranch_scc1 .LBB8_694
; %bb.692:                              ;   in Loop: Header=BB8_690 Depth=1
	v_mov_b32_e32 v10, 0
	s_lshl_b64 s[20:21], s[18:19], 3
	s_mov_b64 s[22:23], 0
	v_mov_b32_e32 v11, 0
	s_mov_b64 s[24:25], s[10:11]
.LBB8_693:                              ;   Parent Loop BB8_690 Depth=1
                                        ; =>  This Inner Loop Header: Depth=2
	global_load_ubyte v4, v28, s[24:25]
	s_waitcnt vmcnt(0)
	v_and_b32_e32 v27, 0xffff, v4
	v_lshlrev_b64 v[4:5], s22, v[27:28]
	s_add_u32 s22, s22, 8
	s_addc_u32 s23, s23, 0
	s_add_u32 s24, s24, 1
	s_addc_u32 s25, s25, 0
	v_or_b32_e32 v10, v4, v10
	s_cmp_lg_u32 s20, s22
	v_or_b32_e32 v11, v5, v11
	s_cbranch_scc1 .LBB8_693
.LBB8_694:                              ;   in Loop: Header=BB8_690 Depth=1
	s_mov_b32 s15, 0
	s_andn2_b64 vcc, exec, s[4:5]
	s_mov_b64 s[4:5], s[10:11]
	s_cbranch_vccz .LBB8_696
	s_branch .LBB8_697
.LBB8_695:                              ;   in Loop: Header=BB8_690 Depth=1
                                        ; implicit-def: $vgpr10_vgpr11
                                        ; implicit-def: $sgpr15
	s_mov_b64 s[4:5], s[10:11]
.LBB8_696:                              ;   in Loop: Header=BB8_690 Depth=1
	global_load_dwordx2 v[10:11], v28, s[10:11]
	s_add_i32 s15, s18, -8
	s_add_u32 s4, s10, 8
	s_addc_u32 s5, s11, 0
.LBB8_697:                              ;   in Loop: Header=BB8_690 Depth=1
	s_cmp_gt_u32 s15, 7
	s_cbranch_scc1 .LBB8_701
; %bb.698:                              ;   in Loop: Header=BB8_690 Depth=1
	s_cmp_eq_u32 s15, 0
	s_cbranch_scc1 .LBB8_702
; %bb.699:                              ;   in Loop: Header=BB8_690 Depth=1
	v_mov_b32_e32 v12, 0
	s_mov_b64 s[20:21], 0
	v_mov_b32_e32 v13, 0
	s_mov_b64 s[22:23], 0
.LBB8_700:                              ;   Parent Loop BB8_690 Depth=1
                                        ; =>  This Inner Loop Header: Depth=2
	s_add_u32 s24, s4, s22
	s_addc_u32 s25, s5, s23
	global_load_ubyte v4, v28, s[24:25]
	s_add_u32 s22, s22, 1
	s_addc_u32 s23, s23, 0
	s_waitcnt vmcnt(0)
	v_and_b32_e32 v27, 0xffff, v4
	v_lshlrev_b64 v[4:5], s20, v[27:28]
	s_add_u32 s20, s20, 8
	s_addc_u32 s21, s21, 0
	v_or_b32_e32 v12, v4, v12
	s_cmp_lg_u32 s15, s22
	v_or_b32_e32 v13, v5, v13
	s_cbranch_scc1 .LBB8_700
	s_branch .LBB8_703
.LBB8_701:                              ;   in Loop: Header=BB8_690 Depth=1
                                        ; implicit-def: $vgpr12_vgpr13
                                        ; implicit-def: $sgpr24
	s_branch .LBB8_704
.LBB8_702:                              ;   in Loop: Header=BB8_690 Depth=1
	v_mov_b32_e32 v12, 0
	v_mov_b32_e32 v13, 0
.LBB8_703:                              ;   in Loop: Header=BB8_690 Depth=1
	s_mov_b32 s24, 0
	s_cbranch_execnz .LBB8_705
.LBB8_704:                              ;   in Loop: Header=BB8_690 Depth=1
	global_load_dwordx2 v[12:13], v28, s[4:5]
	s_add_i32 s24, s15, -8
	s_add_u32 s4, s4, 8
	s_addc_u32 s5, s5, 0
.LBB8_705:                              ;   in Loop: Header=BB8_690 Depth=1
	s_cmp_gt_u32 s24, 7
	s_cbranch_scc1 .LBB8_709
; %bb.706:                              ;   in Loop: Header=BB8_690 Depth=1
	s_cmp_eq_u32 s24, 0
	s_cbranch_scc1 .LBB8_710
; %bb.707:                              ;   in Loop: Header=BB8_690 Depth=1
	v_mov_b32_e32 v14, 0
	s_mov_b64 s[20:21], 0
	v_mov_b32_e32 v15, 0
	s_mov_b64 s[22:23], 0
.LBB8_708:                              ;   Parent Loop BB8_690 Depth=1
                                        ; =>  This Inner Loop Header: Depth=2
	s_add_u32 s26, s4, s22
	s_addc_u32 s27, s5, s23
	global_load_ubyte v4, v28, s[26:27]
	s_add_u32 s22, s22, 1
	s_addc_u32 s23, s23, 0
	s_waitcnt vmcnt(0)
	v_and_b32_e32 v27, 0xffff, v4
	v_lshlrev_b64 v[4:5], s20, v[27:28]
	s_add_u32 s20, s20, 8
	s_addc_u32 s21, s21, 0
	v_or_b32_e32 v14, v4, v14
	s_cmp_lg_u32 s24, s22
	v_or_b32_e32 v15, v5, v15
	s_cbranch_scc1 .LBB8_708
	s_branch .LBB8_711
.LBB8_709:                              ;   in Loop: Header=BB8_690 Depth=1
                                        ; implicit-def: $sgpr15
	s_branch .LBB8_712
.LBB8_710:                              ;   in Loop: Header=BB8_690 Depth=1
	v_mov_b32_e32 v14, 0
	v_mov_b32_e32 v15, 0
.LBB8_711:                              ;   in Loop: Header=BB8_690 Depth=1
	s_mov_b32 s15, 0
	s_cbranch_execnz .LBB8_713
.LBB8_712:                              ;   in Loop: Header=BB8_690 Depth=1
	global_load_dwordx2 v[14:15], v28, s[4:5]
	s_add_i32 s15, s24, -8
	s_add_u32 s4, s4, 8
	s_addc_u32 s5, s5, 0
.LBB8_713:                              ;   in Loop: Header=BB8_690 Depth=1
	s_cmp_gt_u32 s15, 7
	s_cbranch_scc1 .LBB8_717
; %bb.714:                              ;   in Loop: Header=BB8_690 Depth=1
	s_cmp_eq_u32 s15, 0
	s_cbranch_scc1 .LBB8_718
; %bb.715:                              ;   in Loop: Header=BB8_690 Depth=1
	v_mov_b32_e32 v16, 0
	s_mov_b64 s[20:21], 0
	v_mov_b32_e32 v17, 0
	s_mov_b64 s[22:23], 0
.LBB8_716:                              ;   Parent Loop BB8_690 Depth=1
                                        ; =>  This Inner Loop Header: Depth=2
	s_add_u32 s24, s4, s22
	s_addc_u32 s25, s5, s23
	global_load_ubyte v4, v28, s[24:25]
	s_add_u32 s22, s22, 1
	s_addc_u32 s23, s23, 0
	s_waitcnt vmcnt(0)
	v_and_b32_e32 v27, 0xffff, v4
	v_lshlrev_b64 v[4:5], s20, v[27:28]
	s_add_u32 s20, s20, 8
	s_addc_u32 s21, s21, 0
	v_or_b32_e32 v16, v4, v16
	s_cmp_lg_u32 s15, s22
	v_or_b32_e32 v17, v5, v17
	s_cbranch_scc1 .LBB8_716
	s_branch .LBB8_719
.LBB8_717:                              ;   in Loop: Header=BB8_690 Depth=1
                                        ; implicit-def: $vgpr16_vgpr17
                                        ; implicit-def: $sgpr24
	s_branch .LBB8_720
.LBB8_718:                              ;   in Loop: Header=BB8_690 Depth=1
	v_mov_b32_e32 v16, 0
	v_mov_b32_e32 v17, 0
.LBB8_719:                              ;   in Loop: Header=BB8_690 Depth=1
	s_mov_b32 s24, 0
	s_cbranch_execnz .LBB8_721
.LBB8_720:                              ;   in Loop: Header=BB8_690 Depth=1
	global_load_dwordx2 v[16:17], v28, s[4:5]
	s_add_i32 s24, s15, -8
	s_add_u32 s4, s4, 8
	s_addc_u32 s5, s5, 0
.LBB8_721:                              ;   in Loop: Header=BB8_690 Depth=1
	s_cmp_gt_u32 s24, 7
	s_cbranch_scc1 .LBB8_725
; %bb.722:                              ;   in Loop: Header=BB8_690 Depth=1
	s_cmp_eq_u32 s24, 0
	s_cbranch_scc1 .LBB8_726
; %bb.723:                              ;   in Loop: Header=BB8_690 Depth=1
	v_mov_b32_e32 v18, 0
	s_mov_b64 s[20:21], 0
	v_mov_b32_e32 v19, 0
	s_mov_b64 s[22:23], 0
.LBB8_724:                              ;   Parent Loop BB8_690 Depth=1
                                        ; =>  This Inner Loop Header: Depth=2
	s_add_u32 s26, s4, s22
	s_addc_u32 s27, s5, s23
	global_load_ubyte v4, v28, s[26:27]
	s_add_u32 s22, s22, 1
	s_addc_u32 s23, s23, 0
	s_waitcnt vmcnt(0)
	v_and_b32_e32 v27, 0xffff, v4
	v_lshlrev_b64 v[4:5], s20, v[27:28]
	s_add_u32 s20, s20, 8
	s_addc_u32 s21, s21, 0
	v_or_b32_e32 v18, v4, v18
	s_cmp_lg_u32 s24, s22
	v_or_b32_e32 v19, v5, v19
	s_cbranch_scc1 .LBB8_724
	s_branch .LBB8_727
.LBB8_725:                              ;   in Loop: Header=BB8_690 Depth=1
                                        ; implicit-def: $sgpr15
	s_branch .LBB8_728
.LBB8_726:                              ;   in Loop: Header=BB8_690 Depth=1
	v_mov_b32_e32 v18, 0
	v_mov_b32_e32 v19, 0
.LBB8_727:                              ;   in Loop: Header=BB8_690 Depth=1
	s_mov_b32 s15, 0
	s_cbranch_execnz .LBB8_729
.LBB8_728:                              ;   in Loop: Header=BB8_690 Depth=1
	global_load_dwordx2 v[18:19], v28, s[4:5]
	s_add_i32 s15, s24, -8
	s_add_u32 s4, s4, 8
	s_addc_u32 s5, s5, 0
.LBB8_729:                              ;   in Loop: Header=BB8_690 Depth=1
	s_cmp_gt_u32 s15, 7
	s_cbranch_scc1 .LBB8_733
; %bb.730:                              ;   in Loop: Header=BB8_690 Depth=1
	s_cmp_eq_u32 s15, 0
	s_cbranch_scc1 .LBB8_734
; %bb.731:                              ;   in Loop: Header=BB8_690 Depth=1
	v_mov_b32_e32 v20, 0
	s_mov_b64 s[20:21], 0
	v_mov_b32_e32 v21, 0
	s_mov_b64 s[22:23], 0
.LBB8_732:                              ;   Parent Loop BB8_690 Depth=1
                                        ; =>  This Inner Loop Header: Depth=2
	s_add_u32 s24, s4, s22
	s_addc_u32 s25, s5, s23
	global_load_ubyte v4, v28, s[24:25]
	s_add_u32 s22, s22, 1
	s_addc_u32 s23, s23, 0
	s_waitcnt vmcnt(0)
	v_and_b32_e32 v27, 0xffff, v4
	v_lshlrev_b64 v[4:5], s20, v[27:28]
	s_add_u32 s20, s20, 8
	s_addc_u32 s21, s21, 0
	v_or_b32_e32 v20, v4, v20
	s_cmp_lg_u32 s15, s22
	v_or_b32_e32 v21, v5, v21
	s_cbranch_scc1 .LBB8_732
	s_branch .LBB8_735
.LBB8_733:                              ;   in Loop: Header=BB8_690 Depth=1
                                        ; implicit-def: $vgpr20_vgpr21
                                        ; implicit-def: $sgpr24
	s_branch .LBB8_736
.LBB8_734:                              ;   in Loop: Header=BB8_690 Depth=1
	v_mov_b32_e32 v20, 0
	v_mov_b32_e32 v21, 0
.LBB8_735:                              ;   in Loop: Header=BB8_690 Depth=1
	s_mov_b32 s24, 0
	s_cbranch_execnz .LBB8_737
.LBB8_736:                              ;   in Loop: Header=BB8_690 Depth=1
	global_load_dwordx2 v[20:21], v28, s[4:5]
	s_add_i32 s24, s15, -8
	s_add_u32 s4, s4, 8
	s_addc_u32 s5, s5, 0
.LBB8_737:                              ;   in Loop: Header=BB8_690 Depth=1
	s_cmp_gt_u32 s24, 7
	s_cbranch_scc1 .LBB8_741
; %bb.738:                              ;   in Loop: Header=BB8_690 Depth=1
	s_cmp_eq_u32 s24, 0
	s_cbranch_scc1 .LBB8_742
; %bb.739:                              ;   in Loop: Header=BB8_690 Depth=1
	v_mov_b32_e32 v22, 0
	s_mov_b64 s[20:21], 0
	v_mov_b32_e32 v23, 0
	s_mov_b64 s[22:23], s[4:5]
.LBB8_740:                              ;   Parent Loop BB8_690 Depth=1
                                        ; =>  This Inner Loop Header: Depth=2
	global_load_ubyte v4, v28, s[22:23]
	s_add_i32 s24, s24, -1
	s_waitcnt vmcnt(0)
	v_and_b32_e32 v27, 0xffff, v4
	v_lshlrev_b64 v[4:5], s20, v[27:28]
	s_add_u32 s20, s20, 8
	s_addc_u32 s21, s21, 0
	s_add_u32 s22, s22, 1
	s_addc_u32 s23, s23, 0
	v_or_b32_e32 v22, v4, v22
	s_cmp_lg_u32 s24, 0
	v_or_b32_e32 v23, v5, v23
	s_cbranch_scc1 .LBB8_740
	s_branch .LBB8_743
.LBB8_741:                              ;   in Loop: Header=BB8_690 Depth=1
	s_branch .LBB8_744
.LBB8_742:                              ;   in Loop: Header=BB8_690 Depth=1
	v_mov_b32_e32 v22, 0
	v_mov_b32_e32 v23, 0
.LBB8_743:                              ;   in Loop: Header=BB8_690 Depth=1
	s_cbranch_execnz .LBB8_745
.LBB8_744:                              ;   in Loop: Header=BB8_690 Depth=1
	global_load_dwordx2 v[22:23], v28, s[4:5]
.LBB8_745:                              ;   in Loop: Header=BB8_690 Depth=1
	v_readfirstlane_b32 s4, v51
	s_waitcnt vmcnt(0)
	v_mov_b32_e32 v4, 0
	v_mov_b32_e32 v5, 0
	v_cmp_eq_u32_e64 s[4:5], s4, v51
	s_and_saveexec_b64 s[20:21], s[4:5]
	s_cbranch_execz .LBB8_751
; %bb.746:                              ;   in Loop: Header=BB8_690 Depth=1
	global_load_dwordx2 v[26:27], v28, s[42:43] offset:24 glc
	s_waitcnt vmcnt(0)
	buffer_wbinvl1_vol
	global_load_dwordx2 v[4:5], v28, s[42:43] offset:40
	global_load_dwordx2 v[8:9], v28, s[42:43]
	s_waitcnt vmcnt(1)
	v_and_b32_e32 v4, v4, v26
	v_and_b32_e32 v5, v5, v27
	v_mul_lo_u32 v5, v5, 24
	v_mul_hi_u32 v24, v4, 24
	v_mul_lo_u32 v4, v4, 24
	v_add_u32_e32 v5, v24, v5
	s_waitcnt vmcnt(0)
	v_add_co_u32_e32 v4, vcc, v8, v4
	v_addc_co_u32_e32 v5, vcc, v9, v5, vcc
	global_load_dwordx2 v[24:25], v[4:5], off glc
	s_waitcnt vmcnt(0)
	global_atomic_cmpswap_x2 v[4:5], v28, v[24:27], s[42:43] offset:24 glc
	s_waitcnt vmcnt(0)
	buffer_wbinvl1_vol
	v_cmp_ne_u64_e32 vcc, v[4:5], v[26:27]
	s_and_saveexec_b64 s[22:23], vcc
	s_cbranch_execz .LBB8_750
; %bb.747:                              ;   in Loop: Header=BB8_690 Depth=1
	s_mov_b64 s[24:25], 0
.LBB8_748:                              ;   Parent Loop BB8_690 Depth=1
                                        ; =>  This Inner Loop Header: Depth=2
	s_sleep 1
	global_load_dwordx2 v[8:9], v28, s[42:43] offset:40
	global_load_dwordx2 v[24:25], v28, s[42:43]
	v_mov_b32_e32 v27, v5
	v_mov_b32_e32 v26, v4
	s_waitcnt vmcnt(1)
	v_and_b32_e32 v4, v8, v26
	s_waitcnt vmcnt(0)
	v_mad_u64_u32 v[4:5], s[26:27], v4, 24, v[24:25]
	v_and_b32_e32 v8, v9, v27
	v_mad_u64_u32 v[8:9], s[26:27], v8, 24, v[5:6]
	v_mov_b32_e32 v5, v8
	global_load_dwordx2 v[24:25], v[4:5], off glc
	s_waitcnt vmcnt(0)
	global_atomic_cmpswap_x2 v[4:5], v28, v[24:27], s[42:43] offset:24 glc
	s_waitcnt vmcnt(0)
	buffer_wbinvl1_vol
	v_cmp_eq_u64_e32 vcc, v[4:5], v[26:27]
	s_or_b64 s[24:25], vcc, s[24:25]
	s_andn2_b64 exec, exec, s[24:25]
	s_cbranch_execnz .LBB8_748
; %bb.749:                              ;   in Loop: Header=BB8_690 Depth=1
	s_or_b64 exec, exec, s[24:25]
.LBB8_750:                              ;   in Loop: Header=BB8_690 Depth=1
	s_or_b64 exec, exec, s[22:23]
.LBB8_751:                              ;   in Loop: Header=BB8_690 Depth=1
	s_or_b64 exec, exec, s[20:21]
	global_load_dwordx2 v[8:9], v28, s[42:43] offset:40
	global_load_dwordx4 v[24:27], v28, s[42:43]
	v_readfirstlane_b32 s20, v4
	v_readfirstlane_b32 s21, v5
	s_mov_b64 s[22:23], exec
	s_waitcnt vmcnt(1)
	v_readfirstlane_b32 s24, v8
	v_readfirstlane_b32 s25, v9
	s_and_b64 s[24:25], s[20:21], s[24:25]
	s_mul_i32 s15, s25, 24
	s_mul_hi_u32 s26, s24, 24
	s_mul_i32 s27, s24, 24
	s_add_i32 s15, s26, s15
	v_mov_b32_e32 v4, s15
	s_waitcnt vmcnt(0)
	v_add_co_u32_e32 v29, vcc, s27, v24
	v_addc_co_u32_e32 v30, vcc, v25, v4, vcc
	s_and_saveexec_b64 s[26:27], s[4:5]
	s_cbranch_execz .LBB8_753
; %bb.752:                              ;   in Loop: Header=BB8_690 Depth=1
	v_mov_b32_e32 v4, s22
	v_mov_b32_e32 v5, s23
	global_store_dwordx4 v[29:30], v[4:7], off offset:8
.LBB8_753:                              ;   in Loop: Header=BB8_690 Depth=1
	s_or_b64 exec, exec, s[26:27]
	s_lshl_b64 s[22:23], s[24:25], 12
	v_mov_b32_e32 v4, s23
	v_add_co_u32_e32 v26, vcc, s22, v26
	v_addc_co_u32_e32 v32, vcc, v27, v4, vcc
	v_cmp_gt_u64_e64 vcc, s[16:17], 56
	v_or_b32_e32 v5, v2, v31
	s_lshl_b32 s15, s18, 2
	v_cndmask_b32_e32 v2, v5, v2, vcc
	s_add_i32 s15, s15, 28
	v_or_b32_e32 v4, 0, v3
	s_and_b32 s15, s15, 0x1e0
	v_and_b32_e32 v2, 0xffffff1f, v2
	v_cndmask_b32_e32 v9, v4, v3, vcc
	v_or_b32_e32 v8, s15, v2
	v_readfirstlane_b32 s22, v26
	v_readfirstlane_b32 s23, v32
	s_nop 4
	global_store_dwordx4 v50, v[8:11], s[22:23]
	global_store_dwordx4 v50, v[12:15], s[22:23] offset:16
	global_store_dwordx4 v50, v[16:19], s[22:23] offset:32
	;; [unrolled: 1-line block ×3, first 2 shown]
	s_and_saveexec_b64 s[22:23], s[4:5]
	s_cbranch_execz .LBB8_761
; %bb.754:                              ;   in Loop: Header=BB8_690 Depth=1
	global_load_dwordx2 v[12:13], v28, s[42:43] offset:32 glc
	global_load_dwordx2 v[2:3], v28, s[42:43] offset:40
	v_mov_b32_e32 v10, s20
	v_mov_b32_e32 v11, s21
	s_waitcnt vmcnt(0)
	v_readfirstlane_b32 s24, v2
	v_readfirstlane_b32 s25, v3
	s_and_b64 s[24:25], s[24:25], s[20:21]
	s_mul_i32 s15, s25, 24
	s_mul_hi_u32 s25, s24, 24
	s_mul_i32 s24, s24, 24
	s_add_i32 s15, s25, s15
	v_mov_b32_e32 v2, s15
	v_add_co_u32_e32 v8, vcc, s24, v24
	v_addc_co_u32_e32 v9, vcc, v25, v2, vcc
	global_store_dwordx2 v[8:9], v[12:13], off
	s_waitcnt vmcnt(0)
	global_atomic_cmpswap_x2 v[4:5], v28, v[10:13], s[42:43] offset:32 glc
	s_waitcnt vmcnt(0)
	v_cmp_ne_u64_e32 vcc, v[4:5], v[12:13]
	s_and_saveexec_b64 s[24:25], vcc
	s_cbranch_execz .LBB8_757
; %bb.755:                              ;   in Loop: Header=BB8_690 Depth=1
	s_mov_b64 s[26:27], 0
.LBB8_756:                              ;   Parent Loop BB8_690 Depth=1
                                        ; =>  This Inner Loop Header: Depth=2
	s_sleep 1
	global_store_dwordx2 v[8:9], v[4:5], off
	v_mov_b32_e32 v2, s20
	v_mov_b32_e32 v3, s21
	s_waitcnt vmcnt(0)
	global_atomic_cmpswap_x2 v[2:3], v28, v[2:5], s[42:43] offset:32 glc
	s_waitcnt vmcnt(0)
	v_cmp_eq_u64_e32 vcc, v[2:3], v[4:5]
	v_mov_b32_e32 v5, v3
	s_or_b64 s[26:27], vcc, s[26:27]
	v_mov_b32_e32 v4, v2
	s_andn2_b64 exec, exec, s[26:27]
	s_cbranch_execnz .LBB8_756
.LBB8_757:                              ;   in Loop: Header=BB8_690 Depth=1
	s_or_b64 exec, exec, s[24:25]
	global_load_dwordx2 v[2:3], v28, s[42:43] offset:16
	s_mov_b64 s[26:27], exec
	v_mbcnt_lo_u32_b32 v4, s26, 0
	v_mbcnt_hi_u32_b32 v4, s27, v4
	v_cmp_eq_u32_e32 vcc, 0, v4
	s_and_saveexec_b64 s[24:25], vcc
	s_cbranch_execz .LBB8_759
; %bb.758:                              ;   in Loop: Header=BB8_690 Depth=1
	s_bcnt1_i32_b64 s15, s[26:27]
	v_mov_b32_e32 v27, s15
	s_waitcnt vmcnt(0)
	global_atomic_add_x2 v[2:3], v[27:28], off offset:8
.LBB8_759:                              ;   in Loop: Header=BB8_690 Depth=1
	s_or_b64 exec, exec, s[24:25]
	s_waitcnt vmcnt(0)
	global_load_dwordx2 v[4:5], v[2:3], off offset:16
	s_waitcnt vmcnt(0)
	v_cmp_eq_u64_e32 vcc, 0, v[4:5]
	s_cbranch_vccnz .LBB8_761
; %bb.760:                              ;   in Loop: Header=BB8_690 Depth=1
	global_load_dword v27, v[2:3], off offset:24
	s_waitcnt vmcnt(0)
	v_and_b32_e32 v2, 0xffffff, v27
	v_readfirstlane_b32 m0, v2
	global_store_dwordx2 v[4:5], v[27:28], off
	s_sendmsg sendmsg(MSG_INTERRUPT)
.LBB8_761:                              ;   in Loop: Header=BB8_690 Depth=1
	s_or_b64 exec, exec, s[22:23]
	v_add_co_u32_e32 v2, vcc, v26, v50
	v_addc_co_u32_e32 v3, vcc, 0, v32, vcc
	s_branch .LBB8_765
.LBB8_762:                              ;   in Loop: Header=BB8_765 Depth=2
	s_or_b64 exec, exec, s[22:23]
	v_readfirstlane_b32 s15, v4
	s_cmp_eq_u32 s15, 0
	s_cbranch_scc1 .LBB8_764
; %bb.763:                              ;   in Loop: Header=BB8_765 Depth=2
	s_sleep 1
	s_cbranch_execnz .LBB8_765
	s_branch .LBB8_767
.LBB8_764:                              ;   in Loop: Header=BB8_690 Depth=1
	s_branch .LBB8_767
.LBB8_765:                              ;   Parent Loop BB8_690 Depth=1
                                        ; =>  This Inner Loop Header: Depth=2
	v_mov_b32_e32 v4, 1
	s_and_saveexec_b64 s[22:23], s[4:5]
	s_cbranch_execz .LBB8_762
; %bb.766:                              ;   in Loop: Header=BB8_765 Depth=2
	global_load_dword v4, v[29:30], off offset:20 glc
	s_waitcnt vmcnt(0)
	buffer_wbinvl1_vol
	v_and_b32_e32 v4, 1, v4
	s_branch .LBB8_762
.LBB8_767:                              ;   in Loop: Header=BB8_690 Depth=1
	global_load_dwordx4 v[2:5], v[2:3], off
	s_and_saveexec_b64 s[22:23], s[4:5]
	s_cbranch_execz .LBB8_689
; %bb.768:                              ;   in Loop: Header=BB8_690 Depth=1
	global_load_dwordx2 v[4:5], v28, s[42:43] offset:40
	global_load_dwordx2 v[12:13], v28, s[42:43] offset:24 glc
	global_load_dwordx2 v[14:15], v28, s[42:43]
	v_mov_b32_e32 v9, s21
	s_waitcnt vmcnt(2)
	v_add_co_u32_e32 v10, vcc, 1, v4
	v_addc_co_u32_e32 v11, vcc, 0, v5, vcc
	v_add_co_u32_e32 v8, vcc, s20, v10
	v_addc_co_u32_e32 v9, vcc, v11, v9, vcc
	v_cmp_eq_u64_e32 vcc, 0, v[8:9]
	v_cndmask_b32_e32 v9, v9, v11, vcc
	v_cndmask_b32_e32 v8, v8, v10, vcc
	v_and_b32_e32 v5, v9, v5
	v_and_b32_e32 v4, v8, v4
	v_mul_lo_u32 v5, v5, 24
	v_mul_hi_u32 v11, v4, 24
	v_mul_lo_u32 v4, v4, 24
	s_waitcnt vmcnt(1)
	v_mov_b32_e32 v10, v12
	v_add_u32_e32 v5, v11, v5
	s_waitcnt vmcnt(0)
	v_add_co_u32_e32 v4, vcc, v14, v4
	v_addc_co_u32_e32 v5, vcc, v15, v5, vcc
	global_store_dwordx2 v[4:5], v[12:13], off
	v_mov_b32_e32 v11, v13
	s_waitcnt vmcnt(0)
	global_atomic_cmpswap_x2 v[10:11], v28, v[8:11], s[42:43] offset:24 glc
	s_waitcnt vmcnt(0)
	v_cmp_ne_u64_e32 vcc, v[10:11], v[12:13]
	s_and_b64 exec, exec, vcc
	s_cbranch_execz .LBB8_689
; %bb.769:                              ;   in Loop: Header=BB8_690 Depth=1
	s_mov_b64 s[4:5], 0
.LBB8_770:                              ;   Parent Loop BB8_690 Depth=1
                                        ; =>  This Inner Loop Header: Depth=2
	s_sleep 1
	global_store_dwordx2 v[4:5], v[10:11], off
	s_waitcnt vmcnt(0)
	global_atomic_cmpswap_x2 v[12:13], v28, v[8:11], s[42:43] offset:24 glc
	s_waitcnt vmcnt(0)
	v_cmp_eq_u64_e32 vcc, v[12:13], v[10:11]
	v_mov_b32_e32 v10, v12
	s_or_b64 s[4:5], vcc, s[4:5]
	v_mov_b32_e32 v11, v13
	s_andn2_b64 exec, exec, s[4:5]
	s_cbranch_execnz .LBB8_770
	s_branch .LBB8_689
.LBB8_771:
	s_branch .LBB8_799
.LBB8_772:
                                        ; implicit-def: $vgpr2_vgpr3
	s_cbranch_execz .LBB8_799
; %bb.773:
	v_readfirstlane_b32 s4, v51
	v_mov_b32_e32 v8, 0
	v_mov_b32_e32 v9, 0
	v_cmp_eq_u32_e64 s[4:5], s4, v51
	s_and_saveexec_b64 s[10:11], s[4:5]
	s_cbranch_execz .LBB8_779
; %bb.774:
	s_waitcnt vmcnt(0)
	v_mov_b32_e32 v2, 0
	global_load_dwordx2 v[5:6], v2, s[42:43] offset:24 glc
	s_waitcnt vmcnt(0)
	buffer_wbinvl1_vol
	global_load_dwordx2 v[3:4], v2, s[42:43] offset:40
	global_load_dwordx2 v[7:8], v2, s[42:43]
	s_waitcnt vmcnt(1)
	v_and_b32_e32 v3, v3, v5
	v_and_b32_e32 v4, v4, v6
	v_mul_lo_u32 v4, v4, 24
	v_mul_hi_u32 v9, v3, 24
	v_mul_lo_u32 v3, v3, 24
	v_add_u32_e32 v4, v9, v4
	s_waitcnt vmcnt(0)
	v_add_co_u32_e32 v3, vcc, v7, v3
	v_addc_co_u32_e32 v4, vcc, v8, v4, vcc
	global_load_dwordx2 v[3:4], v[3:4], off glc
	s_waitcnt vmcnt(0)
	global_atomic_cmpswap_x2 v[8:9], v2, v[3:6], s[42:43] offset:24 glc
	s_waitcnt vmcnt(0)
	buffer_wbinvl1_vol
	v_cmp_ne_u64_e32 vcc, v[8:9], v[5:6]
	s_and_saveexec_b64 s[16:17], vcc
	s_cbranch_execz .LBB8_778
; %bb.775:
	s_mov_b64 s[18:19], 0
.LBB8_776:                              ; =>This Inner Loop Header: Depth=1
	s_sleep 1
	global_load_dwordx2 v[3:4], v2, s[42:43] offset:40
	global_load_dwordx2 v[10:11], v2, s[42:43]
	v_mov_b32_e32 v5, v8
	v_mov_b32_e32 v6, v9
	s_waitcnt vmcnt(1)
	v_and_b32_e32 v3, v3, v5
	s_waitcnt vmcnt(0)
	v_mad_u64_u32 v[7:8], s[20:21], v3, 24, v[10:11]
	v_and_b32_e32 v4, v4, v6
	v_mov_b32_e32 v3, v8
	v_mad_u64_u32 v[3:4], s[20:21], v4, 24, v[3:4]
	v_mov_b32_e32 v8, v3
	global_load_dwordx2 v[3:4], v[7:8], off glc
	s_waitcnt vmcnt(0)
	global_atomic_cmpswap_x2 v[8:9], v2, v[3:6], s[42:43] offset:24 glc
	s_waitcnt vmcnt(0)
	buffer_wbinvl1_vol
	v_cmp_eq_u64_e32 vcc, v[8:9], v[5:6]
	s_or_b64 s[18:19], vcc, s[18:19]
	s_andn2_b64 exec, exec, s[18:19]
	s_cbranch_execnz .LBB8_776
; %bb.777:
	s_or_b64 exec, exec, s[18:19]
.LBB8_778:
	s_or_b64 exec, exec, s[16:17]
.LBB8_779:
	s_or_b64 exec, exec, s[10:11]
	s_waitcnt vmcnt(0)
	v_mov_b32_e32 v2, 0
	global_load_dwordx2 v[10:11], v2, s[42:43] offset:40
	global_load_dwordx4 v[4:7], v2, s[42:43]
	v_readfirstlane_b32 s10, v8
	v_readfirstlane_b32 s11, v9
	s_mov_b64 s[16:17], exec
	s_waitcnt vmcnt(1)
	v_readfirstlane_b32 s18, v10
	v_readfirstlane_b32 s19, v11
	s_and_b64 s[18:19], s[10:11], s[18:19]
	s_mul_i32 s15, s19, 24
	s_mul_hi_u32 s20, s18, 24
	s_mul_i32 s21, s18, 24
	s_add_i32 s15, s20, s15
	v_mov_b32_e32 v3, s15
	s_waitcnt vmcnt(0)
	v_add_co_u32_e32 v8, vcc, s21, v4
	v_addc_co_u32_e32 v9, vcc, v5, v3, vcc
	s_and_saveexec_b64 s[20:21], s[4:5]
	s_cbranch_execz .LBB8_781
; %bb.780:
	v_mov_b32_e32 v10, s16
	v_mov_b32_e32 v11, s17
	;; [unrolled: 1-line block ×4, first 2 shown]
	global_store_dwordx4 v[8:9], v[10:13], off offset:8
.LBB8_781:
	s_or_b64 exec, exec, s[20:21]
	s_lshl_b64 s[16:17], s[18:19], 12
	v_mov_b32_e32 v3, s17
	v_add_co_u32_e32 v10, vcc, s16, v6
	v_addc_co_u32_e32 v11, vcc, v7, v3, vcc
	s_movk_i32 s15, 0xff1f
	v_and_or_b32 v0, v0, s15, 32
	s_mov_b32 s16, 0
	v_mov_b32_e32 v3, v2
	v_readfirstlane_b32 s20, v10
	v_readfirstlane_b32 s21, v11
	v_add_co_u32_e32 v6, vcc, v10, v50
	s_mov_b32 s17, s16
	s_mov_b32 s18, s16
	;; [unrolled: 1-line block ×3, first 2 shown]
	s_nop 0
	global_store_dwordx4 v50, v[0:3], s[20:21]
	v_addc_co_u32_e32 v7, vcc, 0, v11, vcc
	v_mov_b32_e32 v0, s16
	v_mov_b32_e32 v1, s17
	;; [unrolled: 1-line block ×4, first 2 shown]
	global_store_dwordx4 v50, v[0:3], s[20:21] offset:16
	global_store_dwordx4 v50, v[0:3], s[20:21] offset:32
	;; [unrolled: 1-line block ×3, first 2 shown]
	s_and_saveexec_b64 s[16:17], s[4:5]
	s_cbranch_execz .LBB8_789
; %bb.782:
	v_mov_b32_e32 v10, 0
	global_load_dwordx2 v[13:14], v10, s[42:43] offset:32 glc
	global_load_dwordx2 v[0:1], v10, s[42:43] offset:40
	v_mov_b32_e32 v11, s10
	v_mov_b32_e32 v12, s11
	s_waitcnt vmcnt(0)
	v_readfirstlane_b32 s18, v0
	v_readfirstlane_b32 s19, v1
	s_and_b64 s[18:19], s[18:19], s[10:11]
	s_mul_i32 s15, s19, 24
	s_mul_hi_u32 s19, s18, 24
	s_mul_i32 s18, s18, 24
	s_add_i32 s15, s19, s15
	v_mov_b32_e32 v0, s15
	v_add_co_u32_e32 v4, vcc, s18, v4
	v_addc_co_u32_e32 v5, vcc, v5, v0, vcc
	global_store_dwordx2 v[4:5], v[13:14], off
	s_waitcnt vmcnt(0)
	global_atomic_cmpswap_x2 v[2:3], v10, v[11:14], s[42:43] offset:32 glc
	s_waitcnt vmcnt(0)
	v_cmp_ne_u64_e32 vcc, v[2:3], v[13:14]
	s_and_saveexec_b64 s[18:19], vcc
	s_cbranch_execz .LBB8_785
; %bb.783:
	s_mov_b64 s[20:21], 0
.LBB8_784:                              ; =>This Inner Loop Header: Depth=1
	s_sleep 1
	global_store_dwordx2 v[4:5], v[2:3], off
	v_mov_b32_e32 v0, s10
	v_mov_b32_e32 v1, s11
	s_waitcnt vmcnt(0)
	global_atomic_cmpswap_x2 v[0:1], v10, v[0:3], s[42:43] offset:32 glc
	s_waitcnt vmcnt(0)
	v_cmp_eq_u64_e32 vcc, v[0:1], v[2:3]
	v_mov_b32_e32 v3, v1
	s_or_b64 s[20:21], vcc, s[20:21]
	v_mov_b32_e32 v2, v0
	s_andn2_b64 exec, exec, s[20:21]
	s_cbranch_execnz .LBB8_784
.LBB8_785:
	s_or_b64 exec, exec, s[18:19]
	v_mov_b32_e32 v3, 0
	global_load_dwordx2 v[0:1], v3, s[42:43] offset:16
	s_mov_b64 s[18:19], exec
	v_mbcnt_lo_u32_b32 v2, s18, 0
	v_mbcnt_hi_u32_b32 v2, s19, v2
	v_cmp_eq_u32_e32 vcc, 0, v2
	s_and_saveexec_b64 s[20:21], vcc
	s_cbranch_execz .LBB8_787
; %bb.786:
	s_bcnt1_i32_b64 s15, s[18:19]
	v_mov_b32_e32 v2, s15
	s_waitcnt vmcnt(0)
	global_atomic_add_x2 v[0:1], v[2:3], off offset:8
.LBB8_787:
	s_or_b64 exec, exec, s[20:21]
	s_waitcnt vmcnt(0)
	global_load_dwordx2 v[2:3], v[0:1], off offset:16
	s_waitcnt vmcnt(0)
	v_cmp_eq_u64_e32 vcc, 0, v[2:3]
	s_cbranch_vccnz .LBB8_789
; %bb.788:
	global_load_dword v0, v[0:1], off offset:24
	v_mov_b32_e32 v1, 0
	s_waitcnt vmcnt(0)
	global_store_dwordx2 v[2:3], v[0:1], off
	v_and_b32_e32 v0, 0xffffff, v0
	v_readfirstlane_b32 m0, v0
	s_sendmsg sendmsg(MSG_INTERRUPT)
.LBB8_789:
	s_or_b64 exec, exec, s[16:17]
	s_branch .LBB8_793
.LBB8_790:                              ;   in Loop: Header=BB8_793 Depth=1
	s_or_b64 exec, exec, s[16:17]
	v_readfirstlane_b32 s15, v0
	s_cmp_eq_u32 s15, 0
	s_cbranch_scc1 .LBB8_792
; %bb.791:                              ;   in Loop: Header=BB8_793 Depth=1
	s_sleep 1
	s_cbranch_execnz .LBB8_793
	s_branch .LBB8_795
.LBB8_792:
	s_branch .LBB8_795
.LBB8_793:                              ; =>This Inner Loop Header: Depth=1
	v_mov_b32_e32 v0, 1
	s_and_saveexec_b64 s[16:17], s[4:5]
	s_cbranch_execz .LBB8_790
; %bb.794:                              ;   in Loop: Header=BB8_793 Depth=1
	global_load_dword v0, v[8:9], off offset:20 glc
	s_waitcnt vmcnt(0)
	buffer_wbinvl1_vol
	v_and_b32_e32 v0, 1, v0
	s_branch .LBB8_790
.LBB8_795:
	global_load_dwordx2 v[2:3], v[6:7], off
	s_and_saveexec_b64 s[16:17], s[4:5]
	s_cbranch_execz .LBB8_798
; %bb.796:
	v_mov_b32_e32 v8, 0
	global_load_dwordx2 v[0:1], v8, s[42:43] offset:40
	global_load_dwordx2 v[9:10], v8, s[42:43] offset:24 glc
	global_load_dwordx2 v[11:12], v8, s[42:43]
	v_mov_b32_e32 v5, s11
	s_mov_b64 s[4:5], 0
	s_waitcnt vmcnt(2)
	v_add_co_u32_e32 v6, vcc, 1, v0
	v_addc_co_u32_e32 v7, vcc, 0, v1, vcc
	v_add_co_u32_e32 v4, vcc, s10, v6
	v_addc_co_u32_e32 v5, vcc, v7, v5, vcc
	v_cmp_eq_u64_e32 vcc, 0, v[4:5]
	v_cndmask_b32_e32 v5, v5, v7, vcc
	v_cndmask_b32_e32 v4, v4, v6, vcc
	v_and_b32_e32 v1, v5, v1
	v_and_b32_e32 v0, v4, v0
	v_mul_lo_u32 v1, v1, 24
	v_mul_hi_u32 v7, v0, 24
	v_mul_lo_u32 v0, v0, 24
	s_waitcnt vmcnt(1)
	v_mov_b32_e32 v6, v9
	v_add_u32_e32 v1, v7, v1
	s_waitcnt vmcnt(0)
	v_add_co_u32_e32 v0, vcc, v11, v0
	v_addc_co_u32_e32 v1, vcc, v12, v1, vcc
	global_store_dwordx2 v[0:1], v[9:10], off
	v_mov_b32_e32 v7, v10
	s_waitcnt vmcnt(0)
	global_atomic_cmpswap_x2 v[6:7], v8, v[4:7], s[42:43] offset:24 glc
	s_waitcnt vmcnt(0)
	v_cmp_ne_u64_e32 vcc, v[6:7], v[9:10]
	s_and_b64 exec, exec, vcc
	s_cbranch_execz .LBB8_798
.LBB8_797:                              ; =>This Inner Loop Header: Depth=1
	s_sleep 1
	global_store_dwordx2 v[0:1], v[6:7], off
	s_waitcnt vmcnt(0)
	global_atomic_cmpswap_x2 v[9:10], v8, v[4:7], s[42:43] offset:24 glc
	s_waitcnt vmcnt(0)
	v_cmp_eq_u64_e32 vcc, v[9:10], v[6:7]
	v_mov_b32_e32 v6, v9
	s_or_b64 s[4:5], vcc, s[4:5]
	v_mov_b32_e32 v7, v10
	s_andn2_b64 exec, exec, s[4:5]
	s_cbranch_execnz .LBB8_797
.LBB8_798:
	s_or_b64 exec, exec, s[16:17]
.LBB8_799:
	v_readfirstlane_b32 s4, v51
	s_waitcnt vmcnt(0)
	v_mov_b32_e32 v0, 0
	v_mov_b32_e32 v1, 0
	v_cmp_eq_u32_e64 s[4:5], s4, v51
	s_and_saveexec_b64 s[10:11], s[4:5]
	s_cbranch_execz .LBB8_805
; %bb.800:
	v_mov_b32_e32 v4, 0
	global_load_dwordx2 v[7:8], v4, s[42:43] offset:24 glc
	s_waitcnt vmcnt(0)
	buffer_wbinvl1_vol
	global_load_dwordx2 v[0:1], v4, s[42:43] offset:40
	global_load_dwordx2 v[5:6], v4, s[42:43]
	s_waitcnt vmcnt(1)
	v_and_b32_e32 v0, v0, v7
	v_and_b32_e32 v1, v1, v8
	v_mul_lo_u32 v1, v1, 24
	v_mul_hi_u32 v9, v0, 24
	v_mul_lo_u32 v0, v0, 24
	v_add_u32_e32 v1, v9, v1
	s_waitcnt vmcnt(0)
	v_add_co_u32_e32 v0, vcc, v5, v0
	v_addc_co_u32_e32 v1, vcc, v6, v1, vcc
	global_load_dwordx2 v[5:6], v[0:1], off glc
	s_waitcnt vmcnt(0)
	global_atomic_cmpswap_x2 v[0:1], v4, v[5:8], s[42:43] offset:24 glc
	s_waitcnt vmcnt(0)
	buffer_wbinvl1_vol
	v_cmp_ne_u64_e32 vcc, v[0:1], v[7:8]
	s_and_saveexec_b64 s[16:17], vcc
	s_cbranch_execz .LBB8_804
; %bb.801:
	s_mov_b64 s[18:19], 0
.LBB8_802:                              ; =>This Inner Loop Header: Depth=1
	s_sleep 1
	global_load_dwordx2 v[5:6], v4, s[42:43] offset:40
	global_load_dwordx2 v[9:10], v4, s[42:43]
	v_mov_b32_e32 v8, v1
	v_mov_b32_e32 v7, v0
	s_waitcnt vmcnt(1)
	v_and_b32_e32 v0, v5, v7
	s_waitcnt vmcnt(0)
	v_mad_u64_u32 v[0:1], s[20:21], v0, 24, v[9:10]
	v_and_b32_e32 v5, v6, v8
	v_mad_u64_u32 v[5:6], s[20:21], v5, 24, v[1:2]
	v_mov_b32_e32 v1, v5
	global_load_dwordx2 v[5:6], v[0:1], off glc
	s_waitcnt vmcnt(0)
	global_atomic_cmpswap_x2 v[0:1], v4, v[5:8], s[42:43] offset:24 glc
	s_waitcnt vmcnt(0)
	buffer_wbinvl1_vol
	v_cmp_eq_u64_e32 vcc, v[0:1], v[7:8]
	s_or_b64 s[18:19], vcc, s[18:19]
	s_andn2_b64 exec, exec, s[18:19]
	s_cbranch_execnz .LBB8_802
; %bb.803:
	s_or_b64 exec, exec, s[18:19]
.LBB8_804:
	s_or_b64 exec, exec, s[16:17]
.LBB8_805:
	s_or_b64 exec, exec, s[10:11]
	v_mov_b32_e32 v5, 0
	global_load_dwordx2 v[10:11], v5, s[42:43] offset:40
	global_load_dwordx4 v[6:9], v5, s[42:43]
	v_readfirstlane_b32 s10, v0
	v_readfirstlane_b32 s11, v1
	s_mov_b64 s[16:17], exec
	s_waitcnt vmcnt(1)
	v_readfirstlane_b32 s18, v10
	v_readfirstlane_b32 s19, v11
	s_and_b64 s[18:19], s[10:11], s[18:19]
	s_mul_i32 s15, s19, 24
	s_mul_hi_u32 s20, s18, 24
	s_mul_i32 s21, s18, 24
	s_add_i32 s15, s20, s15
	v_mov_b32_e32 v0, s15
	s_waitcnt vmcnt(0)
	v_add_co_u32_e32 v10, vcc, s21, v6
	v_addc_co_u32_e32 v11, vcc, v7, v0, vcc
	s_and_saveexec_b64 s[20:21], s[4:5]
	s_cbranch_execz .LBB8_807
; %bb.806:
	v_mov_b32_e32 v12, s16
	v_mov_b32_e32 v13, s17
	;; [unrolled: 1-line block ×4, first 2 shown]
	global_store_dwordx4 v[10:11], v[12:15], off offset:8
.LBB8_807:
	s_or_b64 exec, exec, s[20:21]
	s_lshl_b64 s[16:17], s[18:19], 12
	v_mov_b32_e32 v0, s17
	v_add_co_u32_e32 v1, vcc, s16, v8
	v_addc_co_u32_e32 v0, vcc, v9, v0, vcc
	s_movk_i32 s15, 0xff1d
	v_and_or_b32 v2, v2, s15, 34
	s_mov_b32 s16, 0
	v_mov_b32_e32 v4, 58
	v_readfirstlane_b32 s20, v1
	v_readfirstlane_b32 s21, v0
	s_mov_b32 s17, s16
	s_mov_b32 s18, s16
	;; [unrolled: 1-line block ×3, first 2 shown]
	s_nop 1
	global_store_dwordx4 v50, v[2:5], s[20:21]
	v_mov_b32_e32 v0, s16
	v_mov_b32_e32 v1, s17
	;; [unrolled: 1-line block ×4, first 2 shown]
	global_store_dwordx4 v50, v[0:3], s[20:21] offset:16
	global_store_dwordx4 v50, v[0:3], s[20:21] offset:32
	;; [unrolled: 1-line block ×3, first 2 shown]
	s_and_saveexec_b64 s[16:17], s[4:5]
	s_cbranch_execz .LBB8_815
; %bb.808:
	v_mov_b32_e32 v8, 0
	global_load_dwordx2 v[14:15], v8, s[42:43] offset:32 glc
	global_load_dwordx2 v[0:1], v8, s[42:43] offset:40
	v_mov_b32_e32 v12, s10
	v_mov_b32_e32 v13, s11
	s_waitcnt vmcnt(0)
	v_readfirstlane_b32 s18, v0
	v_readfirstlane_b32 s19, v1
	s_and_b64 s[18:19], s[18:19], s[10:11]
	s_mul_i32 s15, s19, 24
	s_mul_hi_u32 s19, s18, 24
	s_mul_i32 s18, s18, 24
	s_add_i32 s15, s19, s15
	v_mov_b32_e32 v0, s15
	v_add_co_u32_e32 v4, vcc, s18, v6
	v_addc_co_u32_e32 v5, vcc, v7, v0, vcc
	global_store_dwordx2 v[4:5], v[14:15], off
	s_waitcnt vmcnt(0)
	global_atomic_cmpswap_x2 v[2:3], v8, v[12:15], s[42:43] offset:32 glc
	s_waitcnt vmcnt(0)
	v_cmp_ne_u64_e32 vcc, v[2:3], v[14:15]
	s_and_saveexec_b64 s[18:19], vcc
	s_cbranch_execz .LBB8_811
; %bb.809:
	s_mov_b64 s[20:21], 0
.LBB8_810:                              ; =>This Inner Loop Header: Depth=1
	s_sleep 1
	global_store_dwordx2 v[4:5], v[2:3], off
	v_mov_b32_e32 v0, s10
	v_mov_b32_e32 v1, s11
	s_waitcnt vmcnt(0)
	global_atomic_cmpswap_x2 v[0:1], v8, v[0:3], s[42:43] offset:32 glc
	s_waitcnt vmcnt(0)
	v_cmp_eq_u64_e32 vcc, v[0:1], v[2:3]
	v_mov_b32_e32 v3, v1
	s_or_b64 s[20:21], vcc, s[20:21]
	v_mov_b32_e32 v2, v0
	s_andn2_b64 exec, exec, s[20:21]
	s_cbranch_execnz .LBB8_810
.LBB8_811:
	s_or_b64 exec, exec, s[18:19]
	v_mov_b32_e32 v3, 0
	global_load_dwordx2 v[0:1], v3, s[42:43] offset:16
	s_mov_b64 s[18:19], exec
	v_mbcnt_lo_u32_b32 v2, s18, 0
	v_mbcnt_hi_u32_b32 v2, s19, v2
	v_cmp_eq_u32_e32 vcc, 0, v2
	s_and_saveexec_b64 s[20:21], vcc
	s_cbranch_execz .LBB8_813
; %bb.812:
	s_bcnt1_i32_b64 s15, s[18:19]
	v_mov_b32_e32 v2, s15
	s_waitcnt vmcnt(0)
	global_atomic_add_x2 v[0:1], v[2:3], off offset:8
.LBB8_813:
	s_or_b64 exec, exec, s[20:21]
	s_waitcnt vmcnt(0)
	global_load_dwordx2 v[2:3], v[0:1], off offset:16
	s_waitcnt vmcnt(0)
	v_cmp_eq_u64_e32 vcc, 0, v[2:3]
	s_cbranch_vccnz .LBB8_815
; %bb.814:
	global_load_dword v0, v[0:1], off offset:24
	v_mov_b32_e32 v1, 0
	s_waitcnt vmcnt(0)
	global_store_dwordx2 v[2:3], v[0:1], off
	v_and_b32_e32 v0, 0xffffff, v0
	v_readfirstlane_b32 m0, v0
	s_sendmsg sendmsg(MSG_INTERRUPT)
.LBB8_815:
	s_or_b64 exec, exec, s[16:17]
	s_branch .LBB8_819
.LBB8_816:                              ;   in Loop: Header=BB8_819 Depth=1
	s_or_b64 exec, exec, s[16:17]
	v_readfirstlane_b32 s15, v0
	s_cmp_eq_u32 s15, 0
	s_cbranch_scc1 .LBB8_818
; %bb.817:                              ;   in Loop: Header=BB8_819 Depth=1
	s_sleep 1
	s_cbranch_execnz .LBB8_819
	s_branch .LBB8_821
.LBB8_818:
	s_branch .LBB8_821
.LBB8_819:                              ; =>This Inner Loop Header: Depth=1
	v_mov_b32_e32 v0, 1
	s_and_saveexec_b64 s[16:17], s[4:5]
	s_cbranch_execz .LBB8_816
; %bb.820:                              ;   in Loop: Header=BB8_819 Depth=1
	global_load_dword v0, v[10:11], off offset:20 glc
	s_waitcnt vmcnt(0)
	buffer_wbinvl1_vol
	v_and_b32_e32 v0, 1, v0
	s_branch .LBB8_816
.LBB8_821:
	s_and_saveexec_b64 s[16:17], s[4:5]
	s_cbranch_execz .LBB8_824
; %bb.822:
	v_mov_b32_e32 v6, 0
	global_load_dwordx2 v[2:3], v6, s[42:43] offset:40
	global_load_dwordx2 v[7:8], v6, s[42:43] offset:24 glc
	global_load_dwordx2 v[4:5], v6, s[42:43]
	v_mov_b32_e32 v1, s11
	s_mov_b64 s[4:5], 0
	s_waitcnt vmcnt(2)
	v_add_co_u32_e32 v9, vcc, 1, v2
	v_addc_co_u32_e32 v10, vcc, 0, v3, vcc
	v_add_co_u32_e32 v0, vcc, s10, v9
	v_addc_co_u32_e32 v1, vcc, v10, v1, vcc
	v_cmp_eq_u64_e32 vcc, 0, v[0:1]
	v_cndmask_b32_e32 v1, v1, v10, vcc
	v_cndmask_b32_e32 v0, v0, v9, vcc
	v_and_b32_e32 v3, v1, v3
	v_and_b32_e32 v2, v0, v2
	v_mul_lo_u32 v3, v3, 24
	v_mul_hi_u32 v9, v2, 24
	v_mul_lo_u32 v10, v2, 24
	s_waitcnt vmcnt(1)
	v_mov_b32_e32 v2, v7
	v_add_u32_e32 v3, v9, v3
	s_waitcnt vmcnt(0)
	v_add_co_u32_e32 v4, vcc, v4, v10
	v_addc_co_u32_e32 v5, vcc, v5, v3, vcc
	global_store_dwordx2 v[4:5], v[7:8], off
	v_mov_b32_e32 v3, v8
	s_waitcnt vmcnt(0)
	global_atomic_cmpswap_x2 v[2:3], v6, v[0:3], s[42:43] offset:24 glc
	s_waitcnt vmcnt(0)
	v_cmp_ne_u64_e32 vcc, v[2:3], v[7:8]
	s_and_b64 exec, exec, vcc
	s_cbranch_execz .LBB8_824
.LBB8_823:                              ; =>This Inner Loop Header: Depth=1
	s_sleep 1
	global_store_dwordx2 v[4:5], v[2:3], off
	s_waitcnt vmcnt(0)
	global_atomic_cmpswap_x2 v[7:8], v6, v[0:3], s[42:43] offset:24 glc
	s_waitcnt vmcnt(0)
	v_cmp_eq_u64_e32 vcc, v[7:8], v[2:3]
	v_mov_b32_e32 v2, v7
	s_or_b64 s[4:5], vcc, s[4:5]
	v_mov_b32_e32 v3, v8
	s_andn2_b64 exec, exec, s[4:5]
	s_cbranch_execnz .LBB8_823
.LBB8_824:
	s_or_b64 exec, exec, s[16:17]
	v_readfirstlane_b32 s4, v51
	v_mov_b32_e32 v5, 0
	v_mov_b32_e32 v6, 0
	v_cmp_eq_u32_e64 s[4:5], s4, v51
	s_and_saveexec_b64 s[10:11], s[4:5]
	s_cbranch_execz .LBB8_830
; %bb.825:
	v_mov_b32_e32 v0, 0
	global_load_dwordx2 v[3:4], v0, s[42:43] offset:24 glc
	s_waitcnt vmcnt(0)
	buffer_wbinvl1_vol
	global_load_dwordx2 v[1:2], v0, s[42:43] offset:40
	global_load_dwordx2 v[5:6], v0, s[42:43]
	s_waitcnt vmcnt(1)
	v_and_b32_e32 v1, v1, v3
	v_and_b32_e32 v2, v2, v4
	v_mul_lo_u32 v2, v2, 24
	v_mul_hi_u32 v7, v1, 24
	v_mul_lo_u32 v1, v1, 24
	v_add_u32_e32 v2, v7, v2
	s_waitcnt vmcnt(0)
	v_add_co_u32_e32 v1, vcc, v5, v1
	v_addc_co_u32_e32 v2, vcc, v6, v2, vcc
	global_load_dwordx2 v[1:2], v[1:2], off glc
	s_waitcnt vmcnt(0)
	global_atomic_cmpswap_x2 v[5:6], v0, v[1:4], s[42:43] offset:24 glc
	s_waitcnt vmcnt(0)
	buffer_wbinvl1_vol
	v_cmp_ne_u64_e32 vcc, v[5:6], v[3:4]
	s_and_saveexec_b64 s[16:17], vcc
	s_cbranch_execz .LBB8_829
; %bb.826:
	s_mov_b64 s[18:19], 0
.LBB8_827:                              ; =>This Inner Loop Header: Depth=1
	s_sleep 1
	global_load_dwordx2 v[1:2], v0, s[42:43] offset:40
	global_load_dwordx2 v[7:8], v0, s[42:43]
	v_mov_b32_e32 v3, v5
	v_mov_b32_e32 v4, v6
	s_waitcnt vmcnt(1)
	v_and_b32_e32 v1, v1, v3
	s_waitcnt vmcnt(0)
	v_mad_u64_u32 v[5:6], s[20:21], v1, 24, v[7:8]
	v_and_b32_e32 v2, v2, v4
	v_mov_b32_e32 v1, v6
	v_mad_u64_u32 v[1:2], s[20:21], v2, 24, v[1:2]
	v_mov_b32_e32 v6, v1
	global_load_dwordx2 v[1:2], v[5:6], off glc
	s_waitcnt vmcnt(0)
	global_atomic_cmpswap_x2 v[5:6], v0, v[1:4], s[42:43] offset:24 glc
	s_waitcnt vmcnt(0)
	buffer_wbinvl1_vol
	v_cmp_eq_u64_e32 vcc, v[5:6], v[3:4]
	s_or_b64 s[18:19], vcc, s[18:19]
	s_andn2_b64 exec, exec, s[18:19]
	s_cbranch_execnz .LBB8_827
; %bb.828:
	s_or_b64 exec, exec, s[18:19]
.LBB8_829:
	s_or_b64 exec, exec, s[16:17]
.LBB8_830:
	s_or_b64 exec, exec, s[10:11]
	v_mov_b32_e32 v4, 0
	global_load_dwordx2 v[7:8], v4, s[42:43] offset:40
	global_load_dwordx4 v[0:3], v4, s[42:43]
	v_readfirstlane_b32 s10, v5
	v_readfirstlane_b32 s11, v6
	s_mov_b64 s[16:17], exec
	s_waitcnt vmcnt(1)
	v_readfirstlane_b32 s18, v7
	v_readfirstlane_b32 s19, v8
	s_and_b64 s[18:19], s[10:11], s[18:19]
	s_mul_i32 s15, s19, 24
	s_mul_hi_u32 s20, s18, 24
	s_mul_i32 s21, s18, 24
	s_add_i32 s15, s20, s15
	v_mov_b32_e32 v5, s15
	s_waitcnt vmcnt(0)
	v_add_co_u32_e32 v7, vcc, s21, v0
	v_addc_co_u32_e32 v8, vcc, v1, v5, vcc
	s_and_saveexec_b64 s[20:21], s[4:5]
	s_cbranch_execz .LBB8_832
; %bb.831:
	v_mov_b32_e32 v9, s16
	v_mov_b32_e32 v10, s17
	;; [unrolled: 1-line block ×4, first 2 shown]
	global_store_dwordx4 v[7:8], v[9:12], off offset:8
.LBB8_832:
	s_or_b64 exec, exec, s[20:21]
	s_lshl_b64 s[16:17], s[18:19], 12
	v_mov_b32_e32 v5, s17
	v_add_co_u32_e32 v2, vcc, s16, v2
	v_addc_co_u32_e32 v11, vcc, v3, v5, vcc
	s_mov_b32 s16, 0
	v_mov_b32_e32 v3, 33
	v_mov_b32_e32 v5, v4
	;; [unrolled: 1-line block ×3, first 2 shown]
	v_readfirstlane_b32 s20, v2
	v_readfirstlane_b32 s21, v11
	v_add_co_u32_e32 v9, vcc, v2, v50
	s_mov_b32 s17, s16
	s_mov_b32 s18, s16
	;; [unrolled: 1-line block ×3, first 2 shown]
	s_nop 0
	global_store_dwordx4 v50, v[3:6], s[20:21]
	v_mov_b32_e32 v2, s16
	v_addc_co_u32_e32 v10, vcc, 0, v11, vcc
	v_mov_b32_e32 v3, s17
	v_mov_b32_e32 v4, s18
	;; [unrolled: 1-line block ×3, first 2 shown]
	global_store_dwordx4 v50, v[2:5], s[20:21] offset:16
	global_store_dwordx4 v50, v[2:5], s[20:21] offset:32
	;; [unrolled: 1-line block ×3, first 2 shown]
	s_and_saveexec_b64 s[16:17], s[4:5]
	s_cbranch_execz .LBB8_840
; %bb.833:
	v_mov_b32_e32 v6, 0
	global_load_dwordx2 v[13:14], v6, s[42:43] offset:32 glc
	global_load_dwordx2 v[2:3], v6, s[42:43] offset:40
	v_mov_b32_e32 v11, s10
	v_mov_b32_e32 v12, s11
	s_waitcnt vmcnt(0)
	v_readfirstlane_b32 s18, v2
	v_readfirstlane_b32 s19, v3
	s_and_b64 s[18:19], s[18:19], s[10:11]
	s_mul_i32 s15, s19, 24
	s_mul_hi_u32 s19, s18, 24
	s_mul_i32 s18, s18, 24
	s_add_i32 s15, s19, s15
	v_mov_b32_e32 v2, s15
	v_add_co_u32_e32 v4, vcc, s18, v0
	v_addc_co_u32_e32 v5, vcc, v1, v2, vcc
	global_store_dwordx2 v[4:5], v[13:14], off
	s_waitcnt vmcnt(0)
	global_atomic_cmpswap_x2 v[2:3], v6, v[11:14], s[42:43] offset:32 glc
	s_waitcnt vmcnt(0)
	v_cmp_ne_u64_e32 vcc, v[2:3], v[13:14]
	s_and_saveexec_b64 s[18:19], vcc
	s_cbranch_execz .LBB8_836
; %bb.834:
	s_mov_b64 s[20:21], 0
.LBB8_835:                              ; =>This Inner Loop Header: Depth=1
	s_sleep 1
	global_store_dwordx2 v[4:5], v[2:3], off
	v_mov_b32_e32 v0, s10
	v_mov_b32_e32 v1, s11
	s_waitcnt vmcnt(0)
	global_atomic_cmpswap_x2 v[0:1], v6, v[0:3], s[42:43] offset:32 glc
	s_waitcnt vmcnt(0)
	v_cmp_eq_u64_e32 vcc, v[0:1], v[2:3]
	v_mov_b32_e32 v3, v1
	s_or_b64 s[20:21], vcc, s[20:21]
	v_mov_b32_e32 v2, v0
	s_andn2_b64 exec, exec, s[20:21]
	s_cbranch_execnz .LBB8_835
.LBB8_836:
	s_or_b64 exec, exec, s[18:19]
	v_mov_b32_e32 v3, 0
	global_load_dwordx2 v[0:1], v3, s[42:43] offset:16
	s_mov_b64 s[18:19], exec
	v_mbcnt_lo_u32_b32 v2, s18, 0
	v_mbcnt_hi_u32_b32 v2, s19, v2
	v_cmp_eq_u32_e32 vcc, 0, v2
	s_and_saveexec_b64 s[20:21], vcc
	s_cbranch_execz .LBB8_838
; %bb.837:
	s_bcnt1_i32_b64 s15, s[18:19]
	v_mov_b32_e32 v2, s15
	s_waitcnt vmcnt(0)
	global_atomic_add_x2 v[0:1], v[2:3], off offset:8
.LBB8_838:
	s_or_b64 exec, exec, s[20:21]
	s_waitcnt vmcnt(0)
	global_load_dwordx2 v[2:3], v[0:1], off offset:16
	s_waitcnt vmcnt(0)
	v_cmp_eq_u64_e32 vcc, 0, v[2:3]
	s_cbranch_vccnz .LBB8_840
; %bb.839:
	global_load_dword v0, v[0:1], off offset:24
	v_mov_b32_e32 v1, 0
	s_waitcnt vmcnt(0)
	global_store_dwordx2 v[2:3], v[0:1], off
	v_and_b32_e32 v0, 0xffffff, v0
	v_readfirstlane_b32 m0, v0
	s_sendmsg sendmsg(MSG_INTERRUPT)
.LBB8_840:
	s_or_b64 exec, exec, s[16:17]
	s_branch .LBB8_844
.LBB8_841:                              ;   in Loop: Header=BB8_844 Depth=1
	s_or_b64 exec, exec, s[16:17]
	v_readfirstlane_b32 s15, v0
	s_cmp_eq_u32 s15, 0
	s_cbranch_scc1 .LBB8_843
; %bb.842:                              ;   in Loop: Header=BB8_844 Depth=1
	s_sleep 1
	s_cbranch_execnz .LBB8_844
	s_branch .LBB8_846
.LBB8_843:
	s_branch .LBB8_846
.LBB8_844:                              ; =>This Inner Loop Header: Depth=1
	v_mov_b32_e32 v0, 1
	s_and_saveexec_b64 s[16:17], s[4:5]
	s_cbranch_execz .LBB8_841
; %bb.845:                              ;   in Loop: Header=BB8_844 Depth=1
	global_load_dword v0, v[7:8], off offset:20 glc
	s_waitcnt vmcnt(0)
	buffer_wbinvl1_vol
	v_and_b32_e32 v0, 1, v0
	s_branch .LBB8_841
.LBB8_846:
	global_load_dwordx2 v[0:1], v[9:10], off
	s_and_saveexec_b64 s[16:17], s[4:5]
	s_cbranch_execz .LBB8_849
; %bb.847:
	v_mov_b32_e32 v8, 0
	global_load_dwordx2 v[4:5], v8, s[42:43] offset:40
	global_load_dwordx2 v[9:10], v8, s[42:43] offset:24 glc
	global_load_dwordx2 v[6:7], v8, s[42:43]
	v_mov_b32_e32 v3, s11
	s_mov_b64 s[4:5], 0
	s_waitcnt vmcnt(2)
	v_add_co_u32_e32 v11, vcc, 1, v4
	v_addc_co_u32_e32 v12, vcc, 0, v5, vcc
	v_add_co_u32_e32 v2, vcc, s10, v11
	v_addc_co_u32_e32 v3, vcc, v12, v3, vcc
	v_cmp_eq_u64_e32 vcc, 0, v[2:3]
	v_cndmask_b32_e32 v3, v3, v12, vcc
	v_cndmask_b32_e32 v2, v2, v11, vcc
	v_and_b32_e32 v5, v3, v5
	v_and_b32_e32 v4, v2, v4
	v_mul_lo_u32 v5, v5, 24
	v_mul_hi_u32 v11, v4, 24
	v_mul_lo_u32 v12, v4, 24
	s_waitcnt vmcnt(1)
	v_mov_b32_e32 v4, v9
	v_add_u32_e32 v5, v11, v5
	s_waitcnt vmcnt(0)
	v_add_co_u32_e32 v6, vcc, v6, v12
	v_addc_co_u32_e32 v7, vcc, v7, v5, vcc
	global_store_dwordx2 v[6:7], v[9:10], off
	v_mov_b32_e32 v5, v10
	s_waitcnt vmcnt(0)
	global_atomic_cmpswap_x2 v[4:5], v8, v[2:5], s[42:43] offset:24 glc
	s_waitcnt vmcnt(0)
	v_cmp_ne_u64_e32 vcc, v[4:5], v[9:10]
	s_and_b64 exec, exec, vcc
	s_cbranch_execz .LBB8_849
.LBB8_848:                              ; =>This Inner Loop Header: Depth=1
	s_sleep 1
	global_store_dwordx2 v[6:7], v[4:5], off
	s_waitcnt vmcnt(0)
	global_atomic_cmpswap_x2 v[9:10], v8, v[2:5], s[42:43] offset:24 glc
	s_waitcnt vmcnt(0)
	v_cmp_eq_u64_e32 vcc, v[9:10], v[4:5]
	v_mov_b32_e32 v4, v9
	s_or_b64 s[4:5], vcc, s[4:5]
	v_mov_b32_e32 v5, v10
	s_andn2_b64 exec, exec, s[4:5]
	s_cbranch_execnz .LBB8_848
.LBB8_849:
	s_or_b64 exec, exec, s[16:17]
	s_getpc_b64 s[10:11]
	s_add_u32 s10, s10, .str.9@rel32@lo+4
	s_addc_u32 s11, s11, .str.9@rel32@hi+12
	s_cmp_lg_u64 s[10:11], 0
	s_cbranch_scc0 .LBB8_934
; %bb.850:
	s_waitcnt vmcnt(0)
	v_and_b32_e32 v31, 2, v0
	v_mov_b32_e32 v28, 0
	v_and_b32_e32 v2, -3, v0
	v_mov_b32_e32 v3, v1
	s_mov_b64 s[16:17], 4
	v_mov_b32_e32 v6, 2
	v_mov_b32_e32 v7, 1
	s_branch .LBB8_852
.LBB8_851:                              ;   in Loop: Header=BB8_852 Depth=1
	s_or_b64 exec, exec, s[22:23]
	s_sub_u32 s16, s16, s18
	s_subb_u32 s17, s17, s19
	s_add_u32 s10, s10, s18
	s_addc_u32 s11, s11, s19
	s_cmp_lg_u64 s[16:17], 0
	s_cbranch_scc0 .LBB8_933
.LBB8_852:                              ; =>This Loop Header: Depth=1
                                        ;     Child Loop BB8_855 Depth 2
                                        ;     Child Loop BB8_862 Depth 2
	;; [unrolled: 1-line block ×11, first 2 shown]
	v_cmp_lt_u64_e64 s[4:5], s[16:17], 56
	v_cmp_gt_u64_e64 s[20:21], s[16:17], 7
	s_and_b64 s[4:5], s[4:5], exec
	s_cselect_b32 s19, s17, 0
	s_cselect_b32 s18, s16, 56
	s_and_b64 vcc, exec, s[20:21]
	s_cbranch_vccnz .LBB8_857
; %bb.853:                              ;   in Loop: Header=BB8_852 Depth=1
	v_mov_b32_e32 v10, 0
	s_cmp_eq_u64 s[16:17], 0
	v_mov_b32_e32 v11, 0
	s_mov_b64 s[4:5], 0
	s_cbranch_scc1 .LBB8_856
; %bb.854:                              ;   in Loop: Header=BB8_852 Depth=1
	v_mov_b32_e32 v10, 0
	s_lshl_b64 s[20:21], s[18:19], 3
	s_mov_b64 s[22:23], 0
	v_mov_b32_e32 v11, 0
	s_mov_b64 s[24:25], s[10:11]
.LBB8_855:                              ;   Parent Loop BB8_852 Depth=1
                                        ; =>  This Inner Loop Header: Depth=2
	global_load_ubyte v4, v28, s[24:25]
	s_waitcnt vmcnt(0)
	v_and_b32_e32 v27, 0xffff, v4
	v_lshlrev_b64 v[4:5], s22, v[27:28]
	s_add_u32 s22, s22, 8
	s_addc_u32 s23, s23, 0
	s_add_u32 s24, s24, 1
	s_addc_u32 s25, s25, 0
	v_or_b32_e32 v10, v4, v10
	s_cmp_lg_u32 s20, s22
	v_or_b32_e32 v11, v5, v11
	s_cbranch_scc1 .LBB8_855
.LBB8_856:                              ;   in Loop: Header=BB8_852 Depth=1
	s_mov_b32 s15, 0
	s_andn2_b64 vcc, exec, s[4:5]
	s_mov_b64 s[4:5], s[10:11]
	s_cbranch_vccz .LBB8_858
	s_branch .LBB8_859
.LBB8_857:                              ;   in Loop: Header=BB8_852 Depth=1
                                        ; implicit-def: $vgpr10_vgpr11
                                        ; implicit-def: $sgpr15
	s_mov_b64 s[4:5], s[10:11]
.LBB8_858:                              ;   in Loop: Header=BB8_852 Depth=1
	global_load_dwordx2 v[10:11], v28, s[10:11]
	s_add_i32 s15, s18, -8
	s_add_u32 s4, s10, 8
	s_addc_u32 s5, s11, 0
.LBB8_859:                              ;   in Loop: Header=BB8_852 Depth=1
	s_cmp_gt_u32 s15, 7
	s_cbranch_scc1 .LBB8_863
; %bb.860:                              ;   in Loop: Header=BB8_852 Depth=1
	s_cmp_eq_u32 s15, 0
	s_cbranch_scc1 .LBB8_864
; %bb.861:                              ;   in Loop: Header=BB8_852 Depth=1
	v_mov_b32_e32 v12, 0
	s_mov_b64 s[20:21], 0
	v_mov_b32_e32 v13, 0
	s_mov_b64 s[22:23], 0
.LBB8_862:                              ;   Parent Loop BB8_852 Depth=1
                                        ; =>  This Inner Loop Header: Depth=2
	s_add_u32 s24, s4, s22
	s_addc_u32 s25, s5, s23
	global_load_ubyte v4, v28, s[24:25]
	s_add_u32 s22, s22, 1
	s_addc_u32 s23, s23, 0
	s_waitcnt vmcnt(0)
	v_and_b32_e32 v27, 0xffff, v4
	v_lshlrev_b64 v[4:5], s20, v[27:28]
	s_add_u32 s20, s20, 8
	s_addc_u32 s21, s21, 0
	v_or_b32_e32 v12, v4, v12
	s_cmp_lg_u32 s15, s22
	v_or_b32_e32 v13, v5, v13
	s_cbranch_scc1 .LBB8_862
	s_branch .LBB8_865
.LBB8_863:                              ;   in Loop: Header=BB8_852 Depth=1
                                        ; implicit-def: $vgpr12_vgpr13
                                        ; implicit-def: $sgpr24
	s_branch .LBB8_866
.LBB8_864:                              ;   in Loop: Header=BB8_852 Depth=1
	v_mov_b32_e32 v12, 0
	v_mov_b32_e32 v13, 0
.LBB8_865:                              ;   in Loop: Header=BB8_852 Depth=1
	s_mov_b32 s24, 0
	s_cbranch_execnz .LBB8_867
.LBB8_866:                              ;   in Loop: Header=BB8_852 Depth=1
	global_load_dwordx2 v[12:13], v28, s[4:5]
	s_add_i32 s24, s15, -8
	s_add_u32 s4, s4, 8
	s_addc_u32 s5, s5, 0
.LBB8_867:                              ;   in Loop: Header=BB8_852 Depth=1
	s_cmp_gt_u32 s24, 7
	s_cbranch_scc1 .LBB8_871
; %bb.868:                              ;   in Loop: Header=BB8_852 Depth=1
	s_cmp_eq_u32 s24, 0
	s_cbranch_scc1 .LBB8_872
; %bb.869:                              ;   in Loop: Header=BB8_852 Depth=1
	v_mov_b32_e32 v14, 0
	s_mov_b64 s[20:21], 0
	v_mov_b32_e32 v15, 0
	s_mov_b64 s[22:23], 0
.LBB8_870:                              ;   Parent Loop BB8_852 Depth=1
                                        ; =>  This Inner Loop Header: Depth=2
	s_add_u32 s26, s4, s22
	s_addc_u32 s27, s5, s23
	global_load_ubyte v4, v28, s[26:27]
	s_add_u32 s22, s22, 1
	s_addc_u32 s23, s23, 0
	s_waitcnt vmcnt(0)
	v_and_b32_e32 v27, 0xffff, v4
	v_lshlrev_b64 v[4:5], s20, v[27:28]
	s_add_u32 s20, s20, 8
	s_addc_u32 s21, s21, 0
	v_or_b32_e32 v14, v4, v14
	s_cmp_lg_u32 s24, s22
	v_or_b32_e32 v15, v5, v15
	s_cbranch_scc1 .LBB8_870
	s_branch .LBB8_873
.LBB8_871:                              ;   in Loop: Header=BB8_852 Depth=1
                                        ; implicit-def: $sgpr15
	s_branch .LBB8_874
.LBB8_872:                              ;   in Loop: Header=BB8_852 Depth=1
	v_mov_b32_e32 v14, 0
	v_mov_b32_e32 v15, 0
.LBB8_873:                              ;   in Loop: Header=BB8_852 Depth=1
	s_mov_b32 s15, 0
	s_cbranch_execnz .LBB8_875
.LBB8_874:                              ;   in Loop: Header=BB8_852 Depth=1
	global_load_dwordx2 v[14:15], v28, s[4:5]
	s_add_i32 s15, s24, -8
	s_add_u32 s4, s4, 8
	s_addc_u32 s5, s5, 0
.LBB8_875:                              ;   in Loop: Header=BB8_852 Depth=1
	s_cmp_gt_u32 s15, 7
	s_cbranch_scc1 .LBB8_879
; %bb.876:                              ;   in Loop: Header=BB8_852 Depth=1
	s_cmp_eq_u32 s15, 0
	s_cbranch_scc1 .LBB8_880
; %bb.877:                              ;   in Loop: Header=BB8_852 Depth=1
	v_mov_b32_e32 v16, 0
	s_mov_b64 s[20:21], 0
	v_mov_b32_e32 v17, 0
	s_mov_b64 s[22:23], 0
.LBB8_878:                              ;   Parent Loop BB8_852 Depth=1
                                        ; =>  This Inner Loop Header: Depth=2
	s_add_u32 s24, s4, s22
	s_addc_u32 s25, s5, s23
	global_load_ubyte v4, v28, s[24:25]
	s_add_u32 s22, s22, 1
	s_addc_u32 s23, s23, 0
	s_waitcnt vmcnt(0)
	v_and_b32_e32 v27, 0xffff, v4
	v_lshlrev_b64 v[4:5], s20, v[27:28]
	s_add_u32 s20, s20, 8
	s_addc_u32 s21, s21, 0
	v_or_b32_e32 v16, v4, v16
	s_cmp_lg_u32 s15, s22
	v_or_b32_e32 v17, v5, v17
	s_cbranch_scc1 .LBB8_878
	s_branch .LBB8_881
.LBB8_879:                              ;   in Loop: Header=BB8_852 Depth=1
                                        ; implicit-def: $vgpr16_vgpr17
                                        ; implicit-def: $sgpr24
	s_branch .LBB8_882
.LBB8_880:                              ;   in Loop: Header=BB8_852 Depth=1
	v_mov_b32_e32 v16, 0
	v_mov_b32_e32 v17, 0
.LBB8_881:                              ;   in Loop: Header=BB8_852 Depth=1
	s_mov_b32 s24, 0
	s_cbranch_execnz .LBB8_883
.LBB8_882:                              ;   in Loop: Header=BB8_852 Depth=1
	global_load_dwordx2 v[16:17], v28, s[4:5]
	s_add_i32 s24, s15, -8
	s_add_u32 s4, s4, 8
	s_addc_u32 s5, s5, 0
.LBB8_883:                              ;   in Loop: Header=BB8_852 Depth=1
	s_cmp_gt_u32 s24, 7
	s_cbranch_scc1 .LBB8_887
; %bb.884:                              ;   in Loop: Header=BB8_852 Depth=1
	s_cmp_eq_u32 s24, 0
	s_cbranch_scc1 .LBB8_888
; %bb.885:                              ;   in Loop: Header=BB8_852 Depth=1
	v_mov_b32_e32 v18, 0
	s_mov_b64 s[20:21], 0
	v_mov_b32_e32 v19, 0
	s_mov_b64 s[22:23], 0
.LBB8_886:                              ;   Parent Loop BB8_852 Depth=1
                                        ; =>  This Inner Loop Header: Depth=2
	s_add_u32 s26, s4, s22
	s_addc_u32 s27, s5, s23
	global_load_ubyte v4, v28, s[26:27]
	s_add_u32 s22, s22, 1
	s_addc_u32 s23, s23, 0
	s_waitcnt vmcnt(0)
	v_and_b32_e32 v27, 0xffff, v4
	v_lshlrev_b64 v[4:5], s20, v[27:28]
	s_add_u32 s20, s20, 8
	s_addc_u32 s21, s21, 0
	v_or_b32_e32 v18, v4, v18
	s_cmp_lg_u32 s24, s22
	v_or_b32_e32 v19, v5, v19
	s_cbranch_scc1 .LBB8_886
	s_branch .LBB8_889
.LBB8_887:                              ;   in Loop: Header=BB8_852 Depth=1
                                        ; implicit-def: $sgpr15
	s_branch .LBB8_890
.LBB8_888:                              ;   in Loop: Header=BB8_852 Depth=1
	v_mov_b32_e32 v18, 0
	v_mov_b32_e32 v19, 0
.LBB8_889:                              ;   in Loop: Header=BB8_852 Depth=1
	s_mov_b32 s15, 0
	s_cbranch_execnz .LBB8_891
.LBB8_890:                              ;   in Loop: Header=BB8_852 Depth=1
	global_load_dwordx2 v[18:19], v28, s[4:5]
	s_add_i32 s15, s24, -8
	s_add_u32 s4, s4, 8
	s_addc_u32 s5, s5, 0
.LBB8_891:                              ;   in Loop: Header=BB8_852 Depth=1
	s_cmp_gt_u32 s15, 7
	s_cbranch_scc1 .LBB8_895
; %bb.892:                              ;   in Loop: Header=BB8_852 Depth=1
	s_cmp_eq_u32 s15, 0
	s_cbranch_scc1 .LBB8_896
; %bb.893:                              ;   in Loop: Header=BB8_852 Depth=1
	v_mov_b32_e32 v20, 0
	s_mov_b64 s[20:21], 0
	v_mov_b32_e32 v21, 0
	s_mov_b64 s[22:23], 0
.LBB8_894:                              ;   Parent Loop BB8_852 Depth=1
                                        ; =>  This Inner Loop Header: Depth=2
	s_add_u32 s24, s4, s22
	s_addc_u32 s25, s5, s23
	global_load_ubyte v4, v28, s[24:25]
	s_add_u32 s22, s22, 1
	s_addc_u32 s23, s23, 0
	s_waitcnt vmcnt(0)
	v_and_b32_e32 v27, 0xffff, v4
	v_lshlrev_b64 v[4:5], s20, v[27:28]
	s_add_u32 s20, s20, 8
	s_addc_u32 s21, s21, 0
	v_or_b32_e32 v20, v4, v20
	s_cmp_lg_u32 s15, s22
	v_or_b32_e32 v21, v5, v21
	s_cbranch_scc1 .LBB8_894
	s_branch .LBB8_897
.LBB8_895:                              ;   in Loop: Header=BB8_852 Depth=1
                                        ; implicit-def: $vgpr20_vgpr21
                                        ; implicit-def: $sgpr24
	s_branch .LBB8_898
.LBB8_896:                              ;   in Loop: Header=BB8_852 Depth=1
	v_mov_b32_e32 v20, 0
	v_mov_b32_e32 v21, 0
.LBB8_897:                              ;   in Loop: Header=BB8_852 Depth=1
	s_mov_b32 s24, 0
	s_cbranch_execnz .LBB8_899
.LBB8_898:                              ;   in Loop: Header=BB8_852 Depth=1
	global_load_dwordx2 v[20:21], v28, s[4:5]
	s_add_i32 s24, s15, -8
	s_add_u32 s4, s4, 8
	s_addc_u32 s5, s5, 0
.LBB8_899:                              ;   in Loop: Header=BB8_852 Depth=1
	s_cmp_gt_u32 s24, 7
	s_cbranch_scc1 .LBB8_903
; %bb.900:                              ;   in Loop: Header=BB8_852 Depth=1
	s_cmp_eq_u32 s24, 0
	s_cbranch_scc1 .LBB8_904
; %bb.901:                              ;   in Loop: Header=BB8_852 Depth=1
	v_mov_b32_e32 v22, 0
	s_mov_b64 s[20:21], 0
	v_mov_b32_e32 v23, 0
	s_mov_b64 s[22:23], s[4:5]
.LBB8_902:                              ;   Parent Loop BB8_852 Depth=1
                                        ; =>  This Inner Loop Header: Depth=2
	global_load_ubyte v4, v28, s[22:23]
	s_add_i32 s24, s24, -1
	s_waitcnt vmcnt(0)
	v_and_b32_e32 v27, 0xffff, v4
	v_lshlrev_b64 v[4:5], s20, v[27:28]
	s_add_u32 s20, s20, 8
	s_addc_u32 s21, s21, 0
	s_add_u32 s22, s22, 1
	s_addc_u32 s23, s23, 0
	v_or_b32_e32 v22, v4, v22
	s_cmp_lg_u32 s24, 0
	v_or_b32_e32 v23, v5, v23
	s_cbranch_scc1 .LBB8_902
	s_branch .LBB8_905
.LBB8_903:                              ;   in Loop: Header=BB8_852 Depth=1
	s_branch .LBB8_906
.LBB8_904:                              ;   in Loop: Header=BB8_852 Depth=1
	v_mov_b32_e32 v22, 0
	v_mov_b32_e32 v23, 0
.LBB8_905:                              ;   in Loop: Header=BB8_852 Depth=1
	s_cbranch_execnz .LBB8_907
.LBB8_906:                              ;   in Loop: Header=BB8_852 Depth=1
	global_load_dwordx2 v[22:23], v28, s[4:5]
.LBB8_907:                              ;   in Loop: Header=BB8_852 Depth=1
	v_readfirstlane_b32 s4, v51
	s_waitcnt vmcnt(0)
	v_mov_b32_e32 v4, 0
	v_mov_b32_e32 v5, 0
	v_cmp_eq_u32_e64 s[4:5], s4, v51
	s_and_saveexec_b64 s[20:21], s[4:5]
	s_cbranch_execz .LBB8_913
; %bb.908:                              ;   in Loop: Header=BB8_852 Depth=1
	global_load_dwordx2 v[26:27], v28, s[42:43] offset:24 glc
	s_waitcnt vmcnt(0)
	buffer_wbinvl1_vol
	global_load_dwordx2 v[4:5], v28, s[42:43] offset:40
	global_load_dwordx2 v[8:9], v28, s[42:43]
	s_waitcnt vmcnt(1)
	v_and_b32_e32 v4, v4, v26
	v_and_b32_e32 v5, v5, v27
	v_mul_lo_u32 v5, v5, 24
	v_mul_hi_u32 v24, v4, 24
	v_mul_lo_u32 v4, v4, 24
	v_add_u32_e32 v5, v24, v5
	s_waitcnt vmcnt(0)
	v_add_co_u32_e32 v4, vcc, v8, v4
	v_addc_co_u32_e32 v5, vcc, v9, v5, vcc
	global_load_dwordx2 v[24:25], v[4:5], off glc
	s_waitcnt vmcnt(0)
	global_atomic_cmpswap_x2 v[4:5], v28, v[24:27], s[42:43] offset:24 glc
	s_waitcnt vmcnt(0)
	buffer_wbinvl1_vol
	v_cmp_ne_u64_e32 vcc, v[4:5], v[26:27]
	s_and_saveexec_b64 s[22:23], vcc
	s_cbranch_execz .LBB8_912
; %bb.909:                              ;   in Loop: Header=BB8_852 Depth=1
	s_mov_b64 s[24:25], 0
.LBB8_910:                              ;   Parent Loop BB8_852 Depth=1
                                        ; =>  This Inner Loop Header: Depth=2
	s_sleep 1
	global_load_dwordx2 v[8:9], v28, s[42:43] offset:40
	global_load_dwordx2 v[24:25], v28, s[42:43]
	v_mov_b32_e32 v27, v5
	v_mov_b32_e32 v26, v4
	s_waitcnt vmcnt(1)
	v_and_b32_e32 v4, v8, v26
	s_waitcnt vmcnt(0)
	v_mad_u64_u32 v[4:5], s[26:27], v4, 24, v[24:25]
	v_and_b32_e32 v8, v9, v27
	v_mad_u64_u32 v[8:9], s[26:27], v8, 24, v[5:6]
	v_mov_b32_e32 v5, v8
	global_load_dwordx2 v[24:25], v[4:5], off glc
	s_waitcnt vmcnt(0)
	global_atomic_cmpswap_x2 v[4:5], v28, v[24:27], s[42:43] offset:24 glc
	s_waitcnt vmcnt(0)
	buffer_wbinvl1_vol
	v_cmp_eq_u64_e32 vcc, v[4:5], v[26:27]
	s_or_b64 s[24:25], vcc, s[24:25]
	s_andn2_b64 exec, exec, s[24:25]
	s_cbranch_execnz .LBB8_910
; %bb.911:                              ;   in Loop: Header=BB8_852 Depth=1
	s_or_b64 exec, exec, s[24:25]
.LBB8_912:                              ;   in Loop: Header=BB8_852 Depth=1
	s_or_b64 exec, exec, s[22:23]
.LBB8_913:                              ;   in Loop: Header=BB8_852 Depth=1
	s_or_b64 exec, exec, s[20:21]
	global_load_dwordx2 v[8:9], v28, s[42:43] offset:40
	global_load_dwordx4 v[24:27], v28, s[42:43]
	v_readfirstlane_b32 s20, v4
	v_readfirstlane_b32 s21, v5
	s_mov_b64 s[22:23], exec
	s_waitcnt vmcnt(1)
	v_readfirstlane_b32 s24, v8
	v_readfirstlane_b32 s25, v9
	s_and_b64 s[24:25], s[20:21], s[24:25]
	s_mul_i32 s15, s25, 24
	s_mul_hi_u32 s26, s24, 24
	s_mul_i32 s27, s24, 24
	s_add_i32 s15, s26, s15
	v_mov_b32_e32 v4, s15
	s_waitcnt vmcnt(0)
	v_add_co_u32_e32 v29, vcc, s27, v24
	v_addc_co_u32_e32 v30, vcc, v25, v4, vcc
	s_and_saveexec_b64 s[26:27], s[4:5]
	s_cbranch_execz .LBB8_915
; %bb.914:                              ;   in Loop: Header=BB8_852 Depth=1
	v_mov_b32_e32 v4, s22
	v_mov_b32_e32 v5, s23
	global_store_dwordx4 v[29:30], v[4:7], off offset:8
.LBB8_915:                              ;   in Loop: Header=BB8_852 Depth=1
	s_or_b64 exec, exec, s[26:27]
	s_lshl_b64 s[22:23], s[24:25], 12
	v_mov_b32_e32 v4, s23
	v_add_co_u32_e32 v26, vcc, s22, v26
	v_addc_co_u32_e32 v32, vcc, v27, v4, vcc
	v_cmp_gt_u64_e64 vcc, s[16:17], 56
	v_or_b32_e32 v5, v2, v31
	s_lshl_b32 s15, s18, 2
	v_cndmask_b32_e32 v2, v5, v2, vcc
	s_add_i32 s15, s15, 28
	v_or_b32_e32 v4, 0, v3
	s_and_b32 s15, s15, 0x1e0
	v_and_b32_e32 v2, 0xffffff1f, v2
	v_cndmask_b32_e32 v9, v4, v3, vcc
	v_or_b32_e32 v8, s15, v2
	v_readfirstlane_b32 s22, v26
	v_readfirstlane_b32 s23, v32
	s_nop 4
	global_store_dwordx4 v50, v[8:11], s[22:23]
	global_store_dwordx4 v50, v[12:15], s[22:23] offset:16
	global_store_dwordx4 v50, v[16:19], s[22:23] offset:32
	;; [unrolled: 1-line block ×3, first 2 shown]
	s_and_saveexec_b64 s[22:23], s[4:5]
	s_cbranch_execz .LBB8_923
; %bb.916:                              ;   in Loop: Header=BB8_852 Depth=1
	global_load_dwordx2 v[12:13], v28, s[42:43] offset:32 glc
	global_load_dwordx2 v[2:3], v28, s[42:43] offset:40
	v_mov_b32_e32 v10, s20
	v_mov_b32_e32 v11, s21
	s_waitcnt vmcnt(0)
	v_readfirstlane_b32 s24, v2
	v_readfirstlane_b32 s25, v3
	s_and_b64 s[24:25], s[24:25], s[20:21]
	s_mul_i32 s15, s25, 24
	s_mul_hi_u32 s25, s24, 24
	s_mul_i32 s24, s24, 24
	s_add_i32 s15, s25, s15
	v_mov_b32_e32 v2, s15
	v_add_co_u32_e32 v8, vcc, s24, v24
	v_addc_co_u32_e32 v9, vcc, v25, v2, vcc
	global_store_dwordx2 v[8:9], v[12:13], off
	s_waitcnt vmcnt(0)
	global_atomic_cmpswap_x2 v[4:5], v28, v[10:13], s[42:43] offset:32 glc
	s_waitcnt vmcnt(0)
	v_cmp_ne_u64_e32 vcc, v[4:5], v[12:13]
	s_and_saveexec_b64 s[24:25], vcc
	s_cbranch_execz .LBB8_919
; %bb.917:                              ;   in Loop: Header=BB8_852 Depth=1
	s_mov_b64 s[26:27], 0
.LBB8_918:                              ;   Parent Loop BB8_852 Depth=1
                                        ; =>  This Inner Loop Header: Depth=2
	s_sleep 1
	global_store_dwordx2 v[8:9], v[4:5], off
	v_mov_b32_e32 v2, s20
	v_mov_b32_e32 v3, s21
	s_waitcnt vmcnt(0)
	global_atomic_cmpswap_x2 v[2:3], v28, v[2:5], s[42:43] offset:32 glc
	s_waitcnt vmcnt(0)
	v_cmp_eq_u64_e32 vcc, v[2:3], v[4:5]
	v_mov_b32_e32 v5, v3
	s_or_b64 s[26:27], vcc, s[26:27]
	v_mov_b32_e32 v4, v2
	s_andn2_b64 exec, exec, s[26:27]
	s_cbranch_execnz .LBB8_918
.LBB8_919:                              ;   in Loop: Header=BB8_852 Depth=1
	s_or_b64 exec, exec, s[24:25]
	global_load_dwordx2 v[2:3], v28, s[42:43] offset:16
	s_mov_b64 s[26:27], exec
	v_mbcnt_lo_u32_b32 v4, s26, 0
	v_mbcnt_hi_u32_b32 v4, s27, v4
	v_cmp_eq_u32_e32 vcc, 0, v4
	s_and_saveexec_b64 s[24:25], vcc
	s_cbranch_execz .LBB8_921
; %bb.920:                              ;   in Loop: Header=BB8_852 Depth=1
	s_bcnt1_i32_b64 s15, s[26:27]
	v_mov_b32_e32 v27, s15
	s_waitcnt vmcnt(0)
	global_atomic_add_x2 v[2:3], v[27:28], off offset:8
.LBB8_921:                              ;   in Loop: Header=BB8_852 Depth=1
	s_or_b64 exec, exec, s[24:25]
	s_waitcnt vmcnt(0)
	global_load_dwordx2 v[4:5], v[2:3], off offset:16
	s_waitcnt vmcnt(0)
	v_cmp_eq_u64_e32 vcc, 0, v[4:5]
	s_cbranch_vccnz .LBB8_923
; %bb.922:                              ;   in Loop: Header=BB8_852 Depth=1
	global_load_dword v27, v[2:3], off offset:24
	s_waitcnt vmcnt(0)
	v_and_b32_e32 v2, 0xffffff, v27
	v_readfirstlane_b32 m0, v2
	global_store_dwordx2 v[4:5], v[27:28], off
	s_sendmsg sendmsg(MSG_INTERRUPT)
.LBB8_923:                              ;   in Loop: Header=BB8_852 Depth=1
	s_or_b64 exec, exec, s[22:23]
	v_add_co_u32_e32 v2, vcc, v26, v50
	v_addc_co_u32_e32 v3, vcc, 0, v32, vcc
	s_branch .LBB8_927
.LBB8_924:                              ;   in Loop: Header=BB8_927 Depth=2
	s_or_b64 exec, exec, s[22:23]
	v_readfirstlane_b32 s15, v4
	s_cmp_eq_u32 s15, 0
	s_cbranch_scc1 .LBB8_926
; %bb.925:                              ;   in Loop: Header=BB8_927 Depth=2
	s_sleep 1
	s_cbranch_execnz .LBB8_927
	s_branch .LBB8_929
.LBB8_926:                              ;   in Loop: Header=BB8_852 Depth=1
	s_branch .LBB8_929
.LBB8_927:                              ;   Parent Loop BB8_852 Depth=1
                                        ; =>  This Inner Loop Header: Depth=2
	v_mov_b32_e32 v4, 1
	s_and_saveexec_b64 s[22:23], s[4:5]
	s_cbranch_execz .LBB8_924
; %bb.928:                              ;   in Loop: Header=BB8_927 Depth=2
	global_load_dword v4, v[29:30], off offset:20 glc
	s_waitcnt vmcnt(0)
	buffer_wbinvl1_vol
	v_and_b32_e32 v4, 1, v4
	s_branch .LBB8_924
.LBB8_929:                              ;   in Loop: Header=BB8_852 Depth=1
	global_load_dwordx4 v[2:5], v[2:3], off
	s_and_saveexec_b64 s[22:23], s[4:5]
	s_cbranch_execz .LBB8_851
; %bb.930:                              ;   in Loop: Header=BB8_852 Depth=1
	global_load_dwordx2 v[4:5], v28, s[42:43] offset:40
	global_load_dwordx2 v[12:13], v28, s[42:43] offset:24 glc
	global_load_dwordx2 v[14:15], v28, s[42:43]
	v_mov_b32_e32 v9, s21
	s_waitcnt vmcnt(2)
	v_add_co_u32_e32 v10, vcc, 1, v4
	v_addc_co_u32_e32 v11, vcc, 0, v5, vcc
	v_add_co_u32_e32 v8, vcc, s20, v10
	v_addc_co_u32_e32 v9, vcc, v11, v9, vcc
	v_cmp_eq_u64_e32 vcc, 0, v[8:9]
	v_cndmask_b32_e32 v9, v9, v11, vcc
	v_cndmask_b32_e32 v8, v8, v10, vcc
	v_and_b32_e32 v5, v9, v5
	v_and_b32_e32 v4, v8, v4
	v_mul_lo_u32 v5, v5, 24
	v_mul_hi_u32 v11, v4, 24
	v_mul_lo_u32 v4, v4, 24
	s_waitcnt vmcnt(1)
	v_mov_b32_e32 v10, v12
	v_add_u32_e32 v5, v11, v5
	s_waitcnt vmcnt(0)
	v_add_co_u32_e32 v4, vcc, v14, v4
	v_addc_co_u32_e32 v5, vcc, v15, v5, vcc
	global_store_dwordx2 v[4:5], v[12:13], off
	v_mov_b32_e32 v11, v13
	s_waitcnt vmcnt(0)
	global_atomic_cmpswap_x2 v[10:11], v28, v[8:11], s[42:43] offset:24 glc
	s_waitcnt vmcnt(0)
	v_cmp_ne_u64_e32 vcc, v[10:11], v[12:13]
	s_and_b64 exec, exec, vcc
	s_cbranch_execz .LBB8_851
; %bb.931:                              ;   in Loop: Header=BB8_852 Depth=1
	s_mov_b64 s[4:5], 0
.LBB8_932:                              ;   Parent Loop BB8_852 Depth=1
                                        ; =>  This Inner Loop Header: Depth=2
	s_sleep 1
	global_store_dwordx2 v[4:5], v[10:11], off
	s_waitcnt vmcnt(0)
	global_atomic_cmpswap_x2 v[12:13], v28, v[8:11], s[42:43] offset:24 glc
	s_waitcnt vmcnt(0)
	v_cmp_eq_u64_e32 vcc, v[12:13], v[10:11]
	v_mov_b32_e32 v10, v12
	s_or_b64 s[4:5], vcc, s[4:5]
	v_mov_b32_e32 v11, v13
	s_andn2_b64 exec, exec, s[4:5]
	s_cbranch_execnz .LBB8_932
	s_branch .LBB8_851
.LBB8_933:
	s_branch .LBB8_961
.LBB8_934:
                                        ; implicit-def: $vgpr2_vgpr3
	s_cbranch_execz .LBB8_961
; %bb.935:
	v_readfirstlane_b32 s4, v51
	v_mov_b32_e32 v8, 0
	v_mov_b32_e32 v9, 0
	v_cmp_eq_u32_e64 s[4:5], s4, v51
	s_and_saveexec_b64 s[10:11], s[4:5]
	s_cbranch_execz .LBB8_941
; %bb.936:
	s_waitcnt vmcnt(0)
	v_mov_b32_e32 v2, 0
	global_load_dwordx2 v[5:6], v2, s[42:43] offset:24 glc
	s_waitcnt vmcnt(0)
	buffer_wbinvl1_vol
	global_load_dwordx2 v[3:4], v2, s[42:43] offset:40
	global_load_dwordx2 v[7:8], v2, s[42:43]
	s_waitcnt vmcnt(1)
	v_and_b32_e32 v3, v3, v5
	v_and_b32_e32 v4, v4, v6
	v_mul_lo_u32 v4, v4, 24
	v_mul_hi_u32 v9, v3, 24
	v_mul_lo_u32 v3, v3, 24
	v_add_u32_e32 v4, v9, v4
	s_waitcnt vmcnt(0)
	v_add_co_u32_e32 v3, vcc, v7, v3
	v_addc_co_u32_e32 v4, vcc, v8, v4, vcc
	global_load_dwordx2 v[3:4], v[3:4], off glc
	s_waitcnt vmcnt(0)
	global_atomic_cmpswap_x2 v[8:9], v2, v[3:6], s[42:43] offset:24 glc
	s_waitcnt vmcnt(0)
	buffer_wbinvl1_vol
	v_cmp_ne_u64_e32 vcc, v[8:9], v[5:6]
	s_and_saveexec_b64 s[16:17], vcc
	s_cbranch_execz .LBB8_940
; %bb.937:
	s_mov_b64 s[18:19], 0
.LBB8_938:                              ; =>This Inner Loop Header: Depth=1
	s_sleep 1
	global_load_dwordx2 v[3:4], v2, s[42:43] offset:40
	global_load_dwordx2 v[10:11], v2, s[42:43]
	v_mov_b32_e32 v5, v8
	v_mov_b32_e32 v6, v9
	s_waitcnt vmcnt(1)
	v_and_b32_e32 v3, v3, v5
	s_waitcnt vmcnt(0)
	v_mad_u64_u32 v[7:8], s[20:21], v3, 24, v[10:11]
	v_and_b32_e32 v4, v4, v6
	v_mov_b32_e32 v3, v8
	v_mad_u64_u32 v[3:4], s[20:21], v4, 24, v[3:4]
	v_mov_b32_e32 v8, v3
	global_load_dwordx2 v[3:4], v[7:8], off glc
	s_waitcnt vmcnt(0)
	global_atomic_cmpswap_x2 v[8:9], v2, v[3:6], s[42:43] offset:24 glc
	s_waitcnt vmcnt(0)
	buffer_wbinvl1_vol
	v_cmp_eq_u64_e32 vcc, v[8:9], v[5:6]
	s_or_b64 s[18:19], vcc, s[18:19]
	s_andn2_b64 exec, exec, s[18:19]
	s_cbranch_execnz .LBB8_938
; %bb.939:
	s_or_b64 exec, exec, s[18:19]
.LBB8_940:
	s_or_b64 exec, exec, s[16:17]
.LBB8_941:
	s_or_b64 exec, exec, s[10:11]
	s_waitcnt vmcnt(0)
	v_mov_b32_e32 v2, 0
	global_load_dwordx2 v[10:11], v2, s[42:43] offset:40
	global_load_dwordx4 v[4:7], v2, s[42:43]
	v_readfirstlane_b32 s10, v8
	v_readfirstlane_b32 s11, v9
	s_mov_b64 s[16:17], exec
	s_waitcnt vmcnt(1)
	v_readfirstlane_b32 s18, v10
	v_readfirstlane_b32 s19, v11
	s_and_b64 s[18:19], s[10:11], s[18:19]
	s_mul_i32 s15, s19, 24
	s_mul_hi_u32 s20, s18, 24
	s_mul_i32 s21, s18, 24
	s_add_i32 s15, s20, s15
	v_mov_b32_e32 v3, s15
	s_waitcnt vmcnt(0)
	v_add_co_u32_e32 v8, vcc, s21, v4
	v_addc_co_u32_e32 v9, vcc, v5, v3, vcc
	s_and_saveexec_b64 s[20:21], s[4:5]
	s_cbranch_execz .LBB8_943
; %bb.942:
	v_mov_b32_e32 v10, s16
	v_mov_b32_e32 v11, s17
	;; [unrolled: 1-line block ×4, first 2 shown]
	global_store_dwordx4 v[8:9], v[10:13], off offset:8
.LBB8_943:
	s_or_b64 exec, exec, s[20:21]
	s_lshl_b64 s[16:17], s[18:19], 12
	v_mov_b32_e32 v3, s17
	v_add_co_u32_e32 v10, vcc, s16, v6
	v_addc_co_u32_e32 v11, vcc, v7, v3, vcc
	s_movk_i32 s15, 0xff1f
	v_and_or_b32 v0, v0, s15, 32
	s_mov_b32 s16, 0
	v_mov_b32_e32 v3, v2
	v_readfirstlane_b32 s20, v10
	v_readfirstlane_b32 s21, v11
	v_add_co_u32_e32 v6, vcc, v10, v50
	s_mov_b32 s17, s16
	s_mov_b32 s18, s16
	;; [unrolled: 1-line block ×3, first 2 shown]
	s_nop 0
	global_store_dwordx4 v50, v[0:3], s[20:21]
	v_addc_co_u32_e32 v7, vcc, 0, v11, vcc
	v_mov_b32_e32 v0, s16
	v_mov_b32_e32 v1, s17
	;; [unrolled: 1-line block ×4, first 2 shown]
	global_store_dwordx4 v50, v[0:3], s[20:21] offset:16
	global_store_dwordx4 v50, v[0:3], s[20:21] offset:32
	;; [unrolled: 1-line block ×3, first 2 shown]
	s_and_saveexec_b64 s[16:17], s[4:5]
	s_cbranch_execz .LBB8_951
; %bb.944:
	v_mov_b32_e32 v10, 0
	global_load_dwordx2 v[13:14], v10, s[42:43] offset:32 glc
	global_load_dwordx2 v[0:1], v10, s[42:43] offset:40
	v_mov_b32_e32 v11, s10
	v_mov_b32_e32 v12, s11
	s_waitcnt vmcnt(0)
	v_readfirstlane_b32 s18, v0
	v_readfirstlane_b32 s19, v1
	s_and_b64 s[18:19], s[18:19], s[10:11]
	s_mul_i32 s15, s19, 24
	s_mul_hi_u32 s19, s18, 24
	s_mul_i32 s18, s18, 24
	s_add_i32 s15, s19, s15
	v_mov_b32_e32 v0, s15
	v_add_co_u32_e32 v4, vcc, s18, v4
	v_addc_co_u32_e32 v5, vcc, v5, v0, vcc
	global_store_dwordx2 v[4:5], v[13:14], off
	s_waitcnt vmcnt(0)
	global_atomic_cmpswap_x2 v[2:3], v10, v[11:14], s[42:43] offset:32 glc
	s_waitcnt vmcnt(0)
	v_cmp_ne_u64_e32 vcc, v[2:3], v[13:14]
	s_and_saveexec_b64 s[18:19], vcc
	s_cbranch_execz .LBB8_947
; %bb.945:
	s_mov_b64 s[20:21], 0
.LBB8_946:                              ; =>This Inner Loop Header: Depth=1
	s_sleep 1
	global_store_dwordx2 v[4:5], v[2:3], off
	v_mov_b32_e32 v0, s10
	v_mov_b32_e32 v1, s11
	s_waitcnt vmcnt(0)
	global_atomic_cmpswap_x2 v[0:1], v10, v[0:3], s[42:43] offset:32 glc
	s_waitcnt vmcnt(0)
	v_cmp_eq_u64_e32 vcc, v[0:1], v[2:3]
	v_mov_b32_e32 v3, v1
	s_or_b64 s[20:21], vcc, s[20:21]
	v_mov_b32_e32 v2, v0
	s_andn2_b64 exec, exec, s[20:21]
	s_cbranch_execnz .LBB8_946
.LBB8_947:
	s_or_b64 exec, exec, s[18:19]
	v_mov_b32_e32 v3, 0
	global_load_dwordx2 v[0:1], v3, s[42:43] offset:16
	s_mov_b64 s[18:19], exec
	v_mbcnt_lo_u32_b32 v2, s18, 0
	v_mbcnt_hi_u32_b32 v2, s19, v2
	v_cmp_eq_u32_e32 vcc, 0, v2
	s_and_saveexec_b64 s[20:21], vcc
	s_cbranch_execz .LBB8_949
; %bb.948:
	s_bcnt1_i32_b64 s15, s[18:19]
	v_mov_b32_e32 v2, s15
	s_waitcnt vmcnt(0)
	global_atomic_add_x2 v[0:1], v[2:3], off offset:8
.LBB8_949:
	s_or_b64 exec, exec, s[20:21]
	s_waitcnt vmcnt(0)
	global_load_dwordx2 v[2:3], v[0:1], off offset:16
	s_waitcnt vmcnt(0)
	v_cmp_eq_u64_e32 vcc, 0, v[2:3]
	s_cbranch_vccnz .LBB8_951
; %bb.950:
	global_load_dword v0, v[0:1], off offset:24
	v_mov_b32_e32 v1, 0
	s_waitcnt vmcnt(0)
	global_store_dwordx2 v[2:3], v[0:1], off
	v_and_b32_e32 v0, 0xffffff, v0
	v_readfirstlane_b32 m0, v0
	s_sendmsg sendmsg(MSG_INTERRUPT)
.LBB8_951:
	s_or_b64 exec, exec, s[16:17]
	s_branch .LBB8_955
.LBB8_952:                              ;   in Loop: Header=BB8_955 Depth=1
	s_or_b64 exec, exec, s[16:17]
	v_readfirstlane_b32 s15, v0
	s_cmp_eq_u32 s15, 0
	s_cbranch_scc1 .LBB8_954
; %bb.953:                              ;   in Loop: Header=BB8_955 Depth=1
	s_sleep 1
	s_cbranch_execnz .LBB8_955
	s_branch .LBB8_957
.LBB8_954:
	s_branch .LBB8_957
.LBB8_955:                              ; =>This Inner Loop Header: Depth=1
	v_mov_b32_e32 v0, 1
	s_and_saveexec_b64 s[16:17], s[4:5]
	s_cbranch_execz .LBB8_952
; %bb.956:                              ;   in Loop: Header=BB8_955 Depth=1
	global_load_dword v0, v[8:9], off offset:20 glc
	s_waitcnt vmcnt(0)
	buffer_wbinvl1_vol
	v_and_b32_e32 v0, 1, v0
	s_branch .LBB8_952
.LBB8_957:
	global_load_dwordx2 v[2:3], v[6:7], off
	s_and_saveexec_b64 s[16:17], s[4:5]
	s_cbranch_execz .LBB8_960
; %bb.958:
	v_mov_b32_e32 v8, 0
	global_load_dwordx2 v[0:1], v8, s[42:43] offset:40
	global_load_dwordx2 v[9:10], v8, s[42:43] offset:24 glc
	global_load_dwordx2 v[11:12], v8, s[42:43]
	v_mov_b32_e32 v5, s11
	s_mov_b64 s[4:5], 0
	s_waitcnt vmcnt(2)
	v_add_co_u32_e32 v6, vcc, 1, v0
	v_addc_co_u32_e32 v7, vcc, 0, v1, vcc
	v_add_co_u32_e32 v4, vcc, s10, v6
	v_addc_co_u32_e32 v5, vcc, v7, v5, vcc
	v_cmp_eq_u64_e32 vcc, 0, v[4:5]
	v_cndmask_b32_e32 v5, v5, v7, vcc
	v_cndmask_b32_e32 v4, v4, v6, vcc
	v_and_b32_e32 v1, v5, v1
	v_and_b32_e32 v0, v4, v0
	v_mul_lo_u32 v1, v1, 24
	v_mul_hi_u32 v7, v0, 24
	v_mul_lo_u32 v0, v0, 24
	s_waitcnt vmcnt(1)
	v_mov_b32_e32 v6, v9
	v_add_u32_e32 v1, v7, v1
	s_waitcnt vmcnt(0)
	v_add_co_u32_e32 v0, vcc, v11, v0
	v_addc_co_u32_e32 v1, vcc, v12, v1, vcc
	global_store_dwordx2 v[0:1], v[9:10], off
	v_mov_b32_e32 v7, v10
	s_waitcnt vmcnt(0)
	global_atomic_cmpswap_x2 v[6:7], v8, v[4:7], s[42:43] offset:24 glc
	s_waitcnt vmcnt(0)
	v_cmp_ne_u64_e32 vcc, v[6:7], v[9:10]
	s_and_b64 exec, exec, vcc
	s_cbranch_execz .LBB8_960
.LBB8_959:                              ; =>This Inner Loop Header: Depth=1
	s_sleep 1
	global_store_dwordx2 v[0:1], v[6:7], off
	s_waitcnt vmcnt(0)
	global_atomic_cmpswap_x2 v[9:10], v8, v[4:7], s[42:43] offset:24 glc
	s_waitcnt vmcnt(0)
	v_cmp_eq_u64_e32 vcc, v[9:10], v[6:7]
	v_mov_b32_e32 v6, v9
	s_or_b64 s[4:5], vcc, s[4:5]
	v_mov_b32_e32 v7, v10
	s_andn2_b64 exec, exec, s[4:5]
	s_cbranch_execnz .LBB8_959
.LBB8_960:
	s_or_b64 exec, exec, s[16:17]
.LBB8_961:
	v_readfirstlane_b32 s4, v51
	s_waitcnt vmcnt(0)
	v_mov_b32_e32 v0, 0
	v_mov_b32_e32 v1, 0
	v_cmp_eq_u32_e64 s[4:5], s4, v51
	s_and_saveexec_b64 s[10:11], s[4:5]
	s_cbranch_execz .LBB8_967
; %bb.962:
	v_mov_b32_e32 v4, 0
	global_load_dwordx2 v[7:8], v4, s[42:43] offset:24 glc
	s_waitcnt vmcnt(0)
	buffer_wbinvl1_vol
	global_load_dwordx2 v[0:1], v4, s[42:43] offset:40
	global_load_dwordx2 v[5:6], v4, s[42:43]
	s_waitcnt vmcnt(1)
	v_and_b32_e32 v0, v0, v7
	v_and_b32_e32 v1, v1, v8
	v_mul_lo_u32 v1, v1, 24
	v_mul_hi_u32 v9, v0, 24
	v_mul_lo_u32 v0, v0, 24
	v_add_u32_e32 v1, v9, v1
	s_waitcnt vmcnt(0)
	v_add_co_u32_e32 v0, vcc, v5, v0
	v_addc_co_u32_e32 v1, vcc, v6, v1, vcc
	global_load_dwordx2 v[5:6], v[0:1], off glc
	s_waitcnt vmcnt(0)
	global_atomic_cmpswap_x2 v[0:1], v4, v[5:8], s[42:43] offset:24 glc
	s_waitcnt vmcnt(0)
	buffer_wbinvl1_vol
	v_cmp_ne_u64_e32 vcc, v[0:1], v[7:8]
	s_and_saveexec_b64 s[16:17], vcc
	s_cbranch_execz .LBB8_966
; %bb.963:
	s_mov_b64 s[18:19], 0
.LBB8_964:                              ; =>This Inner Loop Header: Depth=1
	s_sleep 1
	global_load_dwordx2 v[5:6], v4, s[42:43] offset:40
	global_load_dwordx2 v[9:10], v4, s[42:43]
	v_mov_b32_e32 v8, v1
	v_mov_b32_e32 v7, v0
	s_waitcnt vmcnt(1)
	v_and_b32_e32 v0, v5, v7
	s_waitcnt vmcnt(0)
	v_mad_u64_u32 v[0:1], s[20:21], v0, 24, v[9:10]
	v_and_b32_e32 v5, v6, v8
	v_mad_u64_u32 v[5:6], s[20:21], v5, 24, v[1:2]
	v_mov_b32_e32 v1, v5
	global_load_dwordx2 v[5:6], v[0:1], off glc
	s_waitcnt vmcnt(0)
	global_atomic_cmpswap_x2 v[0:1], v4, v[5:8], s[42:43] offset:24 glc
	s_waitcnt vmcnt(0)
	buffer_wbinvl1_vol
	v_cmp_eq_u64_e32 vcc, v[0:1], v[7:8]
	s_or_b64 s[18:19], vcc, s[18:19]
	s_andn2_b64 exec, exec, s[18:19]
	s_cbranch_execnz .LBB8_964
; %bb.965:
	s_or_b64 exec, exec, s[18:19]
.LBB8_966:
	s_or_b64 exec, exec, s[16:17]
.LBB8_967:
	s_or_b64 exec, exec, s[10:11]
	v_mov_b32_e32 v5, 0
	global_load_dwordx2 v[10:11], v5, s[42:43] offset:40
	global_load_dwordx4 v[6:9], v5, s[42:43]
	v_readfirstlane_b32 s10, v0
	v_readfirstlane_b32 s11, v1
	s_mov_b64 s[16:17], exec
	s_waitcnt vmcnt(1)
	v_readfirstlane_b32 s18, v10
	v_readfirstlane_b32 s19, v11
	s_and_b64 s[18:19], s[10:11], s[18:19]
	s_mul_i32 s15, s19, 24
	s_mul_hi_u32 s20, s18, 24
	s_mul_i32 s21, s18, 24
	s_add_i32 s15, s20, s15
	v_mov_b32_e32 v0, s15
	s_waitcnt vmcnt(0)
	v_add_co_u32_e32 v10, vcc, s21, v6
	v_addc_co_u32_e32 v11, vcc, v7, v0, vcc
	s_and_saveexec_b64 s[20:21], s[4:5]
	s_cbranch_execz .LBB8_969
; %bb.968:
	v_mov_b32_e32 v12, s16
	v_mov_b32_e32 v13, s17
	;; [unrolled: 1-line block ×4, first 2 shown]
	global_store_dwordx4 v[10:11], v[12:15], off offset:8
.LBB8_969:
	s_or_b64 exec, exec, s[20:21]
	s_lshl_b64 s[16:17], s[18:19], 12
	v_mov_b32_e32 v0, s17
	v_add_co_u32_e32 v1, vcc, s16, v8
	v_addc_co_u32_e32 v0, vcc, v9, v0, vcc
	s_movk_i32 s15, 0xff1d
	v_and_or_b32 v2, v2, s15, 34
	s_mov_b32 s16, 0
	v_mov_b32_e32 v4, 0x3b1
	v_readfirstlane_b32 s20, v1
	v_readfirstlane_b32 s21, v0
	s_mov_b32 s17, s16
	s_mov_b32 s18, s16
	;; [unrolled: 1-line block ×3, first 2 shown]
	s_nop 1
	global_store_dwordx4 v50, v[2:5], s[20:21]
	v_mov_b32_e32 v0, s16
	v_mov_b32_e32 v1, s17
	;; [unrolled: 1-line block ×4, first 2 shown]
	global_store_dwordx4 v50, v[0:3], s[20:21] offset:16
	global_store_dwordx4 v50, v[0:3], s[20:21] offset:32
	;; [unrolled: 1-line block ×3, first 2 shown]
	s_and_saveexec_b64 s[16:17], s[4:5]
	s_cbranch_execz .LBB8_977
; %bb.970:
	v_mov_b32_e32 v8, 0
	global_load_dwordx2 v[14:15], v8, s[42:43] offset:32 glc
	global_load_dwordx2 v[0:1], v8, s[42:43] offset:40
	v_mov_b32_e32 v12, s10
	v_mov_b32_e32 v13, s11
	s_waitcnt vmcnt(0)
	v_readfirstlane_b32 s18, v0
	v_readfirstlane_b32 s19, v1
	s_and_b64 s[18:19], s[18:19], s[10:11]
	s_mul_i32 s15, s19, 24
	s_mul_hi_u32 s19, s18, 24
	s_mul_i32 s18, s18, 24
	s_add_i32 s15, s19, s15
	v_mov_b32_e32 v0, s15
	v_add_co_u32_e32 v4, vcc, s18, v6
	v_addc_co_u32_e32 v5, vcc, v7, v0, vcc
	global_store_dwordx2 v[4:5], v[14:15], off
	s_waitcnt vmcnt(0)
	global_atomic_cmpswap_x2 v[2:3], v8, v[12:15], s[42:43] offset:32 glc
	s_waitcnt vmcnt(0)
	v_cmp_ne_u64_e32 vcc, v[2:3], v[14:15]
	s_and_saveexec_b64 s[18:19], vcc
	s_cbranch_execz .LBB8_973
; %bb.971:
	s_mov_b64 s[20:21], 0
.LBB8_972:                              ; =>This Inner Loop Header: Depth=1
	s_sleep 1
	global_store_dwordx2 v[4:5], v[2:3], off
	v_mov_b32_e32 v0, s10
	v_mov_b32_e32 v1, s11
	s_waitcnt vmcnt(0)
	global_atomic_cmpswap_x2 v[0:1], v8, v[0:3], s[42:43] offset:32 glc
	s_waitcnt vmcnt(0)
	v_cmp_eq_u64_e32 vcc, v[0:1], v[2:3]
	v_mov_b32_e32 v3, v1
	s_or_b64 s[20:21], vcc, s[20:21]
	v_mov_b32_e32 v2, v0
	s_andn2_b64 exec, exec, s[20:21]
	s_cbranch_execnz .LBB8_972
.LBB8_973:
	s_or_b64 exec, exec, s[18:19]
	v_mov_b32_e32 v3, 0
	global_load_dwordx2 v[0:1], v3, s[42:43] offset:16
	s_mov_b64 s[18:19], exec
	v_mbcnt_lo_u32_b32 v2, s18, 0
	v_mbcnt_hi_u32_b32 v2, s19, v2
	v_cmp_eq_u32_e32 vcc, 0, v2
	s_and_saveexec_b64 s[20:21], vcc
	s_cbranch_execz .LBB8_975
; %bb.974:
	s_bcnt1_i32_b64 s15, s[18:19]
	v_mov_b32_e32 v2, s15
	s_waitcnt vmcnt(0)
	global_atomic_add_x2 v[0:1], v[2:3], off offset:8
.LBB8_975:
	s_or_b64 exec, exec, s[20:21]
	s_waitcnt vmcnt(0)
	global_load_dwordx2 v[2:3], v[0:1], off offset:16
	s_waitcnt vmcnt(0)
	v_cmp_eq_u64_e32 vcc, 0, v[2:3]
	s_cbranch_vccnz .LBB8_977
; %bb.976:
	global_load_dword v0, v[0:1], off offset:24
	v_mov_b32_e32 v1, 0
	s_waitcnt vmcnt(0)
	global_store_dwordx2 v[2:3], v[0:1], off
	v_and_b32_e32 v0, 0xffffff, v0
	v_readfirstlane_b32 m0, v0
	s_sendmsg sendmsg(MSG_INTERRUPT)
.LBB8_977:
	s_or_b64 exec, exec, s[16:17]
	s_branch .LBB8_981
.LBB8_978:                              ;   in Loop: Header=BB8_981 Depth=1
	s_or_b64 exec, exec, s[16:17]
	v_readfirstlane_b32 s15, v0
	s_cmp_eq_u32 s15, 0
	s_cbranch_scc1 .LBB8_980
; %bb.979:                              ;   in Loop: Header=BB8_981 Depth=1
	s_sleep 1
	s_cbranch_execnz .LBB8_981
	s_branch .LBB8_983
.LBB8_980:
	s_branch .LBB8_983
.LBB8_981:                              ; =>This Inner Loop Header: Depth=1
	v_mov_b32_e32 v0, 1
	s_and_saveexec_b64 s[16:17], s[4:5]
	s_cbranch_execz .LBB8_978
; %bb.982:                              ;   in Loop: Header=BB8_981 Depth=1
	global_load_dword v0, v[10:11], off offset:20 glc
	s_waitcnt vmcnt(0)
	buffer_wbinvl1_vol
	v_and_b32_e32 v0, 1, v0
	s_branch .LBB8_978
.LBB8_983:
	s_and_saveexec_b64 s[16:17], s[4:5]
	s_cbranch_execz .LBB8_986
; %bb.984:
	v_mov_b32_e32 v6, 0
	global_load_dwordx2 v[2:3], v6, s[42:43] offset:40
	global_load_dwordx2 v[7:8], v6, s[42:43] offset:24 glc
	global_load_dwordx2 v[4:5], v6, s[42:43]
	v_mov_b32_e32 v1, s11
	s_mov_b64 s[4:5], 0
	s_waitcnt vmcnt(2)
	v_add_co_u32_e32 v9, vcc, 1, v2
	v_addc_co_u32_e32 v10, vcc, 0, v3, vcc
	v_add_co_u32_e32 v0, vcc, s10, v9
	v_addc_co_u32_e32 v1, vcc, v10, v1, vcc
	v_cmp_eq_u64_e32 vcc, 0, v[0:1]
	v_cndmask_b32_e32 v1, v1, v10, vcc
	v_cndmask_b32_e32 v0, v0, v9, vcc
	v_and_b32_e32 v3, v1, v3
	v_and_b32_e32 v2, v0, v2
	v_mul_lo_u32 v3, v3, 24
	v_mul_hi_u32 v9, v2, 24
	v_mul_lo_u32 v10, v2, 24
	s_waitcnt vmcnt(1)
	v_mov_b32_e32 v2, v7
	v_add_u32_e32 v3, v9, v3
	s_waitcnt vmcnt(0)
	v_add_co_u32_e32 v4, vcc, v4, v10
	v_addc_co_u32_e32 v5, vcc, v5, v3, vcc
	global_store_dwordx2 v[4:5], v[7:8], off
	v_mov_b32_e32 v3, v8
	s_waitcnt vmcnt(0)
	global_atomic_cmpswap_x2 v[2:3], v6, v[0:3], s[42:43] offset:24 glc
	s_waitcnt vmcnt(0)
	v_cmp_ne_u64_e32 vcc, v[2:3], v[7:8]
	s_and_b64 exec, exec, vcc
	s_cbranch_execz .LBB8_986
.LBB8_985:                              ; =>This Inner Loop Header: Depth=1
	s_sleep 1
	global_store_dwordx2 v[4:5], v[2:3], off
	s_waitcnt vmcnt(0)
	global_atomic_cmpswap_x2 v[7:8], v6, v[0:3], s[42:43] offset:24 glc
	s_waitcnt vmcnt(0)
	v_cmp_eq_u64_e32 vcc, v[7:8], v[2:3]
	v_mov_b32_e32 v2, v7
	s_or_b64 s[4:5], vcc, s[4:5]
	v_mov_b32_e32 v3, v8
	s_andn2_b64 exec, exec, s[4:5]
	s_cbranch_execnz .LBB8_985
.LBB8_986:
	s_or_b64 exec, exec, s[16:17]
	v_readfirstlane_b32 s4, v51
	v_mov_b32_e32 v5, 0
	v_mov_b32_e32 v6, 0
	v_cmp_eq_u32_e64 s[4:5], s4, v51
	s_and_saveexec_b64 s[10:11], s[4:5]
	s_cbranch_execz .LBB8_992
; %bb.987:
	v_mov_b32_e32 v0, 0
	global_load_dwordx2 v[3:4], v0, s[42:43] offset:24 glc
	s_waitcnt vmcnt(0)
	buffer_wbinvl1_vol
	global_load_dwordx2 v[1:2], v0, s[42:43] offset:40
	global_load_dwordx2 v[5:6], v0, s[42:43]
	s_waitcnt vmcnt(1)
	v_and_b32_e32 v1, v1, v3
	v_and_b32_e32 v2, v2, v4
	v_mul_lo_u32 v2, v2, 24
	v_mul_hi_u32 v7, v1, 24
	v_mul_lo_u32 v1, v1, 24
	v_add_u32_e32 v2, v7, v2
	s_waitcnt vmcnt(0)
	v_add_co_u32_e32 v1, vcc, v5, v1
	v_addc_co_u32_e32 v2, vcc, v6, v2, vcc
	global_load_dwordx2 v[1:2], v[1:2], off glc
	s_waitcnt vmcnt(0)
	global_atomic_cmpswap_x2 v[5:6], v0, v[1:4], s[42:43] offset:24 glc
	s_waitcnt vmcnt(0)
	buffer_wbinvl1_vol
	v_cmp_ne_u64_e32 vcc, v[5:6], v[3:4]
	s_and_saveexec_b64 s[16:17], vcc
	s_cbranch_execz .LBB8_991
; %bb.988:
	s_mov_b64 s[18:19], 0
.LBB8_989:                              ; =>This Inner Loop Header: Depth=1
	s_sleep 1
	global_load_dwordx2 v[1:2], v0, s[42:43] offset:40
	global_load_dwordx2 v[7:8], v0, s[42:43]
	v_mov_b32_e32 v3, v5
	v_mov_b32_e32 v4, v6
	s_waitcnt vmcnt(1)
	v_and_b32_e32 v1, v1, v3
	s_waitcnt vmcnt(0)
	v_mad_u64_u32 v[5:6], s[20:21], v1, 24, v[7:8]
	v_and_b32_e32 v2, v2, v4
	v_mov_b32_e32 v1, v6
	v_mad_u64_u32 v[1:2], s[20:21], v2, 24, v[1:2]
	v_mov_b32_e32 v6, v1
	global_load_dwordx2 v[1:2], v[5:6], off glc
	s_waitcnt vmcnt(0)
	global_atomic_cmpswap_x2 v[5:6], v0, v[1:4], s[42:43] offset:24 glc
	s_waitcnt vmcnt(0)
	buffer_wbinvl1_vol
	v_cmp_eq_u64_e32 vcc, v[5:6], v[3:4]
	s_or_b64 s[18:19], vcc, s[18:19]
	s_andn2_b64 exec, exec, s[18:19]
	s_cbranch_execnz .LBB8_989
; %bb.990:
	s_or_b64 exec, exec, s[18:19]
.LBB8_991:
	s_or_b64 exec, exec, s[16:17]
.LBB8_992:
	s_or_b64 exec, exec, s[10:11]
	v_mov_b32_e32 v4, 0
	global_load_dwordx2 v[7:8], v4, s[42:43] offset:40
	global_load_dwordx4 v[0:3], v4, s[42:43]
	v_readfirstlane_b32 s10, v5
	v_readfirstlane_b32 s11, v6
	s_mov_b64 s[16:17], exec
	s_waitcnt vmcnt(1)
	v_readfirstlane_b32 s18, v7
	v_readfirstlane_b32 s19, v8
	s_and_b64 s[18:19], s[10:11], s[18:19]
	s_mul_i32 s15, s19, 24
	s_mul_hi_u32 s20, s18, 24
	s_mul_i32 s21, s18, 24
	s_add_i32 s15, s20, s15
	v_mov_b32_e32 v5, s15
	s_waitcnt vmcnt(0)
	v_add_co_u32_e32 v7, vcc, s21, v0
	v_addc_co_u32_e32 v8, vcc, v1, v5, vcc
	s_and_saveexec_b64 s[20:21], s[4:5]
	s_cbranch_execz .LBB8_994
; %bb.993:
	v_mov_b32_e32 v9, s16
	v_mov_b32_e32 v10, s17
	;; [unrolled: 1-line block ×4, first 2 shown]
	global_store_dwordx4 v[7:8], v[9:12], off offset:8
.LBB8_994:
	s_or_b64 exec, exec, s[20:21]
	s_lshl_b64 s[16:17], s[18:19], 12
	v_mov_b32_e32 v5, s17
	v_add_co_u32_e32 v2, vcc, s16, v2
	v_addc_co_u32_e32 v11, vcc, v3, v5, vcc
	s_mov_b32 s16, 0
	v_mov_b32_e32 v3, 33
	v_mov_b32_e32 v5, v4
	;; [unrolled: 1-line block ×3, first 2 shown]
	v_readfirstlane_b32 s20, v2
	v_readfirstlane_b32 s21, v11
	v_add_co_u32_e32 v9, vcc, v2, v50
	s_mov_b32 s17, s16
	s_mov_b32 s18, s16
	s_mov_b32 s19, s16
	s_nop 0
	global_store_dwordx4 v50, v[3:6], s[20:21]
	v_mov_b32_e32 v2, s16
	v_addc_co_u32_e32 v10, vcc, 0, v11, vcc
	v_mov_b32_e32 v3, s17
	v_mov_b32_e32 v4, s18
	;; [unrolled: 1-line block ×3, first 2 shown]
	global_store_dwordx4 v50, v[2:5], s[20:21] offset:16
	global_store_dwordx4 v50, v[2:5], s[20:21] offset:32
	;; [unrolled: 1-line block ×3, first 2 shown]
	s_and_saveexec_b64 s[16:17], s[4:5]
	s_cbranch_execz .LBB8_1002
; %bb.995:
	v_mov_b32_e32 v6, 0
	global_load_dwordx2 v[13:14], v6, s[42:43] offset:32 glc
	global_load_dwordx2 v[2:3], v6, s[42:43] offset:40
	v_mov_b32_e32 v11, s10
	v_mov_b32_e32 v12, s11
	s_waitcnt vmcnt(0)
	v_readfirstlane_b32 s18, v2
	v_readfirstlane_b32 s19, v3
	s_and_b64 s[18:19], s[18:19], s[10:11]
	s_mul_i32 s15, s19, 24
	s_mul_hi_u32 s19, s18, 24
	s_mul_i32 s18, s18, 24
	s_add_i32 s15, s19, s15
	v_mov_b32_e32 v2, s15
	v_add_co_u32_e32 v4, vcc, s18, v0
	v_addc_co_u32_e32 v5, vcc, v1, v2, vcc
	global_store_dwordx2 v[4:5], v[13:14], off
	s_waitcnt vmcnt(0)
	global_atomic_cmpswap_x2 v[2:3], v6, v[11:14], s[42:43] offset:32 glc
	s_waitcnt vmcnt(0)
	v_cmp_ne_u64_e32 vcc, v[2:3], v[13:14]
	s_and_saveexec_b64 s[18:19], vcc
	s_cbranch_execz .LBB8_998
; %bb.996:
	s_mov_b64 s[20:21], 0
.LBB8_997:                              ; =>This Inner Loop Header: Depth=1
	s_sleep 1
	global_store_dwordx2 v[4:5], v[2:3], off
	v_mov_b32_e32 v0, s10
	v_mov_b32_e32 v1, s11
	s_waitcnt vmcnt(0)
	global_atomic_cmpswap_x2 v[0:1], v6, v[0:3], s[42:43] offset:32 glc
	s_waitcnt vmcnt(0)
	v_cmp_eq_u64_e32 vcc, v[0:1], v[2:3]
	v_mov_b32_e32 v3, v1
	s_or_b64 s[20:21], vcc, s[20:21]
	v_mov_b32_e32 v2, v0
	s_andn2_b64 exec, exec, s[20:21]
	s_cbranch_execnz .LBB8_997
.LBB8_998:
	s_or_b64 exec, exec, s[18:19]
	v_mov_b32_e32 v3, 0
	global_load_dwordx2 v[0:1], v3, s[42:43] offset:16
	s_mov_b64 s[18:19], exec
	v_mbcnt_lo_u32_b32 v2, s18, 0
	v_mbcnt_hi_u32_b32 v2, s19, v2
	v_cmp_eq_u32_e32 vcc, 0, v2
	s_and_saveexec_b64 s[20:21], vcc
	s_cbranch_execz .LBB8_1000
; %bb.999:
	s_bcnt1_i32_b64 s15, s[18:19]
	v_mov_b32_e32 v2, s15
	s_waitcnt vmcnt(0)
	global_atomic_add_x2 v[0:1], v[2:3], off offset:8
.LBB8_1000:
	s_or_b64 exec, exec, s[20:21]
	s_waitcnt vmcnt(0)
	global_load_dwordx2 v[2:3], v[0:1], off offset:16
	s_waitcnt vmcnt(0)
	v_cmp_eq_u64_e32 vcc, 0, v[2:3]
	s_cbranch_vccnz .LBB8_1002
; %bb.1001:
	global_load_dword v0, v[0:1], off offset:24
	v_mov_b32_e32 v1, 0
	s_waitcnt vmcnt(0)
	global_store_dwordx2 v[2:3], v[0:1], off
	v_and_b32_e32 v0, 0xffffff, v0
	v_readfirstlane_b32 m0, v0
	s_sendmsg sendmsg(MSG_INTERRUPT)
.LBB8_1002:
	s_or_b64 exec, exec, s[16:17]
	s_branch .LBB8_1006
.LBB8_1003:                             ;   in Loop: Header=BB8_1006 Depth=1
	s_or_b64 exec, exec, s[16:17]
	v_readfirstlane_b32 s15, v0
	s_cmp_eq_u32 s15, 0
	s_cbranch_scc1 .LBB8_1005
; %bb.1004:                             ;   in Loop: Header=BB8_1006 Depth=1
	s_sleep 1
	s_cbranch_execnz .LBB8_1006
	s_branch .LBB8_1008
.LBB8_1005:
	s_branch .LBB8_1008
.LBB8_1006:                             ; =>This Inner Loop Header: Depth=1
	v_mov_b32_e32 v0, 1
	s_and_saveexec_b64 s[16:17], s[4:5]
	s_cbranch_execz .LBB8_1003
; %bb.1007:                             ;   in Loop: Header=BB8_1006 Depth=1
	global_load_dword v0, v[7:8], off offset:20 glc
	s_waitcnt vmcnt(0)
	buffer_wbinvl1_vol
	v_and_b32_e32 v0, 1, v0
	s_branch .LBB8_1003
.LBB8_1008:
	global_load_dwordx2 v[0:1], v[9:10], off
	s_and_saveexec_b64 s[16:17], s[4:5]
	s_cbranch_execz .LBB8_1011
; %bb.1009:
	v_mov_b32_e32 v8, 0
	global_load_dwordx2 v[4:5], v8, s[42:43] offset:40
	global_load_dwordx2 v[9:10], v8, s[42:43] offset:24 glc
	global_load_dwordx2 v[6:7], v8, s[42:43]
	v_mov_b32_e32 v3, s11
	s_mov_b64 s[4:5], 0
	s_waitcnt vmcnt(2)
	v_add_co_u32_e32 v11, vcc, 1, v4
	v_addc_co_u32_e32 v12, vcc, 0, v5, vcc
	v_add_co_u32_e32 v2, vcc, s10, v11
	v_addc_co_u32_e32 v3, vcc, v12, v3, vcc
	v_cmp_eq_u64_e32 vcc, 0, v[2:3]
	v_cndmask_b32_e32 v3, v3, v12, vcc
	v_cndmask_b32_e32 v2, v2, v11, vcc
	v_and_b32_e32 v5, v3, v5
	v_and_b32_e32 v4, v2, v4
	v_mul_lo_u32 v5, v5, 24
	v_mul_hi_u32 v11, v4, 24
	v_mul_lo_u32 v12, v4, 24
	s_waitcnt vmcnt(1)
	v_mov_b32_e32 v4, v9
	v_add_u32_e32 v5, v11, v5
	s_waitcnt vmcnt(0)
	v_add_co_u32_e32 v6, vcc, v6, v12
	v_addc_co_u32_e32 v7, vcc, v7, v5, vcc
	global_store_dwordx2 v[6:7], v[9:10], off
	v_mov_b32_e32 v5, v10
	s_waitcnt vmcnt(0)
	global_atomic_cmpswap_x2 v[4:5], v8, v[2:5], s[42:43] offset:24 glc
	s_waitcnt vmcnt(0)
	v_cmp_ne_u64_e32 vcc, v[4:5], v[9:10]
	s_and_b64 exec, exec, vcc
	s_cbranch_execz .LBB8_1011
.LBB8_1010:                             ; =>This Inner Loop Header: Depth=1
	s_sleep 1
	global_store_dwordx2 v[6:7], v[4:5], off
	s_waitcnt vmcnt(0)
	global_atomic_cmpswap_x2 v[9:10], v8, v[2:5], s[42:43] offset:24 glc
	s_waitcnt vmcnt(0)
	v_cmp_eq_u64_e32 vcc, v[9:10], v[4:5]
	v_mov_b32_e32 v4, v9
	s_or_b64 s[4:5], vcc, s[4:5]
	v_mov_b32_e32 v5, v10
	s_andn2_b64 exec, exec, s[4:5]
	s_cbranch_execnz .LBB8_1010
.LBB8_1011:
	s_or_b64 exec, exec, s[16:17]
	s_and_b64 vcc, exec, s[44:45]
	s_cbranch_vccz .LBB8_1096
; %bb.1012:
	s_waitcnt vmcnt(0)
	v_and_b32_e32 v31, 2, v0
	v_mov_b32_e32 v28, 0
	v_and_b32_e32 v2, -3, v0
	v_mov_b32_e32 v3, v1
	s_mov_b64 s[16:17], 3
	v_mov_b32_e32 v6, 2
	v_mov_b32_e32 v7, 1
	s_getpc_b64 s[10:11]
	s_add_u32 s10, s10, .str.8@rel32@lo+4
	s_addc_u32 s11, s11, .str.8@rel32@hi+12
	s_branch .LBB8_1014
.LBB8_1013:                             ;   in Loop: Header=BB8_1014 Depth=1
	s_or_b64 exec, exec, s[22:23]
	s_sub_u32 s16, s16, s18
	s_subb_u32 s17, s17, s19
	s_add_u32 s10, s10, s18
	s_addc_u32 s11, s11, s19
	s_cmp_lg_u64 s[16:17], 0
	s_cbranch_scc0 .LBB8_1095
.LBB8_1014:                             ; =>This Loop Header: Depth=1
                                        ;     Child Loop BB8_1017 Depth 2
                                        ;     Child Loop BB8_1024 Depth 2
	;; [unrolled: 1-line block ×11, first 2 shown]
	v_cmp_lt_u64_e64 s[4:5], s[16:17], 56
	v_cmp_gt_u64_e64 s[20:21], s[16:17], 7
	s_and_b64 s[4:5], s[4:5], exec
	s_cselect_b32 s19, s17, 0
	s_cselect_b32 s18, s16, 56
	s_and_b64 vcc, exec, s[20:21]
	s_cbranch_vccnz .LBB8_1019
; %bb.1015:                             ;   in Loop: Header=BB8_1014 Depth=1
	v_mov_b32_e32 v10, 0
	s_cmp_eq_u64 s[16:17], 0
	v_mov_b32_e32 v11, 0
	s_mov_b64 s[4:5], 0
	s_cbranch_scc1 .LBB8_1018
; %bb.1016:                             ;   in Loop: Header=BB8_1014 Depth=1
	v_mov_b32_e32 v10, 0
	s_lshl_b64 s[20:21], s[18:19], 3
	s_mov_b64 s[22:23], 0
	v_mov_b32_e32 v11, 0
	s_mov_b64 s[24:25], s[10:11]
.LBB8_1017:                             ;   Parent Loop BB8_1014 Depth=1
                                        ; =>  This Inner Loop Header: Depth=2
	global_load_ubyte v4, v28, s[24:25]
	s_waitcnt vmcnt(0)
	v_and_b32_e32 v27, 0xffff, v4
	v_lshlrev_b64 v[4:5], s22, v[27:28]
	s_add_u32 s22, s22, 8
	s_addc_u32 s23, s23, 0
	s_add_u32 s24, s24, 1
	s_addc_u32 s25, s25, 0
	v_or_b32_e32 v10, v4, v10
	s_cmp_lg_u32 s20, s22
	v_or_b32_e32 v11, v5, v11
	s_cbranch_scc1 .LBB8_1017
.LBB8_1018:                             ;   in Loop: Header=BB8_1014 Depth=1
	s_mov_b32 s15, 0
	s_andn2_b64 vcc, exec, s[4:5]
	s_mov_b64 s[4:5], s[10:11]
	s_cbranch_vccz .LBB8_1020
	s_branch .LBB8_1021
.LBB8_1019:                             ;   in Loop: Header=BB8_1014 Depth=1
                                        ; implicit-def: $vgpr10_vgpr11
                                        ; implicit-def: $sgpr15
	s_mov_b64 s[4:5], s[10:11]
.LBB8_1020:                             ;   in Loop: Header=BB8_1014 Depth=1
	global_load_dwordx2 v[10:11], v28, s[10:11]
	s_add_i32 s15, s18, -8
	s_add_u32 s4, s10, 8
	s_addc_u32 s5, s11, 0
.LBB8_1021:                             ;   in Loop: Header=BB8_1014 Depth=1
	s_cmp_gt_u32 s15, 7
	s_cbranch_scc1 .LBB8_1025
; %bb.1022:                             ;   in Loop: Header=BB8_1014 Depth=1
	s_cmp_eq_u32 s15, 0
	s_cbranch_scc1 .LBB8_1026
; %bb.1023:                             ;   in Loop: Header=BB8_1014 Depth=1
	v_mov_b32_e32 v12, 0
	s_mov_b64 s[20:21], 0
	v_mov_b32_e32 v13, 0
	s_mov_b64 s[22:23], 0
.LBB8_1024:                             ;   Parent Loop BB8_1014 Depth=1
                                        ; =>  This Inner Loop Header: Depth=2
	s_add_u32 s24, s4, s22
	s_addc_u32 s25, s5, s23
	global_load_ubyte v4, v28, s[24:25]
	s_add_u32 s22, s22, 1
	s_addc_u32 s23, s23, 0
	s_waitcnt vmcnt(0)
	v_and_b32_e32 v27, 0xffff, v4
	v_lshlrev_b64 v[4:5], s20, v[27:28]
	s_add_u32 s20, s20, 8
	s_addc_u32 s21, s21, 0
	v_or_b32_e32 v12, v4, v12
	s_cmp_lg_u32 s15, s22
	v_or_b32_e32 v13, v5, v13
	s_cbranch_scc1 .LBB8_1024
	s_branch .LBB8_1027
.LBB8_1025:                             ;   in Loop: Header=BB8_1014 Depth=1
                                        ; implicit-def: $vgpr12_vgpr13
                                        ; implicit-def: $sgpr24
	s_branch .LBB8_1028
.LBB8_1026:                             ;   in Loop: Header=BB8_1014 Depth=1
	v_mov_b32_e32 v12, 0
	v_mov_b32_e32 v13, 0
.LBB8_1027:                             ;   in Loop: Header=BB8_1014 Depth=1
	s_mov_b32 s24, 0
	s_cbranch_execnz .LBB8_1029
.LBB8_1028:                             ;   in Loop: Header=BB8_1014 Depth=1
	global_load_dwordx2 v[12:13], v28, s[4:5]
	s_add_i32 s24, s15, -8
	s_add_u32 s4, s4, 8
	s_addc_u32 s5, s5, 0
.LBB8_1029:                             ;   in Loop: Header=BB8_1014 Depth=1
	s_cmp_gt_u32 s24, 7
	s_cbranch_scc1 .LBB8_1033
; %bb.1030:                             ;   in Loop: Header=BB8_1014 Depth=1
	s_cmp_eq_u32 s24, 0
	s_cbranch_scc1 .LBB8_1034
; %bb.1031:                             ;   in Loop: Header=BB8_1014 Depth=1
	v_mov_b32_e32 v14, 0
	s_mov_b64 s[20:21], 0
	v_mov_b32_e32 v15, 0
	s_mov_b64 s[22:23], 0
.LBB8_1032:                             ;   Parent Loop BB8_1014 Depth=1
                                        ; =>  This Inner Loop Header: Depth=2
	s_add_u32 s26, s4, s22
	s_addc_u32 s27, s5, s23
	global_load_ubyte v4, v28, s[26:27]
	s_add_u32 s22, s22, 1
	s_addc_u32 s23, s23, 0
	s_waitcnt vmcnt(0)
	v_and_b32_e32 v27, 0xffff, v4
	v_lshlrev_b64 v[4:5], s20, v[27:28]
	s_add_u32 s20, s20, 8
	s_addc_u32 s21, s21, 0
	v_or_b32_e32 v14, v4, v14
	s_cmp_lg_u32 s24, s22
	v_or_b32_e32 v15, v5, v15
	s_cbranch_scc1 .LBB8_1032
	s_branch .LBB8_1035
.LBB8_1033:                             ;   in Loop: Header=BB8_1014 Depth=1
                                        ; implicit-def: $sgpr15
	s_branch .LBB8_1036
.LBB8_1034:                             ;   in Loop: Header=BB8_1014 Depth=1
	v_mov_b32_e32 v14, 0
	v_mov_b32_e32 v15, 0
.LBB8_1035:                             ;   in Loop: Header=BB8_1014 Depth=1
	s_mov_b32 s15, 0
	s_cbranch_execnz .LBB8_1037
.LBB8_1036:                             ;   in Loop: Header=BB8_1014 Depth=1
	global_load_dwordx2 v[14:15], v28, s[4:5]
	s_add_i32 s15, s24, -8
	s_add_u32 s4, s4, 8
	s_addc_u32 s5, s5, 0
.LBB8_1037:                             ;   in Loop: Header=BB8_1014 Depth=1
	s_cmp_gt_u32 s15, 7
	s_cbranch_scc1 .LBB8_1041
; %bb.1038:                             ;   in Loop: Header=BB8_1014 Depth=1
	s_cmp_eq_u32 s15, 0
	s_cbranch_scc1 .LBB8_1042
; %bb.1039:                             ;   in Loop: Header=BB8_1014 Depth=1
	v_mov_b32_e32 v16, 0
	s_mov_b64 s[20:21], 0
	v_mov_b32_e32 v17, 0
	s_mov_b64 s[22:23], 0
.LBB8_1040:                             ;   Parent Loop BB8_1014 Depth=1
                                        ; =>  This Inner Loop Header: Depth=2
	s_add_u32 s24, s4, s22
	s_addc_u32 s25, s5, s23
	global_load_ubyte v4, v28, s[24:25]
	s_add_u32 s22, s22, 1
	s_addc_u32 s23, s23, 0
	s_waitcnt vmcnt(0)
	v_and_b32_e32 v27, 0xffff, v4
	v_lshlrev_b64 v[4:5], s20, v[27:28]
	s_add_u32 s20, s20, 8
	s_addc_u32 s21, s21, 0
	v_or_b32_e32 v16, v4, v16
	s_cmp_lg_u32 s15, s22
	v_or_b32_e32 v17, v5, v17
	s_cbranch_scc1 .LBB8_1040
	s_branch .LBB8_1043
.LBB8_1041:                             ;   in Loop: Header=BB8_1014 Depth=1
                                        ; implicit-def: $vgpr16_vgpr17
                                        ; implicit-def: $sgpr24
	s_branch .LBB8_1044
.LBB8_1042:                             ;   in Loop: Header=BB8_1014 Depth=1
	v_mov_b32_e32 v16, 0
	v_mov_b32_e32 v17, 0
.LBB8_1043:                             ;   in Loop: Header=BB8_1014 Depth=1
	s_mov_b32 s24, 0
	s_cbranch_execnz .LBB8_1045
.LBB8_1044:                             ;   in Loop: Header=BB8_1014 Depth=1
	global_load_dwordx2 v[16:17], v28, s[4:5]
	s_add_i32 s24, s15, -8
	s_add_u32 s4, s4, 8
	s_addc_u32 s5, s5, 0
.LBB8_1045:                             ;   in Loop: Header=BB8_1014 Depth=1
	s_cmp_gt_u32 s24, 7
	s_cbranch_scc1 .LBB8_1049
; %bb.1046:                             ;   in Loop: Header=BB8_1014 Depth=1
	s_cmp_eq_u32 s24, 0
	s_cbranch_scc1 .LBB8_1050
; %bb.1047:                             ;   in Loop: Header=BB8_1014 Depth=1
	v_mov_b32_e32 v18, 0
	s_mov_b64 s[20:21], 0
	v_mov_b32_e32 v19, 0
	s_mov_b64 s[22:23], 0
.LBB8_1048:                             ;   Parent Loop BB8_1014 Depth=1
                                        ; =>  This Inner Loop Header: Depth=2
	s_add_u32 s26, s4, s22
	s_addc_u32 s27, s5, s23
	global_load_ubyte v4, v28, s[26:27]
	s_add_u32 s22, s22, 1
	s_addc_u32 s23, s23, 0
	s_waitcnt vmcnt(0)
	v_and_b32_e32 v27, 0xffff, v4
	v_lshlrev_b64 v[4:5], s20, v[27:28]
	s_add_u32 s20, s20, 8
	s_addc_u32 s21, s21, 0
	v_or_b32_e32 v18, v4, v18
	s_cmp_lg_u32 s24, s22
	v_or_b32_e32 v19, v5, v19
	s_cbranch_scc1 .LBB8_1048
	s_branch .LBB8_1051
.LBB8_1049:                             ;   in Loop: Header=BB8_1014 Depth=1
                                        ; implicit-def: $sgpr15
	s_branch .LBB8_1052
.LBB8_1050:                             ;   in Loop: Header=BB8_1014 Depth=1
	v_mov_b32_e32 v18, 0
	v_mov_b32_e32 v19, 0
.LBB8_1051:                             ;   in Loop: Header=BB8_1014 Depth=1
	s_mov_b32 s15, 0
	s_cbranch_execnz .LBB8_1053
.LBB8_1052:                             ;   in Loop: Header=BB8_1014 Depth=1
	global_load_dwordx2 v[18:19], v28, s[4:5]
	s_add_i32 s15, s24, -8
	s_add_u32 s4, s4, 8
	s_addc_u32 s5, s5, 0
.LBB8_1053:                             ;   in Loop: Header=BB8_1014 Depth=1
	s_cmp_gt_u32 s15, 7
	s_cbranch_scc1 .LBB8_1057
; %bb.1054:                             ;   in Loop: Header=BB8_1014 Depth=1
	s_cmp_eq_u32 s15, 0
	s_cbranch_scc1 .LBB8_1058
; %bb.1055:                             ;   in Loop: Header=BB8_1014 Depth=1
	v_mov_b32_e32 v20, 0
	s_mov_b64 s[20:21], 0
	v_mov_b32_e32 v21, 0
	s_mov_b64 s[22:23], 0
.LBB8_1056:                             ;   Parent Loop BB8_1014 Depth=1
                                        ; =>  This Inner Loop Header: Depth=2
	s_add_u32 s24, s4, s22
	s_addc_u32 s25, s5, s23
	global_load_ubyte v4, v28, s[24:25]
	s_add_u32 s22, s22, 1
	s_addc_u32 s23, s23, 0
	s_waitcnt vmcnt(0)
	v_and_b32_e32 v27, 0xffff, v4
	v_lshlrev_b64 v[4:5], s20, v[27:28]
	s_add_u32 s20, s20, 8
	s_addc_u32 s21, s21, 0
	v_or_b32_e32 v20, v4, v20
	s_cmp_lg_u32 s15, s22
	v_or_b32_e32 v21, v5, v21
	s_cbranch_scc1 .LBB8_1056
	s_branch .LBB8_1059
.LBB8_1057:                             ;   in Loop: Header=BB8_1014 Depth=1
                                        ; implicit-def: $vgpr20_vgpr21
                                        ; implicit-def: $sgpr24
	s_branch .LBB8_1060
.LBB8_1058:                             ;   in Loop: Header=BB8_1014 Depth=1
	v_mov_b32_e32 v20, 0
	v_mov_b32_e32 v21, 0
.LBB8_1059:                             ;   in Loop: Header=BB8_1014 Depth=1
	s_mov_b32 s24, 0
	s_cbranch_execnz .LBB8_1061
.LBB8_1060:                             ;   in Loop: Header=BB8_1014 Depth=1
	global_load_dwordx2 v[20:21], v28, s[4:5]
	s_add_i32 s24, s15, -8
	s_add_u32 s4, s4, 8
	s_addc_u32 s5, s5, 0
.LBB8_1061:                             ;   in Loop: Header=BB8_1014 Depth=1
	s_cmp_gt_u32 s24, 7
	s_cbranch_scc1 .LBB8_1065
; %bb.1062:                             ;   in Loop: Header=BB8_1014 Depth=1
	s_cmp_eq_u32 s24, 0
	s_cbranch_scc1 .LBB8_1066
; %bb.1063:                             ;   in Loop: Header=BB8_1014 Depth=1
	v_mov_b32_e32 v22, 0
	s_mov_b64 s[20:21], 0
	v_mov_b32_e32 v23, 0
	s_mov_b64 s[22:23], s[4:5]
.LBB8_1064:                             ;   Parent Loop BB8_1014 Depth=1
                                        ; =>  This Inner Loop Header: Depth=2
	global_load_ubyte v4, v28, s[22:23]
	s_add_i32 s24, s24, -1
	s_waitcnt vmcnt(0)
	v_and_b32_e32 v27, 0xffff, v4
	v_lshlrev_b64 v[4:5], s20, v[27:28]
	s_add_u32 s20, s20, 8
	s_addc_u32 s21, s21, 0
	s_add_u32 s22, s22, 1
	s_addc_u32 s23, s23, 0
	v_or_b32_e32 v22, v4, v22
	s_cmp_lg_u32 s24, 0
	v_or_b32_e32 v23, v5, v23
	s_cbranch_scc1 .LBB8_1064
	s_branch .LBB8_1067
.LBB8_1065:                             ;   in Loop: Header=BB8_1014 Depth=1
	s_branch .LBB8_1068
.LBB8_1066:                             ;   in Loop: Header=BB8_1014 Depth=1
	v_mov_b32_e32 v22, 0
	v_mov_b32_e32 v23, 0
.LBB8_1067:                             ;   in Loop: Header=BB8_1014 Depth=1
	s_cbranch_execnz .LBB8_1069
.LBB8_1068:                             ;   in Loop: Header=BB8_1014 Depth=1
	global_load_dwordx2 v[22:23], v28, s[4:5]
.LBB8_1069:                             ;   in Loop: Header=BB8_1014 Depth=1
	v_readfirstlane_b32 s4, v51
	s_waitcnt vmcnt(0)
	v_mov_b32_e32 v4, 0
	v_mov_b32_e32 v5, 0
	v_cmp_eq_u32_e64 s[4:5], s4, v51
	s_and_saveexec_b64 s[20:21], s[4:5]
	s_cbranch_execz .LBB8_1075
; %bb.1070:                             ;   in Loop: Header=BB8_1014 Depth=1
	global_load_dwordx2 v[26:27], v28, s[42:43] offset:24 glc
	s_waitcnt vmcnt(0)
	buffer_wbinvl1_vol
	global_load_dwordx2 v[4:5], v28, s[42:43] offset:40
	global_load_dwordx2 v[8:9], v28, s[42:43]
	s_waitcnt vmcnt(1)
	v_and_b32_e32 v4, v4, v26
	v_and_b32_e32 v5, v5, v27
	v_mul_lo_u32 v5, v5, 24
	v_mul_hi_u32 v24, v4, 24
	v_mul_lo_u32 v4, v4, 24
	v_add_u32_e32 v5, v24, v5
	s_waitcnt vmcnt(0)
	v_add_co_u32_e32 v4, vcc, v8, v4
	v_addc_co_u32_e32 v5, vcc, v9, v5, vcc
	global_load_dwordx2 v[24:25], v[4:5], off glc
	s_waitcnt vmcnt(0)
	global_atomic_cmpswap_x2 v[4:5], v28, v[24:27], s[42:43] offset:24 glc
	s_waitcnt vmcnt(0)
	buffer_wbinvl1_vol
	v_cmp_ne_u64_e32 vcc, v[4:5], v[26:27]
	s_and_saveexec_b64 s[22:23], vcc
	s_cbranch_execz .LBB8_1074
; %bb.1071:                             ;   in Loop: Header=BB8_1014 Depth=1
	s_mov_b64 s[24:25], 0
.LBB8_1072:                             ;   Parent Loop BB8_1014 Depth=1
                                        ; =>  This Inner Loop Header: Depth=2
	s_sleep 1
	global_load_dwordx2 v[8:9], v28, s[42:43] offset:40
	global_load_dwordx2 v[24:25], v28, s[42:43]
	v_mov_b32_e32 v27, v5
	v_mov_b32_e32 v26, v4
	s_waitcnt vmcnt(1)
	v_and_b32_e32 v4, v8, v26
	s_waitcnt vmcnt(0)
	v_mad_u64_u32 v[4:5], s[26:27], v4, 24, v[24:25]
	v_and_b32_e32 v8, v9, v27
	v_mad_u64_u32 v[8:9], s[26:27], v8, 24, v[5:6]
	v_mov_b32_e32 v5, v8
	global_load_dwordx2 v[24:25], v[4:5], off glc
	s_waitcnt vmcnt(0)
	global_atomic_cmpswap_x2 v[4:5], v28, v[24:27], s[42:43] offset:24 glc
	s_waitcnt vmcnt(0)
	buffer_wbinvl1_vol
	v_cmp_eq_u64_e32 vcc, v[4:5], v[26:27]
	s_or_b64 s[24:25], vcc, s[24:25]
	s_andn2_b64 exec, exec, s[24:25]
	s_cbranch_execnz .LBB8_1072
; %bb.1073:                             ;   in Loop: Header=BB8_1014 Depth=1
	s_or_b64 exec, exec, s[24:25]
.LBB8_1074:                             ;   in Loop: Header=BB8_1014 Depth=1
	s_or_b64 exec, exec, s[22:23]
.LBB8_1075:                             ;   in Loop: Header=BB8_1014 Depth=1
	s_or_b64 exec, exec, s[20:21]
	global_load_dwordx2 v[8:9], v28, s[42:43] offset:40
	global_load_dwordx4 v[24:27], v28, s[42:43]
	v_readfirstlane_b32 s20, v4
	v_readfirstlane_b32 s21, v5
	s_mov_b64 s[22:23], exec
	s_waitcnt vmcnt(1)
	v_readfirstlane_b32 s24, v8
	v_readfirstlane_b32 s25, v9
	s_and_b64 s[24:25], s[20:21], s[24:25]
	s_mul_i32 s15, s25, 24
	s_mul_hi_u32 s26, s24, 24
	s_mul_i32 s27, s24, 24
	s_add_i32 s15, s26, s15
	v_mov_b32_e32 v4, s15
	s_waitcnt vmcnt(0)
	v_add_co_u32_e32 v29, vcc, s27, v24
	v_addc_co_u32_e32 v30, vcc, v25, v4, vcc
	s_and_saveexec_b64 s[26:27], s[4:5]
	s_cbranch_execz .LBB8_1077
; %bb.1076:                             ;   in Loop: Header=BB8_1014 Depth=1
	v_mov_b32_e32 v4, s22
	v_mov_b32_e32 v5, s23
	global_store_dwordx4 v[29:30], v[4:7], off offset:8
.LBB8_1077:                             ;   in Loop: Header=BB8_1014 Depth=1
	s_or_b64 exec, exec, s[26:27]
	s_lshl_b64 s[22:23], s[24:25], 12
	v_mov_b32_e32 v4, s23
	v_add_co_u32_e32 v26, vcc, s22, v26
	v_addc_co_u32_e32 v32, vcc, v27, v4, vcc
	v_cmp_gt_u64_e64 vcc, s[16:17], 56
	v_or_b32_e32 v5, v2, v31
	s_lshl_b32 s15, s18, 2
	v_cndmask_b32_e32 v2, v5, v2, vcc
	s_add_i32 s15, s15, 28
	v_or_b32_e32 v4, 0, v3
	s_and_b32 s15, s15, 0x1e0
	v_and_b32_e32 v2, 0xffffff1f, v2
	v_cndmask_b32_e32 v9, v4, v3, vcc
	v_or_b32_e32 v8, s15, v2
	v_readfirstlane_b32 s22, v26
	v_readfirstlane_b32 s23, v32
	s_nop 4
	global_store_dwordx4 v50, v[8:11], s[22:23]
	global_store_dwordx4 v50, v[12:15], s[22:23] offset:16
	global_store_dwordx4 v50, v[16:19], s[22:23] offset:32
	;; [unrolled: 1-line block ×3, first 2 shown]
	s_and_saveexec_b64 s[22:23], s[4:5]
	s_cbranch_execz .LBB8_1085
; %bb.1078:                             ;   in Loop: Header=BB8_1014 Depth=1
	global_load_dwordx2 v[12:13], v28, s[42:43] offset:32 glc
	global_load_dwordx2 v[2:3], v28, s[42:43] offset:40
	v_mov_b32_e32 v10, s20
	v_mov_b32_e32 v11, s21
	s_waitcnt vmcnt(0)
	v_readfirstlane_b32 s24, v2
	v_readfirstlane_b32 s25, v3
	s_and_b64 s[24:25], s[24:25], s[20:21]
	s_mul_i32 s15, s25, 24
	s_mul_hi_u32 s25, s24, 24
	s_mul_i32 s24, s24, 24
	s_add_i32 s15, s25, s15
	v_mov_b32_e32 v2, s15
	v_add_co_u32_e32 v8, vcc, s24, v24
	v_addc_co_u32_e32 v9, vcc, v25, v2, vcc
	global_store_dwordx2 v[8:9], v[12:13], off
	s_waitcnt vmcnt(0)
	global_atomic_cmpswap_x2 v[4:5], v28, v[10:13], s[42:43] offset:32 glc
	s_waitcnt vmcnt(0)
	v_cmp_ne_u64_e32 vcc, v[4:5], v[12:13]
	s_and_saveexec_b64 s[24:25], vcc
	s_cbranch_execz .LBB8_1081
; %bb.1079:                             ;   in Loop: Header=BB8_1014 Depth=1
	s_mov_b64 s[26:27], 0
.LBB8_1080:                             ;   Parent Loop BB8_1014 Depth=1
                                        ; =>  This Inner Loop Header: Depth=2
	s_sleep 1
	global_store_dwordx2 v[8:9], v[4:5], off
	v_mov_b32_e32 v2, s20
	v_mov_b32_e32 v3, s21
	s_waitcnt vmcnt(0)
	global_atomic_cmpswap_x2 v[2:3], v28, v[2:5], s[42:43] offset:32 glc
	s_waitcnt vmcnt(0)
	v_cmp_eq_u64_e32 vcc, v[2:3], v[4:5]
	v_mov_b32_e32 v5, v3
	s_or_b64 s[26:27], vcc, s[26:27]
	v_mov_b32_e32 v4, v2
	s_andn2_b64 exec, exec, s[26:27]
	s_cbranch_execnz .LBB8_1080
.LBB8_1081:                             ;   in Loop: Header=BB8_1014 Depth=1
	s_or_b64 exec, exec, s[24:25]
	global_load_dwordx2 v[2:3], v28, s[42:43] offset:16
	s_mov_b64 s[26:27], exec
	v_mbcnt_lo_u32_b32 v4, s26, 0
	v_mbcnt_hi_u32_b32 v4, s27, v4
	v_cmp_eq_u32_e32 vcc, 0, v4
	s_and_saveexec_b64 s[24:25], vcc
	s_cbranch_execz .LBB8_1083
; %bb.1082:                             ;   in Loop: Header=BB8_1014 Depth=1
	s_bcnt1_i32_b64 s15, s[26:27]
	v_mov_b32_e32 v27, s15
	s_waitcnt vmcnt(0)
	global_atomic_add_x2 v[2:3], v[27:28], off offset:8
.LBB8_1083:                             ;   in Loop: Header=BB8_1014 Depth=1
	s_or_b64 exec, exec, s[24:25]
	s_waitcnt vmcnt(0)
	global_load_dwordx2 v[4:5], v[2:3], off offset:16
	s_waitcnt vmcnt(0)
	v_cmp_eq_u64_e32 vcc, 0, v[4:5]
	s_cbranch_vccnz .LBB8_1085
; %bb.1084:                             ;   in Loop: Header=BB8_1014 Depth=1
	global_load_dword v27, v[2:3], off offset:24
	s_waitcnt vmcnt(0)
	v_and_b32_e32 v2, 0xffffff, v27
	v_readfirstlane_b32 m0, v2
	global_store_dwordx2 v[4:5], v[27:28], off
	s_sendmsg sendmsg(MSG_INTERRUPT)
.LBB8_1085:                             ;   in Loop: Header=BB8_1014 Depth=1
	s_or_b64 exec, exec, s[22:23]
	v_add_co_u32_e32 v2, vcc, v26, v50
	v_addc_co_u32_e32 v3, vcc, 0, v32, vcc
	s_branch .LBB8_1089
.LBB8_1086:                             ;   in Loop: Header=BB8_1089 Depth=2
	s_or_b64 exec, exec, s[22:23]
	v_readfirstlane_b32 s15, v4
	s_cmp_eq_u32 s15, 0
	s_cbranch_scc1 .LBB8_1088
; %bb.1087:                             ;   in Loop: Header=BB8_1089 Depth=2
	s_sleep 1
	s_cbranch_execnz .LBB8_1089
	s_branch .LBB8_1091
.LBB8_1088:                             ;   in Loop: Header=BB8_1014 Depth=1
	s_branch .LBB8_1091
.LBB8_1089:                             ;   Parent Loop BB8_1014 Depth=1
                                        ; =>  This Inner Loop Header: Depth=2
	v_mov_b32_e32 v4, 1
	s_and_saveexec_b64 s[22:23], s[4:5]
	s_cbranch_execz .LBB8_1086
; %bb.1090:                             ;   in Loop: Header=BB8_1089 Depth=2
	global_load_dword v4, v[29:30], off offset:20 glc
	s_waitcnt vmcnt(0)
	buffer_wbinvl1_vol
	v_and_b32_e32 v4, 1, v4
	s_branch .LBB8_1086
.LBB8_1091:                             ;   in Loop: Header=BB8_1014 Depth=1
	global_load_dwordx4 v[2:5], v[2:3], off
	s_and_saveexec_b64 s[22:23], s[4:5]
	s_cbranch_execz .LBB8_1013
; %bb.1092:                             ;   in Loop: Header=BB8_1014 Depth=1
	global_load_dwordx2 v[4:5], v28, s[42:43] offset:40
	global_load_dwordx2 v[12:13], v28, s[42:43] offset:24 glc
	global_load_dwordx2 v[14:15], v28, s[42:43]
	v_mov_b32_e32 v9, s21
	s_waitcnt vmcnt(2)
	v_add_co_u32_e32 v10, vcc, 1, v4
	v_addc_co_u32_e32 v11, vcc, 0, v5, vcc
	v_add_co_u32_e32 v8, vcc, s20, v10
	v_addc_co_u32_e32 v9, vcc, v11, v9, vcc
	v_cmp_eq_u64_e32 vcc, 0, v[8:9]
	v_cndmask_b32_e32 v9, v9, v11, vcc
	v_cndmask_b32_e32 v8, v8, v10, vcc
	v_and_b32_e32 v5, v9, v5
	v_and_b32_e32 v4, v8, v4
	v_mul_lo_u32 v5, v5, 24
	v_mul_hi_u32 v11, v4, 24
	v_mul_lo_u32 v4, v4, 24
	s_waitcnt vmcnt(1)
	v_mov_b32_e32 v10, v12
	v_add_u32_e32 v5, v11, v5
	s_waitcnt vmcnt(0)
	v_add_co_u32_e32 v4, vcc, v14, v4
	v_addc_co_u32_e32 v5, vcc, v15, v5, vcc
	global_store_dwordx2 v[4:5], v[12:13], off
	v_mov_b32_e32 v11, v13
	s_waitcnt vmcnt(0)
	global_atomic_cmpswap_x2 v[10:11], v28, v[8:11], s[42:43] offset:24 glc
	s_waitcnt vmcnt(0)
	v_cmp_ne_u64_e32 vcc, v[10:11], v[12:13]
	s_and_b64 exec, exec, vcc
	s_cbranch_execz .LBB8_1013
; %bb.1093:                             ;   in Loop: Header=BB8_1014 Depth=1
	s_mov_b64 s[4:5], 0
.LBB8_1094:                             ;   Parent Loop BB8_1014 Depth=1
                                        ; =>  This Inner Loop Header: Depth=2
	s_sleep 1
	global_store_dwordx2 v[4:5], v[10:11], off
	s_waitcnt vmcnt(0)
	global_atomic_cmpswap_x2 v[12:13], v28, v[8:11], s[42:43] offset:24 glc
	s_waitcnt vmcnt(0)
	v_cmp_eq_u64_e32 vcc, v[12:13], v[10:11]
	v_mov_b32_e32 v10, v12
	s_or_b64 s[4:5], vcc, s[4:5]
	v_mov_b32_e32 v11, v13
	s_andn2_b64 exec, exec, s[4:5]
	s_cbranch_execnz .LBB8_1094
	s_branch .LBB8_1013
.LBB8_1095:
	s_branch .LBB8_1123
.LBB8_1096:
                                        ; implicit-def: $vgpr2_vgpr3
	s_cbranch_execz .LBB8_1123
; %bb.1097:
	v_readfirstlane_b32 s4, v51
	v_mov_b32_e32 v8, 0
	v_mov_b32_e32 v9, 0
	v_cmp_eq_u32_e64 s[4:5], s4, v51
	s_and_saveexec_b64 s[10:11], s[4:5]
	s_cbranch_execz .LBB8_1103
; %bb.1098:
	s_waitcnt vmcnt(0)
	v_mov_b32_e32 v2, 0
	global_load_dwordx2 v[5:6], v2, s[42:43] offset:24 glc
	s_waitcnt vmcnt(0)
	buffer_wbinvl1_vol
	global_load_dwordx2 v[3:4], v2, s[42:43] offset:40
	global_load_dwordx2 v[7:8], v2, s[42:43]
	s_waitcnt vmcnt(1)
	v_and_b32_e32 v3, v3, v5
	v_and_b32_e32 v4, v4, v6
	v_mul_lo_u32 v4, v4, 24
	v_mul_hi_u32 v9, v3, 24
	v_mul_lo_u32 v3, v3, 24
	v_add_u32_e32 v4, v9, v4
	s_waitcnt vmcnt(0)
	v_add_co_u32_e32 v3, vcc, v7, v3
	v_addc_co_u32_e32 v4, vcc, v8, v4, vcc
	global_load_dwordx2 v[3:4], v[3:4], off glc
	s_waitcnt vmcnt(0)
	global_atomic_cmpswap_x2 v[8:9], v2, v[3:6], s[42:43] offset:24 glc
	s_waitcnt vmcnt(0)
	buffer_wbinvl1_vol
	v_cmp_ne_u64_e32 vcc, v[8:9], v[5:6]
	s_and_saveexec_b64 s[16:17], vcc
	s_cbranch_execz .LBB8_1102
; %bb.1099:
	s_mov_b64 s[18:19], 0
.LBB8_1100:                             ; =>This Inner Loop Header: Depth=1
	s_sleep 1
	global_load_dwordx2 v[3:4], v2, s[42:43] offset:40
	global_load_dwordx2 v[10:11], v2, s[42:43]
	v_mov_b32_e32 v5, v8
	v_mov_b32_e32 v6, v9
	s_waitcnt vmcnt(1)
	v_and_b32_e32 v3, v3, v5
	s_waitcnt vmcnt(0)
	v_mad_u64_u32 v[7:8], s[20:21], v3, 24, v[10:11]
	v_and_b32_e32 v4, v4, v6
	v_mov_b32_e32 v3, v8
	v_mad_u64_u32 v[3:4], s[20:21], v4, 24, v[3:4]
	v_mov_b32_e32 v8, v3
	global_load_dwordx2 v[3:4], v[7:8], off glc
	s_waitcnt vmcnt(0)
	global_atomic_cmpswap_x2 v[8:9], v2, v[3:6], s[42:43] offset:24 glc
	s_waitcnt vmcnt(0)
	buffer_wbinvl1_vol
	v_cmp_eq_u64_e32 vcc, v[8:9], v[5:6]
	s_or_b64 s[18:19], vcc, s[18:19]
	s_andn2_b64 exec, exec, s[18:19]
	s_cbranch_execnz .LBB8_1100
; %bb.1101:
	s_or_b64 exec, exec, s[18:19]
.LBB8_1102:
	s_or_b64 exec, exec, s[16:17]
.LBB8_1103:
	s_or_b64 exec, exec, s[10:11]
	s_waitcnt vmcnt(0)
	v_mov_b32_e32 v2, 0
	global_load_dwordx2 v[10:11], v2, s[42:43] offset:40
	global_load_dwordx4 v[4:7], v2, s[42:43]
	v_readfirstlane_b32 s10, v8
	v_readfirstlane_b32 s11, v9
	s_mov_b64 s[16:17], exec
	s_waitcnt vmcnt(1)
	v_readfirstlane_b32 s18, v10
	v_readfirstlane_b32 s19, v11
	s_and_b64 s[18:19], s[10:11], s[18:19]
	s_mul_i32 s15, s19, 24
	s_mul_hi_u32 s20, s18, 24
	s_mul_i32 s21, s18, 24
	s_add_i32 s15, s20, s15
	v_mov_b32_e32 v3, s15
	s_waitcnt vmcnt(0)
	v_add_co_u32_e32 v8, vcc, s21, v4
	v_addc_co_u32_e32 v9, vcc, v5, v3, vcc
	s_and_saveexec_b64 s[20:21], s[4:5]
	s_cbranch_execz .LBB8_1105
; %bb.1104:
	v_mov_b32_e32 v10, s16
	v_mov_b32_e32 v11, s17
	;; [unrolled: 1-line block ×4, first 2 shown]
	global_store_dwordx4 v[8:9], v[10:13], off offset:8
.LBB8_1105:
	s_or_b64 exec, exec, s[20:21]
	s_lshl_b64 s[16:17], s[18:19], 12
	v_mov_b32_e32 v3, s17
	v_add_co_u32_e32 v10, vcc, s16, v6
	v_addc_co_u32_e32 v11, vcc, v7, v3, vcc
	s_movk_i32 s15, 0xff1f
	v_and_or_b32 v0, v0, s15, 32
	s_mov_b32 s16, 0
	v_mov_b32_e32 v3, v2
	v_readfirstlane_b32 s20, v10
	v_readfirstlane_b32 s21, v11
	v_add_co_u32_e32 v6, vcc, v10, v50
	s_mov_b32 s17, s16
	s_mov_b32 s18, s16
	;; [unrolled: 1-line block ×3, first 2 shown]
	s_nop 0
	global_store_dwordx4 v50, v[0:3], s[20:21]
	v_addc_co_u32_e32 v7, vcc, 0, v11, vcc
	v_mov_b32_e32 v0, s16
	v_mov_b32_e32 v1, s17
	;; [unrolled: 1-line block ×4, first 2 shown]
	global_store_dwordx4 v50, v[0:3], s[20:21] offset:16
	global_store_dwordx4 v50, v[0:3], s[20:21] offset:32
	;; [unrolled: 1-line block ×3, first 2 shown]
	s_and_saveexec_b64 s[16:17], s[4:5]
	s_cbranch_execz .LBB8_1113
; %bb.1106:
	v_mov_b32_e32 v10, 0
	global_load_dwordx2 v[13:14], v10, s[42:43] offset:32 glc
	global_load_dwordx2 v[0:1], v10, s[42:43] offset:40
	v_mov_b32_e32 v11, s10
	v_mov_b32_e32 v12, s11
	s_waitcnt vmcnt(0)
	v_readfirstlane_b32 s18, v0
	v_readfirstlane_b32 s19, v1
	s_and_b64 s[18:19], s[18:19], s[10:11]
	s_mul_i32 s15, s19, 24
	s_mul_hi_u32 s19, s18, 24
	s_mul_i32 s18, s18, 24
	s_add_i32 s15, s19, s15
	v_mov_b32_e32 v0, s15
	v_add_co_u32_e32 v4, vcc, s18, v4
	v_addc_co_u32_e32 v5, vcc, v5, v0, vcc
	global_store_dwordx2 v[4:5], v[13:14], off
	s_waitcnt vmcnt(0)
	global_atomic_cmpswap_x2 v[2:3], v10, v[11:14], s[42:43] offset:32 glc
	s_waitcnt vmcnt(0)
	v_cmp_ne_u64_e32 vcc, v[2:3], v[13:14]
	s_and_saveexec_b64 s[18:19], vcc
	s_cbranch_execz .LBB8_1109
; %bb.1107:
	s_mov_b64 s[20:21], 0
.LBB8_1108:                             ; =>This Inner Loop Header: Depth=1
	s_sleep 1
	global_store_dwordx2 v[4:5], v[2:3], off
	v_mov_b32_e32 v0, s10
	v_mov_b32_e32 v1, s11
	s_waitcnt vmcnt(0)
	global_atomic_cmpswap_x2 v[0:1], v10, v[0:3], s[42:43] offset:32 glc
	s_waitcnt vmcnt(0)
	v_cmp_eq_u64_e32 vcc, v[0:1], v[2:3]
	v_mov_b32_e32 v3, v1
	s_or_b64 s[20:21], vcc, s[20:21]
	v_mov_b32_e32 v2, v0
	s_andn2_b64 exec, exec, s[20:21]
	s_cbranch_execnz .LBB8_1108
.LBB8_1109:
	s_or_b64 exec, exec, s[18:19]
	v_mov_b32_e32 v3, 0
	global_load_dwordx2 v[0:1], v3, s[42:43] offset:16
	s_mov_b64 s[18:19], exec
	v_mbcnt_lo_u32_b32 v2, s18, 0
	v_mbcnt_hi_u32_b32 v2, s19, v2
	v_cmp_eq_u32_e32 vcc, 0, v2
	s_and_saveexec_b64 s[20:21], vcc
	s_cbranch_execz .LBB8_1111
; %bb.1110:
	s_bcnt1_i32_b64 s15, s[18:19]
	v_mov_b32_e32 v2, s15
	s_waitcnt vmcnt(0)
	global_atomic_add_x2 v[0:1], v[2:3], off offset:8
.LBB8_1111:
	s_or_b64 exec, exec, s[20:21]
	s_waitcnt vmcnt(0)
	global_load_dwordx2 v[2:3], v[0:1], off offset:16
	s_waitcnt vmcnt(0)
	v_cmp_eq_u64_e32 vcc, 0, v[2:3]
	s_cbranch_vccnz .LBB8_1113
; %bb.1112:
	global_load_dword v0, v[0:1], off offset:24
	v_mov_b32_e32 v1, 0
	s_waitcnt vmcnt(0)
	global_store_dwordx2 v[2:3], v[0:1], off
	v_and_b32_e32 v0, 0xffffff, v0
	v_readfirstlane_b32 m0, v0
	s_sendmsg sendmsg(MSG_INTERRUPT)
.LBB8_1113:
	s_or_b64 exec, exec, s[16:17]
	s_branch .LBB8_1117
.LBB8_1114:                             ;   in Loop: Header=BB8_1117 Depth=1
	s_or_b64 exec, exec, s[16:17]
	v_readfirstlane_b32 s15, v0
	s_cmp_eq_u32 s15, 0
	s_cbranch_scc1 .LBB8_1116
; %bb.1115:                             ;   in Loop: Header=BB8_1117 Depth=1
	s_sleep 1
	s_cbranch_execnz .LBB8_1117
	s_branch .LBB8_1119
.LBB8_1116:
	s_branch .LBB8_1119
.LBB8_1117:                             ; =>This Inner Loop Header: Depth=1
	v_mov_b32_e32 v0, 1
	s_and_saveexec_b64 s[16:17], s[4:5]
	s_cbranch_execz .LBB8_1114
; %bb.1118:                             ;   in Loop: Header=BB8_1117 Depth=1
	global_load_dword v0, v[8:9], off offset:20 glc
	s_waitcnt vmcnt(0)
	buffer_wbinvl1_vol
	v_and_b32_e32 v0, 1, v0
	s_branch .LBB8_1114
.LBB8_1119:
	global_load_dwordx2 v[2:3], v[6:7], off
	s_and_saveexec_b64 s[16:17], s[4:5]
	s_cbranch_execz .LBB8_1122
; %bb.1120:
	v_mov_b32_e32 v8, 0
	global_load_dwordx2 v[0:1], v8, s[42:43] offset:40
	global_load_dwordx2 v[9:10], v8, s[42:43] offset:24 glc
	global_load_dwordx2 v[11:12], v8, s[42:43]
	v_mov_b32_e32 v5, s11
	s_mov_b64 s[4:5], 0
	s_waitcnt vmcnt(2)
	v_add_co_u32_e32 v6, vcc, 1, v0
	v_addc_co_u32_e32 v7, vcc, 0, v1, vcc
	v_add_co_u32_e32 v4, vcc, s10, v6
	v_addc_co_u32_e32 v5, vcc, v7, v5, vcc
	v_cmp_eq_u64_e32 vcc, 0, v[4:5]
	v_cndmask_b32_e32 v5, v5, v7, vcc
	v_cndmask_b32_e32 v4, v4, v6, vcc
	v_and_b32_e32 v1, v5, v1
	v_and_b32_e32 v0, v4, v0
	v_mul_lo_u32 v1, v1, 24
	v_mul_hi_u32 v7, v0, 24
	v_mul_lo_u32 v0, v0, 24
	s_waitcnt vmcnt(1)
	v_mov_b32_e32 v6, v9
	v_add_u32_e32 v1, v7, v1
	s_waitcnt vmcnt(0)
	v_add_co_u32_e32 v0, vcc, v11, v0
	v_addc_co_u32_e32 v1, vcc, v12, v1, vcc
	global_store_dwordx2 v[0:1], v[9:10], off
	v_mov_b32_e32 v7, v10
	s_waitcnt vmcnt(0)
	global_atomic_cmpswap_x2 v[6:7], v8, v[4:7], s[42:43] offset:24 glc
	s_waitcnt vmcnt(0)
	v_cmp_ne_u64_e32 vcc, v[6:7], v[9:10]
	s_and_b64 exec, exec, vcc
	s_cbranch_execz .LBB8_1122
.LBB8_1121:                             ; =>This Inner Loop Header: Depth=1
	s_sleep 1
	global_store_dwordx2 v[0:1], v[6:7], off
	s_waitcnt vmcnt(0)
	global_atomic_cmpswap_x2 v[9:10], v8, v[4:7], s[42:43] offset:24 glc
	s_waitcnt vmcnt(0)
	v_cmp_eq_u64_e32 vcc, v[9:10], v[6:7]
	v_mov_b32_e32 v6, v9
	s_or_b64 s[4:5], vcc, s[4:5]
	v_mov_b32_e32 v7, v10
	s_andn2_b64 exec, exec, s[4:5]
	s_cbranch_execnz .LBB8_1121
.LBB8_1122:
	s_or_b64 exec, exec, s[16:17]
.LBB8_1123:
	v_readfirstlane_b32 s4, v51
	s_waitcnt vmcnt(0)
	v_mov_b32_e32 v0, 0
	v_mov_b32_e32 v1, 0
	v_cmp_eq_u32_e64 s[4:5], s4, v51
	s_and_saveexec_b64 s[10:11], s[4:5]
	s_cbranch_execz .LBB8_1129
; %bb.1124:
	v_mov_b32_e32 v4, 0
	global_load_dwordx2 v[7:8], v4, s[42:43] offset:24 glc
	s_waitcnt vmcnt(0)
	buffer_wbinvl1_vol
	global_load_dwordx2 v[0:1], v4, s[42:43] offset:40
	global_load_dwordx2 v[5:6], v4, s[42:43]
	s_waitcnt vmcnt(1)
	v_and_b32_e32 v0, v0, v7
	v_and_b32_e32 v1, v1, v8
	v_mul_lo_u32 v1, v1, 24
	v_mul_hi_u32 v9, v0, 24
	v_mul_lo_u32 v0, v0, 24
	v_add_u32_e32 v1, v9, v1
	s_waitcnt vmcnt(0)
	v_add_co_u32_e32 v0, vcc, v5, v0
	v_addc_co_u32_e32 v1, vcc, v6, v1, vcc
	global_load_dwordx2 v[5:6], v[0:1], off glc
	s_waitcnt vmcnt(0)
	global_atomic_cmpswap_x2 v[0:1], v4, v[5:8], s[42:43] offset:24 glc
	s_waitcnt vmcnt(0)
	buffer_wbinvl1_vol
	v_cmp_ne_u64_e32 vcc, v[0:1], v[7:8]
	s_and_saveexec_b64 s[16:17], vcc
	s_cbranch_execz .LBB8_1128
; %bb.1125:
	s_mov_b64 s[18:19], 0
.LBB8_1126:                             ; =>This Inner Loop Header: Depth=1
	s_sleep 1
	global_load_dwordx2 v[5:6], v4, s[42:43] offset:40
	global_load_dwordx2 v[9:10], v4, s[42:43]
	v_mov_b32_e32 v8, v1
	v_mov_b32_e32 v7, v0
	s_waitcnt vmcnt(1)
	v_and_b32_e32 v0, v5, v7
	s_waitcnt vmcnt(0)
	v_mad_u64_u32 v[0:1], s[20:21], v0, 24, v[9:10]
	v_and_b32_e32 v5, v6, v8
	v_mad_u64_u32 v[5:6], s[20:21], v5, 24, v[1:2]
	v_mov_b32_e32 v1, v5
	global_load_dwordx2 v[5:6], v[0:1], off glc
	s_waitcnt vmcnt(0)
	global_atomic_cmpswap_x2 v[0:1], v4, v[5:8], s[42:43] offset:24 glc
	s_waitcnt vmcnt(0)
	buffer_wbinvl1_vol
	v_cmp_eq_u64_e32 vcc, v[0:1], v[7:8]
	s_or_b64 s[18:19], vcc, s[18:19]
	s_andn2_b64 exec, exec, s[18:19]
	s_cbranch_execnz .LBB8_1126
; %bb.1127:
	s_or_b64 exec, exec, s[18:19]
.LBB8_1128:
	s_or_b64 exec, exec, s[16:17]
.LBB8_1129:
	s_or_b64 exec, exec, s[10:11]
	v_mov_b32_e32 v5, 0
	global_load_dwordx2 v[10:11], v5, s[42:43] offset:40
	global_load_dwordx4 v[6:9], v5, s[42:43]
	v_readfirstlane_b32 s10, v0
	v_readfirstlane_b32 s11, v1
	s_mov_b64 s[16:17], exec
	s_waitcnt vmcnt(1)
	v_readfirstlane_b32 s18, v10
	v_readfirstlane_b32 s19, v11
	s_and_b64 s[18:19], s[10:11], s[18:19]
	s_mul_i32 s15, s19, 24
	s_mul_hi_u32 s20, s18, 24
	s_mul_i32 s21, s18, 24
	s_add_i32 s15, s20, s15
	v_mov_b32_e32 v0, s15
	s_waitcnt vmcnt(0)
	v_add_co_u32_e32 v10, vcc, s21, v6
	v_addc_co_u32_e32 v11, vcc, v7, v0, vcc
	s_and_saveexec_b64 s[20:21], s[4:5]
	s_cbranch_execz .LBB8_1131
; %bb.1130:
	v_mov_b32_e32 v12, s16
	v_mov_b32_e32 v13, s17
	v_mov_b32_e32 v14, 2
	v_mov_b32_e32 v15, 1
	global_store_dwordx4 v[10:11], v[12:15], off offset:8
.LBB8_1131:
	s_or_b64 exec, exec, s[20:21]
	s_lshl_b64 s[16:17], s[18:19], 12
	v_mov_b32_e32 v0, s17
	v_add_co_u32_e32 v1, vcc, s16, v8
	v_addc_co_u32_e32 v0, vcc, v9, v0, vcc
	s_movk_i32 s15, 0xff1d
	v_and_or_b32 v2, v2, s15, 34
	s_mov_b32 s16, 0
	v_mov_b32_e32 v4, 58
	v_readfirstlane_b32 s20, v1
	v_readfirstlane_b32 s21, v0
	s_mov_b32 s17, s16
	s_mov_b32 s18, s16
	;; [unrolled: 1-line block ×3, first 2 shown]
	s_nop 1
	global_store_dwordx4 v50, v[2:5], s[20:21]
	v_mov_b32_e32 v0, s16
	v_mov_b32_e32 v1, s17
	;; [unrolled: 1-line block ×4, first 2 shown]
	global_store_dwordx4 v50, v[0:3], s[20:21] offset:16
	global_store_dwordx4 v50, v[0:3], s[20:21] offset:32
	;; [unrolled: 1-line block ×3, first 2 shown]
	s_and_saveexec_b64 s[16:17], s[4:5]
	s_cbranch_execz .LBB8_1139
; %bb.1132:
	v_mov_b32_e32 v8, 0
	global_load_dwordx2 v[14:15], v8, s[42:43] offset:32 glc
	global_load_dwordx2 v[0:1], v8, s[42:43] offset:40
	v_mov_b32_e32 v12, s10
	v_mov_b32_e32 v13, s11
	s_waitcnt vmcnt(0)
	v_readfirstlane_b32 s18, v0
	v_readfirstlane_b32 s19, v1
	s_and_b64 s[18:19], s[18:19], s[10:11]
	s_mul_i32 s15, s19, 24
	s_mul_hi_u32 s19, s18, 24
	s_mul_i32 s18, s18, 24
	s_add_i32 s15, s19, s15
	v_mov_b32_e32 v0, s15
	v_add_co_u32_e32 v4, vcc, s18, v6
	v_addc_co_u32_e32 v5, vcc, v7, v0, vcc
	global_store_dwordx2 v[4:5], v[14:15], off
	s_waitcnt vmcnt(0)
	global_atomic_cmpswap_x2 v[2:3], v8, v[12:15], s[42:43] offset:32 glc
	s_waitcnt vmcnt(0)
	v_cmp_ne_u64_e32 vcc, v[2:3], v[14:15]
	s_and_saveexec_b64 s[18:19], vcc
	s_cbranch_execz .LBB8_1135
; %bb.1133:
	s_mov_b64 s[20:21], 0
.LBB8_1134:                             ; =>This Inner Loop Header: Depth=1
	s_sleep 1
	global_store_dwordx2 v[4:5], v[2:3], off
	v_mov_b32_e32 v0, s10
	v_mov_b32_e32 v1, s11
	s_waitcnt vmcnt(0)
	global_atomic_cmpswap_x2 v[0:1], v8, v[0:3], s[42:43] offset:32 glc
	s_waitcnt vmcnt(0)
	v_cmp_eq_u64_e32 vcc, v[0:1], v[2:3]
	v_mov_b32_e32 v3, v1
	s_or_b64 s[20:21], vcc, s[20:21]
	v_mov_b32_e32 v2, v0
	s_andn2_b64 exec, exec, s[20:21]
	s_cbranch_execnz .LBB8_1134
.LBB8_1135:
	s_or_b64 exec, exec, s[18:19]
	v_mov_b32_e32 v3, 0
	global_load_dwordx2 v[0:1], v3, s[42:43] offset:16
	s_mov_b64 s[18:19], exec
	v_mbcnt_lo_u32_b32 v2, s18, 0
	v_mbcnt_hi_u32_b32 v2, s19, v2
	v_cmp_eq_u32_e32 vcc, 0, v2
	s_and_saveexec_b64 s[20:21], vcc
	s_cbranch_execz .LBB8_1137
; %bb.1136:
	s_bcnt1_i32_b64 s15, s[18:19]
	v_mov_b32_e32 v2, s15
	s_waitcnt vmcnt(0)
	global_atomic_add_x2 v[0:1], v[2:3], off offset:8
.LBB8_1137:
	s_or_b64 exec, exec, s[20:21]
	s_waitcnt vmcnt(0)
	global_load_dwordx2 v[2:3], v[0:1], off offset:16
	s_waitcnt vmcnt(0)
	v_cmp_eq_u64_e32 vcc, 0, v[2:3]
	s_cbranch_vccnz .LBB8_1139
; %bb.1138:
	global_load_dword v0, v[0:1], off offset:24
	v_mov_b32_e32 v1, 0
	s_waitcnt vmcnt(0)
	global_store_dwordx2 v[2:3], v[0:1], off
	v_and_b32_e32 v0, 0xffffff, v0
	v_readfirstlane_b32 m0, v0
	s_sendmsg sendmsg(MSG_INTERRUPT)
.LBB8_1139:
	s_or_b64 exec, exec, s[16:17]
	s_branch .LBB8_1143
.LBB8_1140:                             ;   in Loop: Header=BB8_1143 Depth=1
	s_or_b64 exec, exec, s[16:17]
	v_readfirstlane_b32 s15, v0
	s_cmp_eq_u32 s15, 0
	s_cbranch_scc1 .LBB8_1142
; %bb.1141:                             ;   in Loop: Header=BB8_1143 Depth=1
	s_sleep 1
	s_cbranch_execnz .LBB8_1143
	s_branch .LBB8_1145
.LBB8_1142:
	s_branch .LBB8_1145
.LBB8_1143:                             ; =>This Inner Loop Header: Depth=1
	v_mov_b32_e32 v0, 1
	s_and_saveexec_b64 s[16:17], s[4:5]
	s_cbranch_execz .LBB8_1140
; %bb.1144:                             ;   in Loop: Header=BB8_1143 Depth=1
	global_load_dword v0, v[10:11], off offset:20 glc
	s_waitcnt vmcnt(0)
	buffer_wbinvl1_vol
	v_and_b32_e32 v0, 1, v0
	s_branch .LBB8_1140
.LBB8_1145:
	s_and_saveexec_b64 s[16:17], s[4:5]
	s_cbranch_execz .LBB8_1148
; %bb.1146:
	v_mov_b32_e32 v6, 0
	global_load_dwordx2 v[2:3], v6, s[42:43] offset:40
	global_load_dwordx2 v[7:8], v6, s[42:43] offset:24 glc
	global_load_dwordx2 v[4:5], v6, s[42:43]
	v_mov_b32_e32 v1, s11
	s_mov_b64 s[4:5], 0
	s_waitcnt vmcnt(2)
	v_add_co_u32_e32 v9, vcc, 1, v2
	v_addc_co_u32_e32 v10, vcc, 0, v3, vcc
	v_add_co_u32_e32 v0, vcc, s10, v9
	v_addc_co_u32_e32 v1, vcc, v10, v1, vcc
	v_cmp_eq_u64_e32 vcc, 0, v[0:1]
	v_cndmask_b32_e32 v1, v1, v10, vcc
	v_cndmask_b32_e32 v0, v0, v9, vcc
	v_and_b32_e32 v3, v1, v3
	v_and_b32_e32 v2, v0, v2
	v_mul_lo_u32 v3, v3, 24
	v_mul_hi_u32 v9, v2, 24
	v_mul_lo_u32 v10, v2, 24
	s_waitcnt vmcnt(1)
	v_mov_b32_e32 v2, v7
	v_add_u32_e32 v3, v9, v3
	s_waitcnt vmcnt(0)
	v_add_co_u32_e32 v4, vcc, v4, v10
	v_addc_co_u32_e32 v5, vcc, v5, v3, vcc
	global_store_dwordx2 v[4:5], v[7:8], off
	v_mov_b32_e32 v3, v8
	s_waitcnt vmcnt(0)
	global_atomic_cmpswap_x2 v[2:3], v6, v[0:3], s[42:43] offset:24 glc
	s_waitcnt vmcnt(0)
	v_cmp_ne_u64_e32 vcc, v[2:3], v[7:8]
	s_and_b64 exec, exec, vcc
	s_cbranch_execz .LBB8_1148
.LBB8_1147:                             ; =>This Inner Loop Header: Depth=1
	s_sleep 1
	global_store_dwordx2 v[4:5], v[2:3], off
	s_waitcnt vmcnt(0)
	global_atomic_cmpswap_x2 v[7:8], v6, v[0:3], s[42:43] offset:24 glc
	s_waitcnt vmcnt(0)
	v_cmp_eq_u64_e32 vcc, v[7:8], v[2:3]
	v_mov_b32_e32 v2, v7
	s_or_b64 s[4:5], vcc, s[4:5]
	v_mov_b32_e32 v3, v8
	s_andn2_b64 exec, exec, s[4:5]
	s_cbranch_execnz .LBB8_1147
.LBB8_1148:
	s_or_b64 exec, exec, s[16:17]
	v_readfirstlane_b32 s4, v51
	v_mov_b32_e32 v5, 0
	v_mov_b32_e32 v6, 0
	v_cmp_eq_u32_e64 s[4:5], s4, v51
	s_and_saveexec_b64 s[10:11], s[4:5]
	s_cbranch_execz .LBB8_1154
; %bb.1149:
	v_mov_b32_e32 v0, 0
	global_load_dwordx2 v[3:4], v0, s[42:43] offset:24 glc
	s_waitcnt vmcnt(0)
	buffer_wbinvl1_vol
	global_load_dwordx2 v[1:2], v0, s[42:43] offset:40
	global_load_dwordx2 v[5:6], v0, s[42:43]
	s_waitcnt vmcnt(1)
	v_and_b32_e32 v1, v1, v3
	v_and_b32_e32 v2, v2, v4
	v_mul_lo_u32 v2, v2, 24
	v_mul_hi_u32 v7, v1, 24
	v_mul_lo_u32 v1, v1, 24
	v_add_u32_e32 v2, v7, v2
	s_waitcnt vmcnt(0)
	v_add_co_u32_e32 v1, vcc, v5, v1
	v_addc_co_u32_e32 v2, vcc, v6, v2, vcc
	global_load_dwordx2 v[1:2], v[1:2], off glc
	s_waitcnt vmcnt(0)
	global_atomic_cmpswap_x2 v[5:6], v0, v[1:4], s[42:43] offset:24 glc
	s_waitcnt vmcnt(0)
	buffer_wbinvl1_vol
	v_cmp_ne_u64_e32 vcc, v[5:6], v[3:4]
	s_and_saveexec_b64 s[16:17], vcc
	s_cbranch_execz .LBB8_1153
; %bb.1150:
	s_mov_b64 s[18:19], 0
.LBB8_1151:                             ; =>This Inner Loop Header: Depth=1
	s_sleep 1
	global_load_dwordx2 v[1:2], v0, s[42:43] offset:40
	global_load_dwordx2 v[7:8], v0, s[42:43]
	v_mov_b32_e32 v3, v5
	v_mov_b32_e32 v4, v6
	s_waitcnt vmcnt(1)
	v_and_b32_e32 v1, v1, v3
	s_waitcnt vmcnt(0)
	v_mad_u64_u32 v[5:6], s[20:21], v1, 24, v[7:8]
	v_and_b32_e32 v2, v2, v4
	v_mov_b32_e32 v1, v6
	v_mad_u64_u32 v[1:2], s[20:21], v2, 24, v[1:2]
	v_mov_b32_e32 v6, v1
	global_load_dwordx2 v[1:2], v[5:6], off glc
	s_waitcnt vmcnt(0)
	global_atomic_cmpswap_x2 v[5:6], v0, v[1:4], s[42:43] offset:24 glc
	s_waitcnt vmcnt(0)
	buffer_wbinvl1_vol
	v_cmp_eq_u64_e32 vcc, v[5:6], v[3:4]
	s_or_b64 s[18:19], vcc, s[18:19]
	s_andn2_b64 exec, exec, s[18:19]
	s_cbranch_execnz .LBB8_1151
; %bb.1152:
	s_or_b64 exec, exec, s[18:19]
.LBB8_1153:
	s_or_b64 exec, exec, s[16:17]
.LBB8_1154:
	s_or_b64 exec, exec, s[10:11]
	v_mov_b32_e32 v4, 0
	global_load_dwordx2 v[7:8], v4, s[42:43] offset:40
	global_load_dwordx4 v[0:3], v4, s[42:43]
	v_readfirstlane_b32 s10, v5
	v_readfirstlane_b32 s11, v6
	s_mov_b64 s[16:17], exec
	s_waitcnt vmcnt(1)
	v_readfirstlane_b32 s18, v7
	v_readfirstlane_b32 s19, v8
	s_and_b64 s[18:19], s[10:11], s[18:19]
	s_mul_i32 s15, s19, 24
	s_mul_hi_u32 s20, s18, 24
	s_mul_i32 s21, s18, 24
	s_add_i32 s15, s20, s15
	v_mov_b32_e32 v5, s15
	s_waitcnt vmcnt(0)
	v_add_co_u32_e32 v7, vcc, s21, v0
	v_addc_co_u32_e32 v8, vcc, v1, v5, vcc
	s_and_saveexec_b64 s[20:21], s[4:5]
	s_cbranch_execz .LBB8_1156
; %bb.1155:
	v_mov_b32_e32 v9, s16
	v_mov_b32_e32 v10, s17
	;; [unrolled: 1-line block ×4, first 2 shown]
	global_store_dwordx4 v[7:8], v[9:12], off offset:8
.LBB8_1156:
	s_or_b64 exec, exec, s[20:21]
	s_lshl_b64 s[16:17], s[18:19], 12
	v_mov_b32_e32 v5, s17
	v_add_co_u32_e32 v2, vcc, s16, v2
	v_addc_co_u32_e32 v11, vcc, v3, v5, vcc
	s_mov_b32 s16, 0
	v_mov_b32_e32 v3, 33
	v_mov_b32_e32 v5, v4
	;; [unrolled: 1-line block ×3, first 2 shown]
	v_readfirstlane_b32 s20, v2
	v_readfirstlane_b32 s21, v11
	v_add_co_u32_e32 v9, vcc, v2, v50
	s_mov_b32 s17, s16
	s_mov_b32 s18, s16
	;; [unrolled: 1-line block ×3, first 2 shown]
	s_nop 0
	global_store_dwordx4 v50, v[3:6], s[20:21]
	v_mov_b32_e32 v2, s16
	v_addc_co_u32_e32 v10, vcc, 0, v11, vcc
	v_mov_b32_e32 v3, s17
	v_mov_b32_e32 v4, s18
	;; [unrolled: 1-line block ×3, first 2 shown]
	global_store_dwordx4 v50, v[2:5], s[20:21] offset:16
	global_store_dwordx4 v50, v[2:5], s[20:21] offset:32
	;; [unrolled: 1-line block ×3, first 2 shown]
	s_and_saveexec_b64 s[16:17], s[4:5]
	s_cbranch_execz .LBB8_1164
; %bb.1157:
	v_mov_b32_e32 v6, 0
	global_load_dwordx2 v[13:14], v6, s[42:43] offset:32 glc
	global_load_dwordx2 v[2:3], v6, s[42:43] offset:40
	v_mov_b32_e32 v11, s10
	v_mov_b32_e32 v12, s11
	s_waitcnt vmcnt(0)
	v_readfirstlane_b32 s18, v2
	v_readfirstlane_b32 s19, v3
	s_and_b64 s[18:19], s[18:19], s[10:11]
	s_mul_i32 s15, s19, 24
	s_mul_hi_u32 s19, s18, 24
	s_mul_i32 s18, s18, 24
	s_add_i32 s15, s19, s15
	v_mov_b32_e32 v2, s15
	v_add_co_u32_e32 v4, vcc, s18, v0
	v_addc_co_u32_e32 v5, vcc, v1, v2, vcc
	global_store_dwordx2 v[4:5], v[13:14], off
	s_waitcnt vmcnt(0)
	global_atomic_cmpswap_x2 v[2:3], v6, v[11:14], s[42:43] offset:32 glc
	s_waitcnt vmcnt(0)
	v_cmp_ne_u64_e32 vcc, v[2:3], v[13:14]
	s_and_saveexec_b64 s[18:19], vcc
	s_cbranch_execz .LBB8_1160
; %bb.1158:
	s_mov_b64 s[20:21], 0
.LBB8_1159:                             ; =>This Inner Loop Header: Depth=1
	s_sleep 1
	global_store_dwordx2 v[4:5], v[2:3], off
	v_mov_b32_e32 v0, s10
	v_mov_b32_e32 v1, s11
	s_waitcnt vmcnt(0)
	global_atomic_cmpswap_x2 v[0:1], v6, v[0:3], s[42:43] offset:32 glc
	s_waitcnt vmcnt(0)
	v_cmp_eq_u64_e32 vcc, v[0:1], v[2:3]
	v_mov_b32_e32 v3, v1
	s_or_b64 s[20:21], vcc, s[20:21]
	v_mov_b32_e32 v2, v0
	s_andn2_b64 exec, exec, s[20:21]
	s_cbranch_execnz .LBB8_1159
.LBB8_1160:
	s_or_b64 exec, exec, s[18:19]
	v_mov_b32_e32 v3, 0
	global_load_dwordx2 v[0:1], v3, s[42:43] offset:16
	s_mov_b64 s[18:19], exec
	v_mbcnt_lo_u32_b32 v2, s18, 0
	v_mbcnt_hi_u32_b32 v2, s19, v2
	v_cmp_eq_u32_e32 vcc, 0, v2
	s_and_saveexec_b64 s[20:21], vcc
	s_cbranch_execz .LBB8_1162
; %bb.1161:
	s_bcnt1_i32_b64 s15, s[18:19]
	v_mov_b32_e32 v2, s15
	s_waitcnt vmcnt(0)
	global_atomic_add_x2 v[0:1], v[2:3], off offset:8
.LBB8_1162:
	s_or_b64 exec, exec, s[20:21]
	s_waitcnt vmcnt(0)
	global_load_dwordx2 v[2:3], v[0:1], off offset:16
	s_waitcnt vmcnt(0)
	v_cmp_eq_u64_e32 vcc, 0, v[2:3]
	s_cbranch_vccnz .LBB8_1164
; %bb.1163:
	global_load_dword v0, v[0:1], off offset:24
	v_mov_b32_e32 v1, 0
	s_waitcnt vmcnt(0)
	global_store_dwordx2 v[2:3], v[0:1], off
	v_and_b32_e32 v0, 0xffffff, v0
	v_readfirstlane_b32 m0, v0
	s_sendmsg sendmsg(MSG_INTERRUPT)
.LBB8_1164:
	s_or_b64 exec, exec, s[16:17]
	s_branch .LBB8_1168
.LBB8_1165:                             ;   in Loop: Header=BB8_1168 Depth=1
	s_or_b64 exec, exec, s[16:17]
	v_readfirstlane_b32 s15, v0
	s_cmp_eq_u32 s15, 0
	s_cbranch_scc1 .LBB8_1167
; %bb.1166:                             ;   in Loop: Header=BB8_1168 Depth=1
	s_sleep 1
	s_cbranch_execnz .LBB8_1168
	s_branch .LBB8_1170
.LBB8_1167:
	s_branch .LBB8_1170
.LBB8_1168:                             ; =>This Inner Loop Header: Depth=1
	v_mov_b32_e32 v0, 1
	s_and_saveexec_b64 s[16:17], s[4:5]
	s_cbranch_execz .LBB8_1165
; %bb.1169:                             ;   in Loop: Header=BB8_1168 Depth=1
	global_load_dword v0, v[7:8], off offset:20 glc
	s_waitcnt vmcnt(0)
	buffer_wbinvl1_vol
	v_and_b32_e32 v0, 1, v0
	s_branch .LBB8_1165
.LBB8_1170:
	global_load_dwordx2 v[0:1], v[9:10], off
	s_and_saveexec_b64 s[16:17], s[4:5]
	s_cbranch_execz .LBB8_1173
; %bb.1171:
	v_mov_b32_e32 v8, 0
	global_load_dwordx2 v[4:5], v8, s[42:43] offset:40
	global_load_dwordx2 v[9:10], v8, s[42:43] offset:24 glc
	global_load_dwordx2 v[6:7], v8, s[42:43]
	v_mov_b32_e32 v3, s11
	s_mov_b64 s[4:5], 0
	s_waitcnt vmcnt(2)
	v_add_co_u32_e32 v11, vcc, 1, v4
	v_addc_co_u32_e32 v12, vcc, 0, v5, vcc
	v_add_co_u32_e32 v2, vcc, s10, v11
	v_addc_co_u32_e32 v3, vcc, v12, v3, vcc
	v_cmp_eq_u64_e32 vcc, 0, v[2:3]
	v_cndmask_b32_e32 v3, v3, v12, vcc
	v_cndmask_b32_e32 v2, v2, v11, vcc
	v_and_b32_e32 v5, v3, v5
	v_and_b32_e32 v4, v2, v4
	v_mul_lo_u32 v5, v5, 24
	v_mul_hi_u32 v11, v4, 24
	v_mul_lo_u32 v12, v4, 24
	s_waitcnt vmcnt(1)
	v_mov_b32_e32 v4, v9
	v_add_u32_e32 v5, v11, v5
	s_waitcnt vmcnt(0)
	v_add_co_u32_e32 v6, vcc, v6, v12
	v_addc_co_u32_e32 v7, vcc, v7, v5, vcc
	global_store_dwordx2 v[6:7], v[9:10], off
	v_mov_b32_e32 v5, v10
	s_waitcnt vmcnt(0)
	global_atomic_cmpswap_x2 v[4:5], v8, v[2:5], s[42:43] offset:24 glc
	s_waitcnt vmcnt(0)
	v_cmp_ne_u64_e32 vcc, v[4:5], v[9:10]
	s_and_b64 exec, exec, vcc
	s_cbranch_execz .LBB8_1173
.LBB8_1172:                             ; =>This Inner Loop Header: Depth=1
	s_sleep 1
	global_store_dwordx2 v[6:7], v[4:5], off
	s_waitcnt vmcnt(0)
	global_atomic_cmpswap_x2 v[9:10], v8, v[2:5], s[42:43] offset:24 glc
	s_waitcnt vmcnt(0)
	v_cmp_eq_u64_e32 vcc, v[9:10], v[4:5]
	v_mov_b32_e32 v4, v9
	s_or_b64 s[4:5], vcc, s[4:5]
	v_mov_b32_e32 v5, v10
	s_andn2_b64 exec, exec, s[4:5]
	s_cbranch_execnz .LBB8_1172
.LBB8_1173:
	s_or_b64 exec, exec, s[16:17]
	s_and_b64 vcc, exec, s[44:45]
	s_cbranch_vccz .LBB8_1258
; %bb.1174:
	s_waitcnt vmcnt(0)
	v_and_b32_e32 v31, 2, v0
	v_mov_b32_e32 v28, 0
	v_and_b32_e32 v2, -3, v0
	v_mov_b32_e32 v3, v1
	s_mov_b64 s[16:17], 3
	v_mov_b32_e32 v6, 2
	v_mov_b32_e32 v7, 1
	s_getpc_b64 s[10:11]
	s_add_u32 s10, s10, .str.8@rel32@lo+4
	s_addc_u32 s11, s11, .str.8@rel32@hi+12
	s_branch .LBB8_1176
.LBB8_1175:                             ;   in Loop: Header=BB8_1176 Depth=1
	s_or_b64 exec, exec, s[22:23]
	s_sub_u32 s16, s16, s18
	s_subb_u32 s17, s17, s19
	s_add_u32 s10, s10, s18
	s_addc_u32 s11, s11, s19
	s_cmp_lg_u64 s[16:17], 0
	s_cbranch_scc0 .LBB8_1257
.LBB8_1176:                             ; =>This Loop Header: Depth=1
                                        ;     Child Loop BB8_1179 Depth 2
                                        ;     Child Loop BB8_1186 Depth 2
	;; [unrolled: 1-line block ×11, first 2 shown]
	v_cmp_lt_u64_e64 s[4:5], s[16:17], 56
	v_cmp_gt_u64_e64 s[20:21], s[16:17], 7
	s_and_b64 s[4:5], s[4:5], exec
	s_cselect_b32 s19, s17, 0
	s_cselect_b32 s18, s16, 56
	s_and_b64 vcc, exec, s[20:21]
	s_cbranch_vccnz .LBB8_1181
; %bb.1177:                             ;   in Loop: Header=BB8_1176 Depth=1
	v_mov_b32_e32 v10, 0
	s_cmp_eq_u64 s[16:17], 0
	v_mov_b32_e32 v11, 0
	s_mov_b64 s[4:5], 0
	s_cbranch_scc1 .LBB8_1180
; %bb.1178:                             ;   in Loop: Header=BB8_1176 Depth=1
	v_mov_b32_e32 v10, 0
	s_lshl_b64 s[20:21], s[18:19], 3
	s_mov_b64 s[22:23], 0
	v_mov_b32_e32 v11, 0
	s_mov_b64 s[24:25], s[10:11]
.LBB8_1179:                             ;   Parent Loop BB8_1176 Depth=1
                                        ; =>  This Inner Loop Header: Depth=2
	global_load_ubyte v4, v28, s[24:25]
	s_waitcnt vmcnt(0)
	v_and_b32_e32 v27, 0xffff, v4
	v_lshlrev_b64 v[4:5], s22, v[27:28]
	s_add_u32 s22, s22, 8
	s_addc_u32 s23, s23, 0
	s_add_u32 s24, s24, 1
	s_addc_u32 s25, s25, 0
	v_or_b32_e32 v10, v4, v10
	s_cmp_lg_u32 s20, s22
	v_or_b32_e32 v11, v5, v11
	s_cbranch_scc1 .LBB8_1179
.LBB8_1180:                             ;   in Loop: Header=BB8_1176 Depth=1
	s_mov_b32 s15, 0
	s_andn2_b64 vcc, exec, s[4:5]
	s_mov_b64 s[4:5], s[10:11]
	s_cbranch_vccz .LBB8_1182
	s_branch .LBB8_1183
.LBB8_1181:                             ;   in Loop: Header=BB8_1176 Depth=1
                                        ; implicit-def: $vgpr10_vgpr11
                                        ; implicit-def: $sgpr15
	s_mov_b64 s[4:5], s[10:11]
.LBB8_1182:                             ;   in Loop: Header=BB8_1176 Depth=1
	global_load_dwordx2 v[10:11], v28, s[10:11]
	s_add_i32 s15, s18, -8
	s_add_u32 s4, s10, 8
	s_addc_u32 s5, s11, 0
.LBB8_1183:                             ;   in Loop: Header=BB8_1176 Depth=1
	s_cmp_gt_u32 s15, 7
	s_cbranch_scc1 .LBB8_1187
; %bb.1184:                             ;   in Loop: Header=BB8_1176 Depth=1
	s_cmp_eq_u32 s15, 0
	s_cbranch_scc1 .LBB8_1188
; %bb.1185:                             ;   in Loop: Header=BB8_1176 Depth=1
	v_mov_b32_e32 v12, 0
	s_mov_b64 s[20:21], 0
	v_mov_b32_e32 v13, 0
	s_mov_b64 s[22:23], 0
.LBB8_1186:                             ;   Parent Loop BB8_1176 Depth=1
                                        ; =>  This Inner Loop Header: Depth=2
	s_add_u32 s24, s4, s22
	s_addc_u32 s25, s5, s23
	global_load_ubyte v4, v28, s[24:25]
	s_add_u32 s22, s22, 1
	s_addc_u32 s23, s23, 0
	s_waitcnt vmcnt(0)
	v_and_b32_e32 v27, 0xffff, v4
	v_lshlrev_b64 v[4:5], s20, v[27:28]
	s_add_u32 s20, s20, 8
	s_addc_u32 s21, s21, 0
	v_or_b32_e32 v12, v4, v12
	s_cmp_lg_u32 s15, s22
	v_or_b32_e32 v13, v5, v13
	s_cbranch_scc1 .LBB8_1186
	s_branch .LBB8_1189
.LBB8_1187:                             ;   in Loop: Header=BB8_1176 Depth=1
                                        ; implicit-def: $vgpr12_vgpr13
                                        ; implicit-def: $sgpr24
	s_branch .LBB8_1190
.LBB8_1188:                             ;   in Loop: Header=BB8_1176 Depth=1
	v_mov_b32_e32 v12, 0
	v_mov_b32_e32 v13, 0
.LBB8_1189:                             ;   in Loop: Header=BB8_1176 Depth=1
	s_mov_b32 s24, 0
	s_cbranch_execnz .LBB8_1191
.LBB8_1190:                             ;   in Loop: Header=BB8_1176 Depth=1
	global_load_dwordx2 v[12:13], v28, s[4:5]
	s_add_i32 s24, s15, -8
	s_add_u32 s4, s4, 8
	s_addc_u32 s5, s5, 0
.LBB8_1191:                             ;   in Loop: Header=BB8_1176 Depth=1
	s_cmp_gt_u32 s24, 7
	s_cbranch_scc1 .LBB8_1195
; %bb.1192:                             ;   in Loop: Header=BB8_1176 Depth=1
	s_cmp_eq_u32 s24, 0
	s_cbranch_scc1 .LBB8_1196
; %bb.1193:                             ;   in Loop: Header=BB8_1176 Depth=1
	v_mov_b32_e32 v14, 0
	s_mov_b64 s[20:21], 0
	v_mov_b32_e32 v15, 0
	s_mov_b64 s[22:23], 0
.LBB8_1194:                             ;   Parent Loop BB8_1176 Depth=1
                                        ; =>  This Inner Loop Header: Depth=2
	s_add_u32 s26, s4, s22
	s_addc_u32 s27, s5, s23
	global_load_ubyte v4, v28, s[26:27]
	s_add_u32 s22, s22, 1
	s_addc_u32 s23, s23, 0
	s_waitcnt vmcnt(0)
	v_and_b32_e32 v27, 0xffff, v4
	v_lshlrev_b64 v[4:5], s20, v[27:28]
	s_add_u32 s20, s20, 8
	s_addc_u32 s21, s21, 0
	v_or_b32_e32 v14, v4, v14
	s_cmp_lg_u32 s24, s22
	v_or_b32_e32 v15, v5, v15
	s_cbranch_scc1 .LBB8_1194
	s_branch .LBB8_1197
.LBB8_1195:                             ;   in Loop: Header=BB8_1176 Depth=1
                                        ; implicit-def: $sgpr15
	s_branch .LBB8_1198
.LBB8_1196:                             ;   in Loop: Header=BB8_1176 Depth=1
	v_mov_b32_e32 v14, 0
	v_mov_b32_e32 v15, 0
.LBB8_1197:                             ;   in Loop: Header=BB8_1176 Depth=1
	s_mov_b32 s15, 0
	s_cbranch_execnz .LBB8_1199
.LBB8_1198:                             ;   in Loop: Header=BB8_1176 Depth=1
	global_load_dwordx2 v[14:15], v28, s[4:5]
	s_add_i32 s15, s24, -8
	s_add_u32 s4, s4, 8
	s_addc_u32 s5, s5, 0
.LBB8_1199:                             ;   in Loop: Header=BB8_1176 Depth=1
	s_cmp_gt_u32 s15, 7
	s_cbranch_scc1 .LBB8_1203
; %bb.1200:                             ;   in Loop: Header=BB8_1176 Depth=1
	s_cmp_eq_u32 s15, 0
	s_cbranch_scc1 .LBB8_1204
; %bb.1201:                             ;   in Loop: Header=BB8_1176 Depth=1
	v_mov_b32_e32 v16, 0
	s_mov_b64 s[20:21], 0
	v_mov_b32_e32 v17, 0
	s_mov_b64 s[22:23], 0
.LBB8_1202:                             ;   Parent Loop BB8_1176 Depth=1
                                        ; =>  This Inner Loop Header: Depth=2
	s_add_u32 s24, s4, s22
	s_addc_u32 s25, s5, s23
	global_load_ubyte v4, v28, s[24:25]
	s_add_u32 s22, s22, 1
	s_addc_u32 s23, s23, 0
	s_waitcnt vmcnt(0)
	v_and_b32_e32 v27, 0xffff, v4
	v_lshlrev_b64 v[4:5], s20, v[27:28]
	s_add_u32 s20, s20, 8
	s_addc_u32 s21, s21, 0
	v_or_b32_e32 v16, v4, v16
	s_cmp_lg_u32 s15, s22
	v_or_b32_e32 v17, v5, v17
	s_cbranch_scc1 .LBB8_1202
	s_branch .LBB8_1205
.LBB8_1203:                             ;   in Loop: Header=BB8_1176 Depth=1
                                        ; implicit-def: $vgpr16_vgpr17
                                        ; implicit-def: $sgpr24
	s_branch .LBB8_1206
.LBB8_1204:                             ;   in Loop: Header=BB8_1176 Depth=1
	v_mov_b32_e32 v16, 0
	v_mov_b32_e32 v17, 0
.LBB8_1205:                             ;   in Loop: Header=BB8_1176 Depth=1
	s_mov_b32 s24, 0
	s_cbranch_execnz .LBB8_1207
.LBB8_1206:                             ;   in Loop: Header=BB8_1176 Depth=1
	global_load_dwordx2 v[16:17], v28, s[4:5]
	s_add_i32 s24, s15, -8
	s_add_u32 s4, s4, 8
	s_addc_u32 s5, s5, 0
.LBB8_1207:                             ;   in Loop: Header=BB8_1176 Depth=1
	s_cmp_gt_u32 s24, 7
	s_cbranch_scc1 .LBB8_1211
; %bb.1208:                             ;   in Loop: Header=BB8_1176 Depth=1
	s_cmp_eq_u32 s24, 0
	s_cbranch_scc1 .LBB8_1212
; %bb.1209:                             ;   in Loop: Header=BB8_1176 Depth=1
	v_mov_b32_e32 v18, 0
	s_mov_b64 s[20:21], 0
	v_mov_b32_e32 v19, 0
	s_mov_b64 s[22:23], 0
.LBB8_1210:                             ;   Parent Loop BB8_1176 Depth=1
                                        ; =>  This Inner Loop Header: Depth=2
	s_add_u32 s26, s4, s22
	s_addc_u32 s27, s5, s23
	global_load_ubyte v4, v28, s[26:27]
	s_add_u32 s22, s22, 1
	s_addc_u32 s23, s23, 0
	s_waitcnt vmcnt(0)
	v_and_b32_e32 v27, 0xffff, v4
	v_lshlrev_b64 v[4:5], s20, v[27:28]
	s_add_u32 s20, s20, 8
	s_addc_u32 s21, s21, 0
	v_or_b32_e32 v18, v4, v18
	s_cmp_lg_u32 s24, s22
	v_or_b32_e32 v19, v5, v19
	s_cbranch_scc1 .LBB8_1210
	s_branch .LBB8_1213
.LBB8_1211:                             ;   in Loop: Header=BB8_1176 Depth=1
                                        ; implicit-def: $sgpr15
	s_branch .LBB8_1214
.LBB8_1212:                             ;   in Loop: Header=BB8_1176 Depth=1
	v_mov_b32_e32 v18, 0
	v_mov_b32_e32 v19, 0
.LBB8_1213:                             ;   in Loop: Header=BB8_1176 Depth=1
	s_mov_b32 s15, 0
	s_cbranch_execnz .LBB8_1215
.LBB8_1214:                             ;   in Loop: Header=BB8_1176 Depth=1
	global_load_dwordx2 v[18:19], v28, s[4:5]
	s_add_i32 s15, s24, -8
	s_add_u32 s4, s4, 8
	s_addc_u32 s5, s5, 0
.LBB8_1215:                             ;   in Loop: Header=BB8_1176 Depth=1
	s_cmp_gt_u32 s15, 7
	s_cbranch_scc1 .LBB8_1219
; %bb.1216:                             ;   in Loop: Header=BB8_1176 Depth=1
	s_cmp_eq_u32 s15, 0
	s_cbranch_scc1 .LBB8_1220
; %bb.1217:                             ;   in Loop: Header=BB8_1176 Depth=1
	v_mov_b32_e32 v20, 0
	s_mov_b64 s[20:21], 0
	v_mov_b32_e32 v21, 0
	s_mov_b64 s[22:23], 0
.LBB8_1218:                             ;   Parent Loop BB8_1176 Depth=1
                                        ; =>  This Inner Loop Header: Depth=2
	s_add_u32 s24, s4, s22
	s_addc_u32 s25, s5, s23
	global_load_ubyte v4, v28, s[24:25]
	s_add_u32 s22, s22, 1
	s_addc_u32 s23, s23, 0
	s_waitcnt vmcnt(0)
	v_and_b32_e32 v27, 0xffff, v4
	v_lshlrev_b64 v[4:5], s20, v[27:28]
	s_add_u32 s20, s20, 8
	s_addc_u32 s21, s21, 0
	v_or_b32_e32 v20, v4, v20
	s_cmp_lg_u32 s15, s22
	v_or_b32_e32 v21, v5, v21
	s_cbranch_scc1 .LBB8_1218
	s_branch .LBB8_1221
.LBB8_1219:                             ;   in Loop: Header=BB8_1176 Depth=1
                                        ; implicit-def: $vgpr20_vgpr21
                                        ; implicit-def: $sgpr24
	s_branch .LBB8_1222
.LBB8_1220:                             ;   in Loop: Header=BB8_1176 Depth=1
	v_mov_b32_e32 v20, 0
	v_mov_b32_e32 v21, 0
.LBB8_1221:                             ;   in Loop: Header=BB8_1176 Depth=1
	s_mov_b32 s24, 0
	s_cbranch_execnz .LBB8_1223
.LBB8_1222:                             ;   in Loop: Header=BB8_1176 Depth=1
	global_load_dwordx2 v[20:21], v28, s[4:5]
	s_add_i32 s24, s15, -8
	s_add_u32 s4, s4, 8
	s_addc_u32 s5, s5, 0
.LBB8_1223:                             ;   in Loop: Header=BB8_1176 Depth=1
	s_cmp_gt_u32 s24, 7
	s_cbranch_scc1 .LBB8_1227
; %bb.1224:                             ;   in Loop: Header=BB8_1176 Depth=1
	s_cmp_eq_u32 s24, 0
	s_cbranch_scc1 .LBB8_1228
; %bb.1225:                             ;   in Loop: Header=BB8_1176 Depth=1
	v_mov_b32_e32 v22, 0
	s_mov_b64 s[20:21], 0
	v_mov_b32_e32 v23, 0
	s_mov_b64 s[22:23], s[4:5]
.LBB8_1226:                             ;   Parent Loop BB8_1176 Depth=1
                                        ; =>  This Inner Loop Header: Depth=2
	global_load_ubyte v4, v28, s[22:23]
	s_add_i32 s24, s24, -1
	s_waitcnt vmcnt(0)
	v_and_b32_e32 v27, 0xffff, v4
	v_lshlrev_b64 v[4:5], s20, v[27:28]
	s_add_u32 s20, s20, 8
	s_addc_u32 s21, s21, 0
	s_add_u32 s22, s22, 1
	s_addc_u32 s23, s23, 0
	v_or_b32_e32 v22, v4, v22
	s_cmp_lg_u32 s24, 0
	v_or_b32_e32 v23, v5, v23
	s_cbranch_scc1 .LBB8_1226
	s_branch .LBB8_1229
.LBB8_1227:                             ;   in Loop: Header=BB8_1176 Depth=1
	s_branch .LBB8_1230
.LBB8_1228:                             ;   in Loop: Header=BB8_1176 Depth=1
	v_mov_b32_e32 v22, 0
	v_mov_b32_e32 v23, 0
.LBB8_1229:                             ;   in Loop: Header=BB8_1176 Depth=1
	s_cbranch_execnz .LBB8_1231
.LBB8_1230:                             ;   in Loop: Header=BB8_1176 Depth=1
	global_load_dwordx2 v[22:23], v28, s[4:5]
.LBB8_1231:                             ;   in Loop: Header=BB8_1176 Depth=1
	v_readfirstlane_b32 s4, v51
	s_waitcnt vmcnt(0)
	v_mov_b32_e32 v4, 0
	v_mov_b32_e32 v5, 0
	v_cmp_eq_u32_e64 s[4:5], s4, v51
	s_and_saveexec_b64 s[20:21], s[4:5]
	s_cbranch_execz .LBB8_1237
; %bb.1232:                             ;   in Loop: Header=BB8_1176 Depth=1
	global_load_dwordx2 v[26:27], v28, s[42:43] offset:24 glc
	s_waitcnt vmcnt(0)
	buffer_wbinvl1_vol
	global_load_dwordx2 v[4:5], v28, s[42:43] offset:40
	global_load_dwordx2 v[8:9], v28, s[42:43]
	s_waitcnt vmcnt(1)
	v_and_b32_e32 v4, v4, v26
	v_and_b32_e32 v5, v5, v27
	v_mul_lo_u32 v5, v5, 24
	v_mul_hi_u32 v24, v4, 24
	v_mul_lo_u32 v4, v4, 24
	v_add_u32_e32 v5, v24, v5
	s_waitcnt vmcnt(0)
	v_add_co_u32_e32 v4, vcc, v8, v4
	v_addc_co_u32_e32 v5, vcc, v9, v5, vcc
	global_load_dwordx2 v[24:25], v[4:5], off glc
	s_waitcnt vmcnt(0)
	global_atomic_cmpswap_x2 v[4:5], v28, v[24:27], s[42:43] offset:24 glc
	s_waitcnt vmcnt(0)
	buffer_wbinvl1_vol
	v_cmp_ne_u64_e32 vcc, v[4:5], v[26:27]
	s_and_saveexec_b64 s[22:23], vcc
	s_cbranch_execz .LBB8_1236
; %bb.1233:                             ;   in Loop: Header=BB8_1176 Depth=1
	s_mov_b64 s[24:25], 0
.LBB8_1234:                             ;   Parent Loop BB8_1176 Depth=1
                                        ; =>  This Inner Loop Header: Depth=2
	s_sleep 1
	global_load_dwordx2 v[8:9], v28, s[42:43] offset:40
	global_load_dwordx2 v[24:25], v28, s[42:43]
	v_mov_b32_e32 v27, v5
	v_mov_b32_e32 v26, v4
	s_waitcnt vmcnt(1)
	v_and_b32_e32 v4, v8, v26
	s_waitcnt vmcnt(0)
	v_mad_u64_u32 v[4:5], s[26:27], v4, 24, v[24:25]
	v_and_b32_e32 v8, v9, v27
	v_mad_u64_u32 v[8:9], s[26:27], v8, 24, v[5:6]
	v_mov_b32_e32 v5, v8
	global_load_dwordx2 v[24:25], v[4:5], off glc
	s_waitcnt vmcnt(0)
	global_atomic_cmpswap_x2 v[4:5], v28, v[24:27], s[42:43] offset:24 glc
	s_waitcnt vmcnt(0)
	buffer_wbinvl1_vol
	v_cmp_eq_u64_e32 vcc, v[4:5], v[26:27]
	s_or_b64 s[24:25], vcc, s[24:25]
	s_andn2_b64 exec, exec, s[24:25]
	s_cbranch_execnz .LBB8_1234
; %bb.1235:                             ;   in Loop: Header=BB8_1176 Depth=1
	s_or_b64 exec, exec, s[24:25]
.LBB8_1236:                             ;   in Loop: Header=BB8_1176 Depth=1
	s_or_b64 exec, exec, s[22:23]
.LBB8_1237:                             ;   in Loop: Header=BB8_1176 Depth=1
	s_or_b64 exec, exec, s[20:21]
	global_load_dwordx2 v[8:9], v28, s[42:43] offset:40
	global_load_dwordx4 v[24:27], v28, s[42:43]
	v_readfirstlane_b32 s20, v4
	v_readfirstlane_b32 s21, v5
	s_mov_b64 s[22:23], exec
	s_waitcnt vmcnt(1)
	v_readfirstlane_b32 s24, v8
	v_readfirstlane_b32 s25, v9
	s_and_b64 s[24:25], s[20:21], s[24:25]
	s_mul_i32 s15, s25, 24
	s_mul_hi_u32 s26, s24, 24
	s_mul_i32 s27, s24, 24
	s_add_i32 s15, s26, s15
	v_mov_b32_e32 v4, s15
	s_waitcnt vmcnt(0)
	v_add_co_u32_e32 v29, vcc, s27, v24
	v_addc_co_u32_e32 v30, vcc, v25, v4, vcc
	s_and_saveexec_b64 s[26:27], s[4:5]
	s_cbranch_execz .LBB8_1239
; %bb.1238:                             ;   in Loop: Header=BB8_1176 Depth=1
	v_mov_b32_e32 v4, s22
	v_mov_b32_e32 v5, s23
	global_store_dwordx4 v[29:30], v[4:7], off offset:8
.LBB8_1239:                             ;   in Loop: Header=BB8_1176 Depth=1
	s_or_b64 exec, exec, s[26:27]
	s_lshl_b64 s[22:23], s[24:25], 12
	v_mov_b32_e32 v4, s23
	v_add_co_u32_e32 v26, vcc, s22, v26
	v_addc_co_u32_e32 v32, vcc, v27, v4, vcc
	v_cmp_gt_u64_e64 vcc, s[16:17], 56
	v_or_b32_e32 v5, v2, v31
	s_lshl_b32 s15, s18, 2
	v_cndmask_b32_e32 v2, v5, v2, vcc
	s_add_i32 s15, s15, 28
	v_or_b32_e32 v4, 0, v3
	s_and_b32 s15, s15, 0x1e0
	v_and_b32_e32 v2, 0xffffff1f, v2
	v_cndmask_b32_e32 v9, v4, v3, vcc
	v_or_b32_e32 v8, s15, v2
	v_readfirstlane_b32 s22, v26
	v_readfirstlane_b32 s23, v32
	s_nop 4
	global_store_dwordx4 v50, v[8:11], s[22:23]
	global_store_dwordx4 v50, v[12:15], s[22:23] offset:16
	global_store_dwordx4 v50, v[16:19], s[22:23] offset:32
	;; [unrolled: 1-line block ×3, first 2 shown]
	s_and_saveexec_b64 s[22:23], s[4:5]
	s_cbranch_execz .LBB8_1247
; %bb.1240:                             ;   in Loop: Header=BB8_1176 Depth=1
	global_load_dwordx2 v[12:13], v28, s[42:43] offset:32 glc
	global_load_dwordx2 v[2:3], v28, s[42:43] offset:40
	v_mov_b32_e32 v10, s20
	v_mov_b32_e32 v11, s21
	s_waitcnt vmcnt(0)
	v_readfirstlane_b32 s24, v2
	v_readfirstlane_b32 s25, v3
	s_and_b64 s[24:25], s[24:25], s[20:21]
	s_mul_i32 s15, s25, 24
	s_mul_hi_u32 s25, s24, 24
	s_mul_i32 s24, s24, 24
	s_add_i32 s15, s25, s15
	v_mov_b32_e32 v2, s15
	v_add_co_u32_e32 v8, vcc, s24, v24
	v_addc_co_u32_e32 v9, vcc, v25, v2, vcc
	global_store_dwordx2 v[8:9], v[12:13], off
	s_waitcnt vmcnt(0)
	global_atomic_cmpswap_x2 v[4:5], v28, v[10:13], s[42:43] offset:32 glc
	s_waitcnt vmcnt(0)
	v_cmp_ne_u64_e32 vcc, v[4:5], v[12:13]
	s_and_saveexec_b64 s[24:25], vcc
	s_cbranch_execz .LBB8_1243
; %bb.1241:                             ;   in Loop: Header=BB8_1176 Depth=1
	s_mov_b64 s[26:27], 0
.LBB8_1242:                             ;   Parent Loop BB8_1176 Depth=1
                                        ; =>  This Inner Loop Header: Depth=2
	s_sleep 1
	global_store_dwordx2 v[8:9], v[4:5], off
	v_mov_b32_e32 v2, s20
	v_mov_b32_e32 v3, s21
	s_waitcnt vmcnt(0)
	global_atomic_cmpswap_x2 v[2:3], v28, v[2:5], s[42:43] offset:32 glc
	s_waitcnt vmcnt(0)
	v_cmp_eq_u64_e32 vcc, v[2:3], v[4:5]
	v_mov_b32_e32 v5, v3
	s_or_b64 s[26:27], vcc, s[26:27]
	v_mov_b32_e32 v4, v2
	s_andn2_b64 exec, exec, s[26:27]
	s_cbranch_execnz .LBB8_1242
.LBB8_1243:                             ;   in Loop: Header=BB8_1176 Depth=1
	s_or_b64 exec, exec, s[24:25]
	global_load_dwordx2 v[2:3], v28, s[42:43] offset:16
	s_mov_b64 s[26:27], exec
	v_mbcnt_lo_u32_b32 v4, s26, 0
	v_mbcnt_hi_u32_b32 v4, s27, v4
	v_cmp_eq_u32_e32 vcc, 0, v4
	s_and_saveexec_b64 s[24:25], vcc
	s_cbranch_execz .LBB8_1245
; %bb.1244:                             ;   in Loop: Header=BB8_1176 Depth=1
	s_bcnt1_i32_b64 s15, s[26:27]
	v_mov_b32_e32 v27, s15
	s_waitcnt vmcnt(0)
	global_atomic_add_x2 v[2:3], v[27:28], off offset:8
.LBB8_1245:                             ;   in Loop: Header=BB8_1176 Depth=1
	s_or_b64 exec, exec, s[24:25]
	s_waitcnt vmcnt(0)
	global_load_dwordx2 v[4:5], v[2:3], off offset:16
	s_waitcnt vmcnt(0)
	v_cmp_eq_u64_e32 vcc, 0, v[4:5]
	s_cbranch_vccnz .LBB8_1247
; %bb.1246:                             ;   in Loop: Header=BB8_1176 Depth=1
	global_load_dword v27, v[2:3], off offset:24
	s_waitcnt vmcnt(0)
	v_and_b32_e32 v2, 0xffffff, v27
	v_readfirstlane_b32 m0, v2
	global_store_dwordx2 v[4:5], v[27:28], off
	s_sendmsg sendmsg(MSG_INTERRUPT)
.LBB8_1247:                             ;   in Loop: Header=BB8_1176 Depth=1
	s_or_b64 exec, exec, s[22:23]
	v_add_co_u32_e32 v2, vcc, v26, v50
	v_addc_co_u32_e32 v3, vcc, 0, v32, vcc
	s_branch .LBB8_1251
.LBB8_1248:                             ;   in Loop: Header=BB8_1251 Depth=2
	s_or_b64 exec, exec, s[22:23]
	v_readfirstlane_b32 s15, v4
	s_cmp_eq_u32 s15, 0
	s_cbranch_scc1 .LBB8_1250
; %bb.1249:                             ;   in Loop: Header=BB8_1251 Depth=2
	s_sleep 1
	s_cbranch_execnz .LBB8_1251
	s_branch .LBB8_1253
.LBB8_1250:                             ;   in Loop: Header=BB8_1176 Depth=1
	s_branch .LBB8_1253
.LBB8_1251:                             ;   Parent Loop BB8_1176 Depth=1
                                        ; =>  This Inner Loop Header: Depth=2
	v_mov_b32_e32 v4, 1
	s_and_saveexec_b64 s[22:23], s[4:5]
	s_cbranch_execz .LBB8_1248
; %bb.1252:                             ;   in Loop: Header=BB8_1251 Depth=2
	global_load_dword v4, v[29:30], off offset:20 glc
	s_waitcnt vmcnt(0)
	buffer_wbinvl1_vol
	v_and_b32_e32 v4, 1, v4
	s_branch .LBB8_1248
.LBB8_1253:                             ;   in Loop: Header=BB8_1176 Depth=1
	global_load_dwordx4 v[2:5], v[2:3], off
	s_and_saveexec_b64 s[22:23], s[4:5]
	s_cbranch_execz .LBB8_1175
; %bb.1254:                             ;   in Loop: Header=BB8_1176 Depth=1
	global_load_dwordx2 v[4:5], v28, s[42:43] offset:40
	global_load_dwordx2 v[12:13], v28, s[42:43] offset:24 glc
	global_load_dwordx2 v[14:15], v28, s[42:43]
	v_mov_b32_e32 v9, s21
	s_waitcnt vmcnt(2)
	v_add_co_u32_e32 v10, vcc, 1, v4
	v_addc_co_u32_e32 v11, vcc, 0, v5, vcc
	v_add_co_u32_e32 v8, vcc, s20, v10
	v_addc_co_u32_e32 v9, vcc, v11, v9, vcc
	v_cmp_eq_u64_e32 vcc, 0, v[8:9]
	v_cndmask_b32_e32 v9, v9, v11, vcc
	v_cndmask_b32_e32 v8, v8, v10, vcc
	v_and_b32_e32 v5, v9, v5
	v_and_b32_e32 v4, v8, v4
	v_mul_lo_u32 v5, v5, 24
	v_mul_hi_u32 v11, v4, 24
	v_mul_lo_u32 v4, v4, 24
	s_waitcnt vmcnt(1)
	v_mov_b32_e32 v10, v12
	v_add_u32_e32 v5, v11, v5
	s_waitcnt vmcnt(0)
	v_add_co_u32_e32 v4, vcc, v14, v4
	v_addc_co_u32_e32 v5, vcc, v15, v5, vcc
	global_store_dwordx2 v[4:5], v[12:13], off
	v_mov_b32_e32 v11, v13
	s_waitcnt vmcnt(0)
	global_atomic_cmpswap_x2 v[10:11], v28, v[8:11], s[42:43] offset:24 glc
	s_waitcnt vmcnt(0)
	v_cmp_ne_u64_e32 vcc, v[10:11], v[12:13]
	s_and_b64 exec, exec, vcc
	s_cbranch_execz .LBB8_1175
; %bb.1255:                             ;   in Loop: Header=BB8_1176 Depth=1
	s_mov_b64 s[4:5], 0
.LBB8_1256:                             ;   Parent Loop BB8_1176 Depth=1
                                        ; =>  This Inner Loop Header: Depth=2
	s_sleep 1
	global_store_dwordx2 v[4:5], v[10:11], off
	s_waitcnt vmcnt(0)
	global_atomic_cmpswap_x2 v[12:13], v28, v[8:11], s[42:43] offset:24 glc
	s_waitcnt vmcnt(0)
	v_cmp_eq_u64_e32 vcc, v[12:13], v[10:11]
	v_mov_b32_e32 v10, v12
	s_or_b64 s[4:5], vcc, s[4:5]
	v_mov_b32_e32 v11, v13
	s_andn2_b64 exec, exec, s[4:5]
	s_cbranch_execnz .LBB8_1256
	s_branch .LBB8_1175
.LBB8_1257:
	s_branch .LBB8_1285
.LBB8_1258:
                                        ; implicit-def: $vgpr2_vgpr3
	s_cbranch_execz .LBB8_1285
; %bb.1259:
	v_readfirstlane_b32 s4, v51
	v_mov_b32_e32 v8, 0
	v_mov_b32_e32 v9, 0
	v_cmp_eq_u32_e64 s[4:5], s4, v51
	s_and_saveexec_b64 s[10:11], s[4:5]
	s_cbranch_execz .LBB8_1265
; %bb.1260:
	s_waitcnt vmcnt(0)
	v_mov_b32_e32 v2, 0
	global_load_dwordx2 v[5:6], v2, s[42:43] offset:24 glc
	s_waitcnt vmcnt(0)
	buffer_wbinvl1_vol
	global_load_dwordx2 v[3:4], v2, s[42:43] offset:40
	global_load_dwordx2 v[7:8], v2, s[42:43]
	s_waitcnt vmcnt(1)
	v_and_b32_e32 v3, v3, v5
	v_and_b32_e32 v4, v4, v6
	v_mul_lo_u32 v4, v4, 24
	v_mul_hi_u32 v9, v3, 24
	v_mul_lo_u32 v3, v3, 24
	v_add_u32_e32 v4, v9, v4
	s_waitcnt vmcnt(0)
	v_add_co_u32_e32 v3, vcc, v7, v3
	v_addc_co_u32_e32 v4, vcc, v8, v4, vcc
	global_load_dwordx2 v[3:4], v[3:4], off glc
	s_waitcnt vmcnt(0)
	global_atomic_cmpswap_x2 v[8:9], v2, v[3:6], s[42:43] offset:24 glc
	s_waitcnt vmcnt(0)
	buffer_wbinvl1_vol
	v_cmp_ne_u64_e32 vcc, v[8:9], v[5:6]
	s_and_saveexec_b64 s[16:17], vcc
	s_cbranch_execz .LBB8_1264
; %bb.1261:
	s_mov_b64 s[18:19], 0
.LBB8_1262:                             ; =>This Inner Loop Header: Depth=1
	s_sleep 1
	global_load_dwordx2 v[3:4], v2, s[42:43] offset:40
	global_load_dwordx2 v[10:11], v2, s[42:43]
	v_mov_b32_e32 v5, v8
	v_mov_b32_e32 v6, v9
	s_waitcnt vmcnt(1)
	v_and_b32_e32 v3, v3, v5
	s_waitcnt vmcnt(0)
	v_mad_u64_u32 v[7:8], s[20:21], v3, 24, v[10:11]
	v_and_b32_e32 v4, v4, v6
	v_mov_b32_e32 v3, v8
	v_mad_u64_u32 v[3:4], s[20:21], v4, 24, v[3:4]
	v_mov_b32_e32 v8, v3
	global_load_dwordx2 v[3:4], v[7:8], off glc
	s_waitcnt vmcnt(0)
	global_atomic_cmpswap_x2 v[8:9], v2, v[3:6], s[42:43] offset:24 glc
	s_waitcnt vmcnt(0)
	buffer_wbinvl1_vol
	v_cmp_eq_u64_e32 vcc, v[8:9], v[5:6]
	s_or_b64 s[18:19], vcc, s[18:19]
	s_andn2_b64 exec, exec, s[18:19]
	s_cbranch_execnz .LBB8_1262
; %bb.1263:
	s_or_b64 exec, exec, s[18:19]
.LBB8_1264:
	s_or_b64 exec, exec, s[16:17]
.LBB8_1265:
	s_or_b64 exec, exec, s[10:11]
	s_waitcnt vmcnt(0)
	v_mov_b32_e32 v2, 0
	global_load_dwordx2 v[10:11], v2, s[42:43] offset:40
	global_load_dwordx4 v[4:7], v2, s[42:43]
	v_readfirstlane_b32 s10, v8
	v_readfirstlane_b32 s11, v9
	s_mov_b64 s[16:17], exec
	s_waitcnt vmcnt(1)
	v_readfirstlane_b32 s18, v10
	v_readfirstlane_b32 s19, v11
	s_and_b64 s[18:19], s[10:11], s[18:19]
	s_mul_i32 s15, s19, 24
	s_mul_hi_u32 s20, s18, 24
	s_mul_i32 s21, s18, 24
	s_add_i32 s15, s20, s15
	v_mov_b32_e32 v3, s15
	s_waitcnt vmcnt(0)
	v_add_co_u32_e32 v8, vcc, s21, v4
	v_addc_co_u32_e32 v9, vcc, v5, v3, vcc
	s_and_saveexec_b64 s[20:21], s[4:5]
	s_cbranch_execz .LBB8_1267
; %bb.1266:
	v_mov_b32_e32 v10, s16
	v_mov_b32_e32 v11, s17
	;; [unrolled: 1-line block ×4, first 2 shown]
	global_store_dwordx4 v[8:9], v[10:13], off offset:8
.LBB8_1267:
	s_or_b64 exec, exec, s[20:21]
	s_lshl_b64 s[16:17], s[18:19], 12
	v_mov_b32_e32 v3, s17
	v_add_co_u32_e32 v10, vcc, s16, v6
	v_addc_co_u32_e32 v11, vcc, v7, v3, vcc
	s_movk_i32 s15, 0xff1f
	v_and_or_b32 v0, v0, s15, 32
	s_mov_b32 s16, 0
	v_mov_b32_e32 v3, v2
	v_readfirstlane_b32 s20, v10
	v_readfirstlane_b32 s21, v11
	v_add_co_u32_e32 v6, vcc, v10, v50
	s_mov_b32 s17, s16
	s_mov_b32 s18, s16
	;; [unrolled: 1-line block ×3, first 2 shown]
	s_nop 0
	global_store_dwordx4 v50, v[0:3], s[20:21]
	v_addc_co_u32_e32 v7, vcc, 0, v11, vcc
	v_mov_b32_e32 v0, s16
	v_mov_b32_e32 v1, s17
	;; [unrolled: 1-line block ×4, first 2 shown]
	global_store_dwordx4 v50, v[0:3], s[20:21] offset:16
	global_store_dwordx4 v50, v[0:3], s[20:21] offset:32
	global_store_dwordx4 v50, v[0:3], s[20:21] offset:48
	s_and_saveexec_b64 s[16:17], s[4:5]
	s_cbranch_execz .LBB8_1275
; %bb.1268:
	v_mov_b32_e32 v10, 0
	global_load_dwordx2 v[13:14], v10, s[42:43] offset:32 glc
	global_load_dwordx2 v[0:1], v10, s[42:43] offset:40
	v_mov_b32_e32 v11, s10
	v_mov_b32_e32 v12, s11
	s_waitcnt vmcnt(0)
	v_readfirstlane_b32 s18, v0
	v_readfirstlane_b32 s19, v1
	s_and_b64 s[18:19], s[18:19], s[10:11]
	s_mul_i32 s15, s19, 24
	s_mul_hi_u32 s19, s18, 24
	s_mul_i32 s18, s18, 24
	s_add_i32 s15, s19, s15
	v_mov_b32_e32 v0, s15
	v_add_co_u32_e32 v4, vcc, s18, v4
	v_addc_co_u32_e32 v5, vcc, v5, v0, vcc
	global_store_dwordx2 v[4:5], v[13:14], off
	s_waitcnt vmcnt(0)
	global_atomic_cmpswap_x2 v[2:3], v10, v[11:14], s[42:43] offset:32 glc
	s_waitcnt vmcnt(0)
	v_cmp_ne_u64_e32 vcc, v[2:3], v[13:14]
	s_and_saveexec_b64 s[18:19], vcc
	s_cbranch_execz .LBB8_1271
; %bb.1269:
	s_mov_b64 s[20:21], 0
.LBB8_1270:                             ; =>This Inner Loop Header: Depth=1
	s_sleep 1
	global_store_dwordx2 v[4:5], v[2:3], off
	v_mov_b32_e32 v0, s10
	v_mov_b32_e32 v1, s11
	s_waitcnt vmcnt(0)
	global_atomic_cmpswap_x2 v[0:1], v10, v[0:3], s[42:43] offset:32 glc
	s_waitcnt vmcnt(0)
	v_cmp_eq_u64_e32 vcc, v[0:1], v[2:3]
	v_mov_b32_e32 v3, v1
	s_or_b64 s[20:21], vcc, s[20:21]
	v_mov_b32_e32 v2, v0
	s_andn2_b64 exec, exec, s[20:21]
	s_cbranch_execnz .LBB8_1270
.LBB8_1271:
	s_or_b64 exec, exec, s[18:19]
	v_mov_b32_e32 v3, 0
	global_load_dwordx2 v[0:1], v3, s[42:43] offset:16
	s_mov_b64 s[18:19], exec
	v_mbcnt_lo_u32_b32 v2, s18, 0
	v_mbcnt_hi_u32_b32 v2, s19, v2
	v_cmp_eq_u32_e32 vcc, 0, v2
	s_and_saveexec_b64 s[20:21], vcc
	s_cbranch_execz .LBB8_1273
; %bb.1272:
	s_bcnt1_i32_b64 s15, s[18:19]
	v_mov_b32_e32 v2, s15
	s_waitcnt vmcnt(0)
	global_atomic_add_x2 v[0:1], v[2:3], off offset:8
.LBB8_1273:
	s_or_b64 exec, exec, s[20:21]
	s_waitcnt vmcnt(0)
	global_load_dwordx2 v[2:3], v[0:1], off offset:16
	s_waitcnt vmcnt(0)
	v_cmp_eq_u64_e32 vcc, 0, v[2:3]
	s_cbranch_vccnz .LBB8_1275
; %bb.1274:
	global_load_dword v0, v[0:1], off offset:24
	v_mov_b32_e32 v1, 0
	s_waitcnt vmcnt(0)
	global_store_dwordx2 v[2:3], v[0:1], off
	v_and_b32_e32 v0, 0xffffff, v0
	v_readfirstlane_b32 m0, v0
	s_sendmsg sendmsg(MSG_INTERRUPT)
.LBB8_1275:
	s_or_b64 exec, exec, s[16:17]
	s_branch .LBB8_1279
.LBB8_1276:                             ;   in Loop: Header=BB8_1279 Depth=1
	s_or_b64 exec, exec, s[16:17]
	v_readfirstlane_b32 s15, v0
	s_cmp_eq_u32 s15, 0
	s_cbranch_scc1 .LBB8_1278
; %bb.1277:                             ;   in Loop: Header=BB8_1279 Depth=1
	s_sleep 1
	s_cbranch_execnz .LBB8_1279
	s_branch .LBB8_1281
.LBB8_1278:
	s_branch .LBB8_1281
.LBB8_1279:                             ; =>This Inner Loop Header: Depth=1
	v_mov_b32_e32 v0, 1
	s_and_saveexec_b64 s[16:17], s[4:5]
	s_cbranch_execz .LBB8_1276
; %bb.1280:                             ;   in Loop: Header=BB8_1279 Depth=1
	global_load_dword v0, v[8:9], off offset:20 glc
	s_waitcnt vmcnt(0)
	buffer_wbinvl1_vol
	v_and_b32_e32 v0, 1, v0
	s_branch .LBB8_1276
.LBB8_1281:
	global_load_dwordx2 v[2:3], v[6:7], off
	s_and_saveexec_b64 s[16:17], s[4:5]
	s_cbranch_execz .LBB8_1284
; %bb.1282:
	v_mov_b32_e32 v8, 0
	global_load_dwordx2 v[0:1], v8, s[42:43] offset:40
	global_load_dwordx2 v[9:10], v8, s[42:43] offset:24 glc
	global_load_dwordx2 v[11:12], v8, s[42:43]
	v_mov_b32_e32 v5, s11
	s_mov_b64 s[4:5], 0
	s_waitcnt vmcnt(2)
	v_add_co_u32_e32 v6, vcc, 1, v0
	v_addc_co_u32_e32 v7, vcc, 0, v1, vcc
	v_add_co_u32_e32 v4, vcc, s10, v6
	v_addc_co_u32_e32 v5, vcc, v7, v5, vcc
	v_cmp_eq_u64_e32 vcc, 0, v[4:5]
	v_cndmask_b32_e32 v5, v5, v7, vcc
	v_cndmask_b32_e32 v4, v4, v6, vcc
	v_and_b32_e32 v1, v5, v1
	v_and_b32_e32 v0, v4, v0
	v_mul_lo_u32 v1, v1, 24
	v_mul_hi_u32 v7, v0, 24
	v_mul_lo_u32 v0, v0, 24
	s_waitcnt vmcnt(1)
	v_mov_b32_e32 v6, v9
	v_add_u32_e32 v1, v7, v1
	s_waitcnt vmcnt(0)
	v_add_co_u32_e32 v0, vcc, v11, v0
	v_addc_co_u32_e32 v1, vcc, v12, v1, vcc
	global_store_dwordx2 v[0:1], v[9:10], off
	v_mov_b32_e32 v7, v10
	s_waitcnt vmcnt(0)
	global_atomic_cmpswap_x2 v[6:7], v8, v[4:7], s[42:43] offset:24 glc
	s_waitcnt vmcnt(0)
	v_cmp_ne_u64_e32 vcc, v[6:7], v[9:10]
	s_and_b64 exec, exec, vcc
	s_cbranch_execz .LBB8_1284
.LBB8_1283:                             ; =>This Inner Loop Header: Depth=1
	s_sleep 1
	global_store_dwordx2 v[0:1], v[6:7], off
	s_waitcnt vmcnt(0)
	global_atomic_cmpswap_x2 v[9:10], v8, v[4:7], s[42:43] offset:24 glc
	s_waitcnt vmcnt(0)
	v_cmp_eq_u64_e32 vcc, v[9:10], v[6:7]
	v_mov_b32_e32 v6, v9
	s_or_b64 s[4:5], vcc, s[4:5]
	v_mov_b32_e32 v7, v10
	s_andn2_b64 exec, exec, s[4:5]
	s_cbranch_execnz .LBB8_1283
.LBB8_1284:
	s_or_b64 exec, exec, s[16:17]
.LBB8_1285:
	v_readfirstlane_b32 s4, v51
	s_waitcnt vmcnt(0)
	v_mov_b32_e32 v0, 0
	v_mov_b32_e32 v1, 0
	v_cmp_eq_u32_e64 s[4:5], s4, v51
	s_and_saveexec_b64 s[10:11], s[4:5]
	s_cbranch_execz .LBB8_1291
; %bb.1286:
	v_mov_b32_e32 v4, 0
	global_load_dwordx2 v[7:8], v4, s[42:43] offset:24 glc
	s_waitcnt vmcnt(0)
	buffer_wbinvl1_vol
	global_load_dwordx2 v[0:1], v4, s[42:43] offset:40
	global_load_dwordx2 v[5:6], v4, s[42:43]
	s_waitcnt vmcnt(1)
	v_and_b32_e32 v0, v0, v7
	v_and_b32_e32 v1, v1, v8
	v_mul_lo_u32 v1, v1, 24
	v_mul_hi_u32 v9, v0, 24
	v_mul_lo_u32 v0, v0, 24
	v_add_u32_e32 v1, v9, v1
	s_waitcnt vmcnt(0)
	v_add_co_u32_e32 v0, vcc, v5, v0
	v_addc_co_u32_e32 v1, vcc, v6, v1, vcc
	global_load_dwordx2 v[5:6], v[0:1], off glc
	s_waitcnt vmcnt(0)
	global_atomic_cmpswap_x2 v[0:1], v4, v[5:8], s[42:43] offset:24 glc
	s_waitcnt vmcnt(0)
	buffer_wbinvl1_vol
	v_cmp_ne_u64_e32 vcc, v[0:1], v[7:8]
	s_and_saveexec_b64 s[16:17], vcc
	s_cbranch_execz .LBB8_1290
; %bb.1287:
	s_mov_b64 s[18:19], 0
.LBB8_1288:                             ; =>This Inner Loop Header: Depth=1
	s_sleep 1
	global_load_dwordx2 v[5:6], v4, s[42:43] offset:40
	global_load_dwordx2 v[9:10], v4, s[42:43]
	v_mov_b32_e32 v8, v1
	v_mov_b32_e32 v7, v0
	s_waitcnt vmcnt(1)
	v_and_b32_e32 v0, v5, v7
	s_waitcnt vmcnt(0)
	v_mad_u64_u32 v[0:1], s[20:21], v0, 24, v[9:10]
	v_and_b32_e32 v5, v6, v8
	v_mad_u64_u32 v[5:6], s[20:21], v5, 24, v[1:2]
	v_mov_b32_e32 v1, v5
	global_load_dwordx2 v[5:6], v[0:1], off glc
	s_waitcnt vmcnt(0)
	global_atomic_cmpswap_x2 v[0:1], v4, v[5:8], s[42:43] offset:24 glc
	s_waitcnt vmcnt(0)
	buffer_wbinvl1_vol
	v_cmp_eq_u64_e32 vcc, v[0:1], v[7:8]
	s_or_b64 s[18:19], vcc, s[18:19]
	s_andn2_b64 exec, exec, s[18:19]
	s_cbranch_execnz .LBB8_1288
; %bb.1289:
	s_or_b64 exec, exec, s[18:19]
.LBB8_1290:
	s_or_b64 exec, exec, s[16:17]
.LBB8_1291:
	s_or_b64 exec, exec, s[10:11]
	v_mov_b32_e32 v5, 0
	global_load_dwordx2 v[10:11], v5, s[42:43] offset:40
	global_load_dwordx4 v[6:9], v5, s[42:43]
	v_readfirstlane_b32 s10, v0
	v_readfirstlane_b32 s11, v1
	s_mov_b64 s[16:17], exec
	s_waitcnt vmcnt(1)
	v_readfirstlane_b32 s18, v10
	v_readfirstlane_b32 s19, v11
	s_and_b64 s[18:19], s[10:11], s[18:19]
	s_mul_i32 s15, s19, 24
	s_mul_hi_u32 s20, s18, 24
	s_mul_i32 s21, s18, 24
	s_add_i32 s15, s20, s15
	v_mov_b32_e32 v0, s15
	s_waitcnt vmcnt(0)
	v_add_co_u32_e32 v10, vcc, s21, v6
	v_addc_co_u32_e32 v11, vcc, v7, v0, vcc
	s_and_saveexec_b64 s[20:21], s[4:5]
	s_cbranch_execz .LBB8_1293
; %bb.1292:
	v_mov_b32_e32 v12, s16
	v_mov_b32_e32 v13, s17
	;; [unrolled: 1-line block ×4, first 2 shown]
	global_store_dwordx4 v[10:11], v[12:15], off offset:8
.LBB8_1293:
	s_or_b64 exec, exec, s[20:21]
	s_lshl_b64 s[16:17], s[18:19], 12
	v_mov_b32_e32 v0, s17
	v_add_co_u32_e32 v1, vcc, s16, v8
	v_addc_co_u32_e32 v0, vcc, v9, v0, vcc
	s_movk_i32 s15, 0xff1d
	v_and_or_b32 v2, v2, s15, 34
	s_mov_b32 s16, 0
	v_mov_b32_e32 v4, 10
	v_readfirstlane_b32 s20, v1
	v_readfirstlane_b32 s21, v0
	s_mov_b32 s17, s16
	s_mov_b32 s18, s16
	;; [unrolled: 1-line block ×3, first 2 shown]
	s_nop 1
	global_store_dwordx4 v50, v[2:5], s[20:21]
	v_mov_b32_e32 v0, s16
	v_mov_b32_e32 v1, s17
	;; [unrolled: 1-line block ×4, first 2 shown]
	global_store_dwordx4 v50, v[0:3], s[20:21] offset:16
	global_store_dwordx4 v50, v[0:3], s[20:21] offset:32
	global_store_dwordx4 v50, v[0:3], s[20:21] offset:48
	s_and_saveexec_b64 s[16:17], s[4:5]
	s_cbranch_execz .LBB8_1301
; %bb.1294:
	v_mov_b32_e32 v8, 0
	global_load_dwordx2 v[14:15], v8, s[42:43] offset:32 glc
	global_load_dwordx2 v[0:1], v8, s[42:43] offset:40
	v_mov_b32_e32 v12, s10
	v_mov_b32_e32 v13, s11
	s_waitcnt vmcnt(0)
	v_readfirstlane_b32 s18, v0
	v_readfirstlane_b32 s19, v1
	s_and_b64 s[18:19], s[18:19], s[10:11]
	s_mul_i32 s15, s19, 24
	s_mul_hi_u32 s19, s18, 24
	s_mul_i32 s18, s18, 24
	s_add_i32 s15, s19, s15
	v_mov_b32_e32 v0, s15
	v_add_co_u32_e32 v4, vcc, s18, v6
	v_addc_co_u32_e32 v5, vcc, v7, v0, vcc
	global_store_dwordx2 v[4:5], v[14:15], off
	s_waitcnt vmcnt(0)
	global_atomic_cmpswap_x2 v[2:3], v8, v[12:15], s[42:43] offset:32 glc
	s_waitcnt vmcnt(0)
	v_cmp_ne_u64_e32 vcc, v[2:3], v[14:15]
	s_and_saveexec_b64 s[18:19], vcc
	s_cbranch_execz .LBB8_1297
; %bb.1295:
	s_mov_b64 s[20:21], 0
.LBB8_1296:                             ; =>This Inner Loop Header: Depth=1
	s_sleep 1
	global_store_dwordx2 v[4:5], v[2:3], off
	v_mov_b32_e32 v0, s10
	v_mov_b32_e32 v1, s11
	s_waitcnt vmcnt(0)
	global_atomic_cmpswap_x2 v[0:1], v8, v[0:3], s[42:43] offset:32 glc
	s_waitcnt vmcnt(0)
	v_cmp_eq_u64_e32 vcc, v[0:1], v[2:3]
	v_mov_b32_e32 v3, v1
	s_or_b64 s[20:21], vcc, s[20:21]
	v_mov_b32_e32 v2, v0
	s_andn2_b64 exec, exec, s[20:21]
	s_cbranch_execnz .LBB8_1296
.LBB8_1297:
	s_or_b64 exec, exec, s[18:19]
	v_mov_b32_e32 v3, 0
	global_load_dwordx2 v[0:1], v3, s[42:43] offset:16
	s_mov_b64 s[18:19], exec
	v_mbcnt_lo_u32_b32 v2, s18, 0
	v_mbcnt_hi_u32_b32 v2, s19, v2
	v_cmp_eq_u32_e32 vcc, 0, v2
	s_and_saveexec_b64 s[20:21], vcc
	s_cbranch_execz .LBB8_1299
; %bb.1298:
	s_bcnt1_i32_b64 s15, s[18:19]
	v_mov_b32_e32 v2, s15
	s_waitcnt vmcnt(0)
	global_atomic_add_x2 v[0:1], v[2:3], off offset:8
.LBB8_1299:
	s_or_b64 exec, exec, s[20:21]
	s_waitcnt vmcnt(0)
	global_load_dwordx2 v[2:3], v[0:1], off offset:16
	s_waitcnt vmcnt(0)
	v_cmp_eq_u64_e32 vcc, 0, v[2:3]
	s_cbranch_vccnz .LBB8_1301
; %bb.1300:
	global_load_dword v0, v[0:1], off offset:24
	v_mov_b32_e32 v1, 0
	s_waitcnt vmcnt(0)
	global_store_dwordx2 v[2:3], v[0:1], off
	v_and_b32_e32 v0, 0xffffff, v0
	v_readfirstlane_b32 m0, v0
	s_sendmsg sendmsg(MSG_INTERRUPT)
.LBB8_1301:
	s_or_b64 exec, exec, s[16:17]
	s_branch .LBB8_1305
.LBB8_1302:                             ;   in Loop: Header=BB8_1305 Depth=1
	s_or_b64 exec, exec, s[16:17]
	v_readfirstlane_b32 s15, v0
	s_cmp_eq_u32 s15, 0
	s_cbranch_scc1 .LBB8_1304
; %bb.1303:                             ;   in Loop: Header=BB8_1305 Depth=1
	s_sleep 1
	s_cbranch_execnz .LBB8_1305
	s_branch .LBB8_1307
.LBB8_1304:
	s_branch .LBB8_1307
.LBB8_1305:                             ; =>This Inner Loop Header: Depth=1
	v_mov_b32_e32 v0, 1
	s_and_saveexec_b64 s[16:17], s[4:5]
	s_cbranch_execz .LBB8_1302
; %bb.1306:                             ;   in Loop: Header=BB8_1305 Depth=1
	global_load_dword v0, v[10:11], off offset:20 glc
	s_waitcnt vmcnt(0)
	buffer_wbinvl1_vol
	v_and_b32_e32 v0, 1, v0
	s_branch .LBB8_1302
.LBB8_1307:
	s_and_saveexec_b64 s[16:17], s[4:5]
	s_cbranch_execz .LBB8_1310
; %bb.1308:
	v_mov_b32_e32 v6, 0
	global_load_dwordx2 v[2:3], v6, s[42:43] offset:40
	global_load_dwordx2 v[7:8], v6, s[42:43] offset:24 glc
	global_load_dwordx2 v[4:5], v6, s[42:43]
	v_mov_b32_e32 v1, s11
	s_mov_b64 s[4:5], 0
	s_waitcnt vmcnt(2)
	v_add_co_u32_e32 v9, vcc, 1, v2
	v_addc_co_u32_e32 v10, vcc, 0, v3, vcc
	v_add_co_u32_e32 v0, vcc, s10, v9
	v_addc_co_u32_e32 v1, vcc, v10, v1, vcc
	v_cmp_eq_u64_e32 vcc, 0, v[0:1]
	v_cndmask_b32_e32 v1, v1, v10, vcc
	v_cndmask_b32_e32 v0, v0, v9, vcc
	v_and_b32_e32 v3, v1, v3
	v_and_b32_e32 v2, v0, v2
	v_mul_lo_u32 v3, v3, 24
	v_mul_hi_u32 v9, v2, 24
	v_mul_lo_u32 v10, v2, 24
	s_waitcnt vmcnt(1)
	v_mov_b32_e32 v2, v7
	v_add_u32_e32 v3, v9, v3
	s_waitcnt vmcnt(0)
	v_add_co_u32_e32 v4, vcc, v4, v10
	v_addc_co_u32_e32 v5, vcc, v5, v3, vcc
	global_store_dwordx2 v[4:5], v[7:8], off
	v_mov_b32_e32 v3, v8
	s_waitcnt vmcnt(0)
	global_atomic_cmpswap_x2 v[2:3], v6, v[0:3], s[42:43] offset:24 glc
	s_waitcnt vmcnt(0)
	v_cmp_ne_u64_e32 vcc, v[2:3], v[7:8]
	s_and_b64 exec, exec, vcc
	s_cbranch_execz .LBB8_1310
.LBB8_1309:                             ; =>This Inner Loop Header: Depth=1
	s_sleep 1
	global_store_dwordx2 v[4:5], v[2:3], off
	s_waitcnt vmcnt(0)
	global_atomic_cmpswap_x2 v[7:8], v6, v[0:3], s[42:43] offset:24 glc
	s_waitcnt vmcnt(0)
	v_cmp_eq_u64_e32 vcc, v[7:8], v[2:3]
	v_mov_b32_e32 v2, v7
	s_or_b64 s[4:5], vcc, s[4:5]
	v_mov_b32_e32 v3, v8
	s_andn2_b64 exec, exec, s[4:5]
	s_cbranch_execnz .LBB8_1309
.LBB8_1310:
	s_or_b64 exec, exec, s[16:17]
	v_readfirstlane_b32 s4, v51
	v_mov_b32_e32 v5, 0
	v_mov_b32_e32 v6, 0
	v_cmp_eq_u32_e64 s[4:5], s4, v51
	s_and_saveexec_b64 s[10:11], s[4:5]
	s_cbranch_execz .LBB8_1316
; %bb.1311:
	v_mov_b32_e32 v0, 0
	global_load_dwordx2 v[3:4], v0, s[42:43] offset:24 glc
	s_waitcnt vmcnt(0)
	buffer_wbinvl1_vol
	global_load_dwordx2 v[1:2], v0, s[42:43] offset:40
	global_load_dwordx2 v[5:6], v0, s[42:43]
	s_waitcnt vmcnt(1)
	v_and_b32_e32 v1, v1, v3
	v_and_b32_e32 v2, v2, v4
	v_mul_lo_u32 v2, v2, 24
	v_mul_hi_u32 v7, v1, 24
	v_mul_lo_u32 v1, v1, 24
	v_add_u32_e32 v2, v7, v2
	s_waitcnt vmcnt(0)
	v_add_co_u32_e32 v1, vcc, v5, v1
	v_addc_co_u32_e32 v2, vcc, v6, v2, vcc
	global_load_dwordx2 v[1:2], v[1:2], off glc
	s_waitcnt vmcnt(0)
	global_atomic_cmpswap_x2 v[5:6], v0, v[1:4], s[42:43] offset:24 glc
	s_waitcnt vmcnt(0)
	buffer_wbinvl1_vol
	v_cmp_ne_u64_e32 vcc, v[5:6], v[3:4]
	s_and_saveexec_b64 s[16:17], vcc
	s_cbranch_execz .LBB8_1315
; %bb.1312:
	s_mov_b64 s[18:19], 0
.LBB8_1313:                             ; =>This Inner Loop Header: Depth=1
	s_sleep 1
	global_load_dwordx2 v[1:2], v0, s[42:43] offset:40
	global_load_dwordx2 v[7:8], v0, s[42:43]
	v_mov_b32_e32 v3, v5
	v_mov_b32_e32 v4, v6
	s_waitcnt vmcnt(1)
	v_and_b32_e32 v1, v1, v3
	s_waitcnt vmcnt(0)
	v_mad_u64_u32 v[5:6], s[20:21], v1, 24, v[7:8]
	v_and_b32_e32 v2, v2, v4
	v_mov_b32_e32 v1, v6
	v_mad_u64_u32 v[1:2], s[20:21], v2, 24, v[1:2]
	v_mov_b32_e32 v6, v1
	global_load_dwordx2 v[1:2], v[5:6], off glc
	s_waitcnt vmcnt(0)
	global_atomic_cmpswap_x2 v[5:6], v0, v[1:4], s[42:43] offset:24 glc
	s_waitcnt vmcnt(0)
	buffer_wbinvl1_vol
	v_cmp_eq_u64_e32 vcc, v[5:6], v[3:4]
	s_or_b64 s[18:19], vcc, s[18:19]
	s_andn2_b64 exec, exec, s[18:19]
	s_cbranch_execnz .LBB8_1313
; %bb.1314:
	s_or_b64 exec, exec, s[18:19]
.LBB8_1315:
	s_or_b64 exec, exec, s[16:17]
.LBB8_1316:
	s_or_b64 exec, exec, s[10:11]
	v_mov_b32_e32 v4, 0
	global_load_dwordx2 v[7:8], v4, s[42:43] offset:40
	global_load_dwordx4 v[0:3], v4, s[42:43]
	v_readfirstlane_b32 s10, v5
	v_readfirstlane_b32 s11, v6
	s_mov_b64 s[16:17], exec
	s_waitcnt vmcnt(1)
	v_readfirstlane_b32 s18, v7
	v_readfirstlane_b32 s19, v8
	s_and_b64 s[18:19], s[10:11], s[18:19]
	s_mul_i32 s15, s19, 24
	s_mul_hi_u32 s20, s18, 24
	s_mul_i32 s21, s18, 24
	s_add_i32 s15, s20, s15
	v_mov_b32_e32 v5, s15
	s_waitcnt vmcnt(0)
	v_add_co_u32_e32 v7, vcc, s21, v0
	v_addc_co_u32_e32 v8, vcc, v1, v5, vcc
	s_and_saveexec_b64 s[20:21], s[4:5]
	s_cbranch_execz .LBB8_1318
; %bb.1317:
	v_mov_b32_e32 v9, s16
	v_mov_b32_e32 v10, s17
	;; [unrolled: 1-line block ×4, first 2 shown]
	global_store_dwordx4 v[7:8], v[9:12], off offset:8
.LBB8_1318:
	s_or_b64 exec, exec, s[20:21]
	s_lshl_b64 s[16:17], s[18:19], 12
	v_mov_b32_e32 v5, s17
	v_add_co_u32_e32 v2, vcc, s16, v2
	v_addc_co_u32_e32 v11, vcc, v3, v5, vcc
	s_mov_b32 s16, 0
	v_mov_b32_e32 v3, 33
	v_mov_b32_e32 v5, v4
	;; [unrolled: 1-line block ×3, first 2 shown]
	v_readfirstlane_b32 s20, v2
	v_readfirstlane_b32 s21, v11
	v_add_co_u32_e32 v9, vcc, v2, v50
	s_mov_b32 s17, s16
	s_mov_b32 s18, s16
	;; [unrolled: 1-line block ×3, first 2 shown]
	s_nop 0
	global_store_dwordx4 v50, v[3:6], s[20:21]
	v_mov_b32_e32 v2, s16
	v_addc_co_u32_e32 v10, vcc, 0, v11, vcc
	v_mov_b32_e32 v3, s17
	v_mov_b32_e32 v4, s18
	;; [unrolled: 1-line block ×3, first 2 shown]
	global_store_dwordx4 v50, v[2:5], s[20:21] offset:16
	global_store_dwordx4 v50, v[2:5], s[20:21] offset:32
	;; [unrolled: 1-line block ×3, first 2 shown]
	s_and_saveexec_b64 s[16:17], s[4:5]
	s_cbranch_execz .LBB8_1326
; %bb.1319:
	v_mov_b32_e32 v6, 0
	global_load_dwordx2 v[13:14], v6, s[42:43] offset:32 glc
	global_load_dwordx2 v[2:3], v6, s[42:43] offset:40
	v_mov_b32_e32 v11, s10
	v_mov_b32_e32 v12, s11
	s_waitcnt vmcnt(0)
	v_readfirstlane_b32 s18, v2
	v_readfirstlane_b32 s19, v3
	s_and_b64 s[18:19], s[18:19], s[10:11]
	s_mul_i32 s15, s19, 24
	s_mul_hi_u32 s19, s18, 24
	s_mul_i32 s18, s18, 24
	s_add_i32 s15, s19, s15
	v_mov_b32_e32 v2, s15
	v_add_co_u32_e32 v4, vcc, s18, v0
	v_addc_co_u32_e32 v5, vcc, v1, v2, vcc
	global_store_dwordx2 v[4:5], v[13:14], off
	s_waitcnt vmcnt(0)
	global_atomic_cmpswap_x2 v[2:3], v6, v[11:14], s[42:43] offset:32 glc
	s_waitcnt vmcnt(0)
	v_cmp_ne_u64_e32 vcc, v[2:3], v[13:14]
	s_and_saveexec_b64 s[18:19], vcc
	s_cbranch_execz .LBB8_1322
; %bb.1320:
	s_mov_b64 s[20:21], 0
.LBB8_1321:                             ; =>This Inner Loop Header: Depth=1
	s_sleep 1
	global_store_dwordx2 v[4:5], v[2:3], off
	v_mov_b32_e32 v0, s10
	v_mov_b32_e32 v1, s11
	s_waitcnt vmcnt(0)
	global_atomic_cmpswap_x2 v[0:1], v6, v[0:3], s[42:43] offset:32 glc
	s_waitcnt vmcnt(0)
	v_cmp_eq_u64_e32 vcc, v[0:1], v[2:3]
	v_mov_b32_e32 v3, v1
	s_or_b64 s[20:21], vcc, s[20:21]
	v_mov_b32_e32 v2, v0
	s_andn2_b64 exec, exec, s[20:21]
	s_cbranch_execnz .LBB8_1321
.LBB8_1322:
	s_or_b64 exec, exec, s[18:19]
	v_mov_b32_e32 v3, 0
	global_load_dwordx2 v[0:1], v3, s[42:43] offset:16
	s_mov_b64 s[18:19], exec
	v_mbcnt_lo_u32_b32 v2, s18, 0
	v_mbcnt_hi_u32_b32 v2, s19, v2
	v_cmp_eq_u32_e32 vcc, 0, v2
	s_and_saveexec_b64 s[20:21], vcc
	s_cbranch_execz .LBB8_1324
; %bb.1323:
	s_bcnt1_i32_b64 s15, s[18:19]
	v_mov_b32_e32 v2, s15
	s_waitcnt vmcnt(0)
	global_atomic_add_x2 v[0:1], v[2:3], off offset:8
.LBB8_1324:
	s_or_b64 exec, exec, s[20:21]
	s_waitcnt vmcnt(0)
	global_load_dwordx2 v[2:3], v[0:1], off offset:16
	s_waitcnt vmcnt(0)
	v_cmp_eq_u64_e32 vcc, 0, v[2:3]
	s_cbranch_vccnz .LBB8_1326
; %bb.1325:
	global_load_dword v0, v[0:1], off offset:24
	v_mov_b32_e32 v1, 0
	s_waitcnt vmcnt(0)
	global_store_dwordx2 v[2:3], v[0:1], off
	v_and_b32_e32 v0, 0xffffff, v0
	v_readfirstlane_b32 m0, v0
	s_sendmsg sendmsg(MSG_INTERRUPT)
.LBB8_1326:
	s_or_b64 exec, exec, s[16:17]
	s_branch .LBB8_1330
.LBB8_1327:                             ;   in Loop: Header=BB8_1330 Depth=1
	s_or_b64 exec, exec, s[16:17]
	v_readfirstlane_b32 s15, v0
	s_cmp_eq_u32 s15, 0
	s_cbranch_scc1 .LBB8_1329
; %bb.1328:                             ;   in Loop: Header=BB8_1330 Depth=1
	s_sleep 1
	s_cbranch_execnz .LBB8_1330
	s_branch .LBB8_1332
.LBB8_1329:
	s_branch .LBB8_1332
.LBB8_1330:                             ; =>This Inner Loop Header: Depth=1
	v_mov_b32_e32 v0, 1
	s_and_saveexec_b64 s[16:17], s[4:5]
	s_cbranch_execz .LBB8_1327
; %bb.1331:                             ;   in Loop: Header=BB8_1330 Depth=1
	global_load_dword v0, v[7:8], off offset:20 glc
	s_waitcnt vmcnt(0)
	buffer_wbinvl1_vol
	v_and_b32_e32 v0, 1, v0
	s_branch .LBB8_1327
.LBB8_1332:
	global_load_dwordx2 v[4:5], v[9:10], off
	s_and_saveexec_b64 s[16:17], s[4:5]
	s_cbranch_execz .LBB8_1335
; %bb.1333:
	v_mov_b32_e32 v8, 0
	global_load_dwordx2 v[2:3], v8, s[42:43] offset:40
	global_load_dwordx2 v[9:10], v8, s[42:43] offset:24 glc
	global_load_dwordx2 v[6:7], v8, s[42:43]
	v_mov_b32_e32 v1, s11
	s_mov_b64 s[4:5], 0
	s_waitcnt vmcnt(2)
	v_add_co_u32_e32 v11, vcc, 1, v2
	v_addc_co_u32_e32 v12, vcc, 0, v3, vcc
	v_add_co_u32_e32 v0, vcc, s10, v11
	v_addc_co_u32_e32 v1, vcc, v12, v1, vcc
	v_cmp_eq_u64_e32 vcc, 0, v[0:1]
	v_cndmask_b32_e32 v1, v1, v12, vcc
	v_cndmask_b32_e32 v0, v0, v11, vcc
	v_and_b32_e32 v3, v1, v3
	v_and_b32_e32 v2, v0, v2
	v_mul_lo_u32 v3, v3, 24
	v_mul_hi_u32 v11, v2, 24
	v_mul_lo_u32 v12, v2, 24
	s_waitcnt vmcnt(1)
	v_mov_b32_e32 v2, v9
	v_add_u32_e32 v3, v11, v3
	s_waitcnt vmcnt(0)
	v_add_co_u32_e32 v6, vcc, v6, v12
	v_addc_co_u32_e32 v7, vcc, v7, v3, vcc
	global_store_dwordx2 v[6:7], v[9:10], off
	v_mov_b32_e32 v3, v10
	s_waitcnt vmcnt(0)
	global_atomic_cmpswap_x2 v[2:3], v8, v[0:3], s[42:43] offset:24 glc
	s_waitcnt vmcnt(0)
	v_cmp_ne_u64_e32 vcc, v[2:3], v[9:10]
	s_and_b64 exec, exec, vcc
	s_cbranch_execz .LBB8_1335
.LBB8_1334:                             ; =>This Inner Loop Header: Depth=1
	s_sleep 1
	global_store_dwordx2 v[6:7], v[2:3], off
	s_waitcnt vmcnt(0)
	global_atomic_cmpswap_x2 v[9:10], v8, v[0:3], s[42:43] offset:24 glc
	s_waitcnt vmcnt(0)
	v_cmp_eq_u64_e32 vcc, v[9:10], v[2:3]
	v_mov_b32_e32 v2, v9
	s_or_b64 s[4:5], vcc, s[4:5]
	v_mov_b32_e32 v3, v10
	s_andn2_b64 exec, exec, s[4:5]
	s_cbranch_execnz .LBB8_1334
.LBB8_1335:
	s_or_b64 exec, exec, s[16:17]
	s_and_b64 vcc, exec, s[6:7]
	s_cbranch_vccz .LBB8_1420
; %bb.1336:
	s_waitcnt vmcnt(0)
	v_and_b32_e32 v29, 2, v4
	v_mov_b32_e32 v26, 0
	v_and_b32_e32 v0, -3, v4
	v_mov_b32_e32 v1, v5
	s_mov_b64 s[10:11], 3
	v_mov_b32_e32 v8, 2
	v_mov_b32_e32 v9, 1
	s_getpc_b64 s[6:7]
	s_add_u32 s6, s6, .str.7@rel32@lo+4
	s_addc_u32 s7, s7, .str.7@rel32@hi+12
	s_branch .LBB8_1338
.LBB8_1337:                             ;   in Loop: Header=BB8_1338 Depth=1
	s_or_b64 exec, exec, s[20:21]
	s_sub_u32 s10, s10, s16
	s_subb_u32 s11, s11, s17
	s_add_u32 s6, s6, s16
	s_addc_u32 s7, s7, s17
	s_cmp_lg_u64 s[10:11], 0
	s_cbranch_scc0 .LBB8_1419
.LBB8_1338:                             ; =>This Loop Header: Depth=1
                                        ;     Child Loop BB8_1341 Depth 2
                                        ;     Child Loop BB8_1348 Depth 2
	;; [unrolled: 1-line block ×11, first 2 shown]
	v_cmp_lt_u64_e64 s[4:5], s[10:11], 56
	v_cmp_gt_u64_e64 s[18:19], s[10:11], 7
	s_and_b64 s[4:5], s[4:5], exec
	s_cselect_b32 s17, s11, 0
	s_cselect_b32 s16, s10, 56
	s_and_b64 vcc, exec, s[18:19]
	s_cbranch_vccnz .LBB8_1343
; %bb.1339:                             ;   in Loop: Header=BB8_1338 Depth=1
	s_waitcnt vmcnt(0)
	v_mov_b32_e32 v2, 0
	s_cmp_eq_u64 s[10:11], 0
	v_mov_b32_e32 v3, 0
	s_mov_b64 s[4:5], 0
	s_cbranch_scc1 .LBB8_1342
; %bb.1340:                             ;   in Loop: Header=BB8_1338 Depth=1
	v_mov_b32_e32 v2, 0
	s_lshl_b64 s[18:19], s[16:17], 3
	s_mov_b64 s[20:21], 0
	v_mov_b32_e32 v3, 0
	s_mov_b64 s[22:23], s[6:7]
.LBB8_1341:                             ;   Parent Loop BB8_1338 Depth=1
                                        ; =>  This Inner Loop Header: Depth=2
	global_load_ubyte v6, v26, s[22:23]
	s_waitcnt vmcnt(0)
	v_and_b32_e32 v25, 0xffff, v6
	v_lshlrev_b64 v[6:7], s20, v[25:26]
	s_add_u32 s20, s20, 8
	s_addc_u32 s21, s21, 0
	s_add_u32 s22, s22, 1
	s_addc_u32 s23, s23, 0
	v_or_b32_e32 v2, v6, v2
	s_cmp_lg_u32 s18, s20
	v_or_b32_e32 v3, v7, v3
	s_cbranch_scc1 .LBB8_1341
.LBB8_1342:                             ;   in Loop: Header=BB8_1338 Depth=1
	s_mov_b32 s15, 0
	s_andn2_b64 vcc, exec, s[4:5]
	s_mov_b64 s[4:5], s[6:7]
	s_cbranch_vccz .LBB8_1344
	s_branch .LBB8_1345
.LBB8_1343:                             ;   in Loop: Header=BB8_1338 Depth=1
                                        ; implicit-def: $vgpr2_vgpr3
                                        ; implicit-def: $sgpr15
	s_mov_b64 s[4:5], s[6:7]
.LBB8_1344:                             ;   in Loop: Header=BB8_1338 Depth=1
	global_load_dwordx2 v[2:3], v26, s[6:7]
	s_add_i32 s15, s16, -8
	s_add_u32 s4, s6, 8
	s_addc_u32 s5, s7, 0
.LBB8_1345:                             ;   in Loop: Header=BB8_1338 Depth=1
	s_cmp_gt_u32 s15, 7
	s_cbranch_scc1 .LBB8_1349
; %bb.1346:                             ;   in Loop: Header=BB8_1338 Depth=1
	s_cmp_eq_u32 s15, 0
	s_cbranch_scc1 .LBB8_1350
; %bb.1347:                             ;   in Loop: Header=BB8_1338 Depth=1
	v_mov_b32_e32 v10, 0
	s_mov_b64 s[18:19], 0
	v_mov_b32_e32 v11, 0
	s_mov_b64 s[20:21], 0
.LBB8_1348:                             ;   Parent Loop BB8_1338 Depth=1
                                        ; =>  This Inner Loop Header: Depth=2
	s_add_u32 s22, s4, s20
	s_addc_u32 s23, s5, s21
	global_load_ubyte v6, v26, s[22:23]
	s_add_u32 s20, s20, 1
	s_addc_u32 s21, s21, 0
	s_waitcnt vmcnt(0)
	v_and_b32_e32 v25, 0xffff, v6
	v_lshlrev_b64 v[6:7], s18, v[25:26]
	s_add_u32 s18, s18, 8
	s_addc_u32 s19, s19, 0
	v_or_b32_e32 v10, v6, v10
	s_cmp_lg_u32 s15, s20
	v_or_b32_e32 v11, v7, v11
	s_cbranch_scc1 .LBB8_1348
	s_branch .LBB8_1351
.LBB8_1349:                             ;   in Loop: Header=BB8_1338 Depth=1
                                        ; implicit-def: $vgpr10_vgpr11
                                        ; implicit-def: $sgpr22
	s_branch .LBB8_1352
.LBB8_1350:                             ;   in Loop: Header=BB8_1338 Depth=1
	v_mov_b32_e32 v10, 0
	v_mov_b32_e32 v11, 0
.LBB8_1351:                             ;   in Loop: Header=BB8_1338 Depth=1
	s_mov_b32 s22, 0
	s_cbranch_execnz .LBB8_1353
.LBB8_1352:                             ;   in Loop: Header=BB8_1338 Depth=1
	global_load_dwordx2 v[10:11], v26, s[4:5]
	s_add_i32 s22, s15, -8
	s_add_u32 s4, s4, 8
	s_addc_u32 s5, s5, 0
.LBB8_1353:                             ;   in Loop: Header=BB8_1338 Depth=1
	s_cmp_gt_u32 s22, 7
	s_cbranch_scc1 .LBB8_1357
; %bb.1354:                             ;   in Loop: Header=BB8_1338 Depth=1
	s_cmp_eq_u32 s22, 0
	s_cbranch_scc1 .LBB8_1358
; %bb.1355:                             ;   in Loop: Header=BB8_1338 Depth=1
	v_mov_b32_e32 v12, 0
	s_mov_b64 s[18:19], 0
	v_mov_b32_e32 v13, 0
	s_mov_b64 s[20:21], 0
.LBB8_1356:                             ;   Parent Loop BB8_1338 Depth=1
                                        ; =>  This Inner Loop Header: Depth=2
	s_add_u32 s24, s4, s20
	s_addc_u32 s25, s5, s21
	global_load_ubyte v6, v26, s[24:25]
	s_add_u32 s20, s20, 1
	s_addc_u32 s21, s21, 0
	s_waitcnt vmcnt(0)
	v_and_b32_e32 v25, 0xffff, v6
	v_lshlrev_b64 v[6:7], s18, v[25:26]
	s_add_u32 s18, s18, 8
	s_addc_u32 s19, s19, 0
	v_or_b32_e32 v12, v6, v12
	s_cmp_lg_u32 s22, s20
	v_or_b32_e32 v13, v7, v13
	s_cbranch_scc1 .LBB8_1356
	s_branch .LBB8_1359
.LBB8_1357:                             ;   in Loop: Header=BB8_1338 Depth=1
                                        ; implicit-def: $sgpr15
	s_branch .LBB8_1360
.LBB8_1358:                             ;   in Loop: Header=BB8_1338 Depth=1
	v_mov_b32_e32 v12, 0
	v_mov_b32_e32 v13, 0
.LBB8_1359:                             ;   in Loop: Header=BB8_1338 Depth=1
	s_mov_b32 s15, 0
	s_cbranch_execnz .LBB8_1361
.LBB8_1360:                             ;   in Loop: Header=BB8_1338 Depth=1
	global_load_dwordx2 v[12:13], v26, s[4:5]
	s_add_i32 s15, s22, -8
	s_add_u32 s4, s4, 8
	s_addc_u32 s5, s5, 0
.LBB8_1361:                             ;   in Loop: Header=BB8_1338 Depth=1
	s_cmp_gt_u32 s15, 7
	s_cbranch_scc1 .LBB8_1365
; %bb.1362:                             ;   in Loop: Header=BB8_1338 Depth=1
	s_cmp_eq_u32 s15, 0
	s_cbranch_scc1 .LBB8_1366
; %bb.1363:                             ;   in Loop: Header=BB8_1338 Depth=1
	v_mov_b32_e32 v14, 0
	s_mov_b64 s[18:19], 0
	v_mov_b32_e32 v15, 0
	s_mov_b64 s[20:21], 0
.LBB8_1364:                             ;   Parent Loop BB8_1338 Depth=1
                                        ; =>  This Inner Loop Header: Depth=2
	s_add_u32 s22, s4, s20
	s_addc_u32 s23, s5, s21
	global_load_ubyte v6, v26, s[22:23]
	s_add_u32 s20, s20, 1
	s_addc_u32 s21, s21, 0
	s_waitcnt vmcnt(0)
	v_and_b32_e32 v25, 0xffff, v6
	v_lshlrev_b64 v[6:7], s18, v[25:26]
	s_add_u32 s18, s18, 8
	s_addc_u32 s19, s19, 0
	v_or_b32_e32 v14, v6, v14
	s_cmp_lg_u32 s15, s20
	v_or_b32_e32 v15, v7, v15
	s_cbranch_scc1 .LBB8_1364
	s_branch .LBB8_1367
.LBB8_1365:                             ;   in Loop: Header=BB8_1338 Depth=1
                                        ; implicit-def: $vgpr14_vgpr15
                                        ; implicit-def: $sgpr22
	s_branch .LBB8_1368
.LBB8_1366:                             ;   in Loop: Header=BB8_1338 Depth=1
	v_mov_b32_e32 v14, 0
	v_mov_b32_e32 v15, 0
.LBB8_1367:                             ;   in Loop: Header=BB8_1338 Depth=1
	s_mov_b32 s22, 0
	s_cbranch_execnz .LBB8_1369
.LBB8_1368:                             ;   in Loop: Header=BB8_1338 Depth=1
	global_load_dwordx2 v[14:15], v26, s[4:5]
	s_add_i32 s22, s15, -8
	s_add_u32 s4, s4, 8
	s_addc_u32 s5, s5, 0
.LBB8_1369:                             ;   in Loop: Header=BB8_1338 Depth=1
	s_cmp_gt_u32 s22, 7
	s_cbranch_scc1 .LBB8_1373
; %bb.1370:                             ;   in Loop: Header=BB8_1338 Depth=1
	s_cmp_eq_u32 s22, 0
	s_cbranch_scc1 .LBB8_1374
; %bb.1371:                             ;   in Loop: Header=BB8_1338 Depth=1
	v_mov_b32_e32 v16, 0
	s_mov_b64 s[18:19], 0
	v_mov_b32_e32 v17, 0
	s_mov_b64 s[20:21], 0
.LBB8_1372:                             ;   Parent Loop BB8_1338 Depth=1
                                        ; =>  This Inner Loop Header: Depth=2
	s_add_u32 s24, s4, s20
	s_addc_u32 s25, s5, s21
	global_load_ubyte v6, v26, s[24:25]
	s_add_u32 s20, s20, 1
	s_addc_u32 s21, s21, 0
	s_waitcnt vmcnt(0)
	v_and_b32_e32 v25, 0xffff, v6
	v_lshlrev_b64 v[6:7], s18, v[25:26]
	s_add_u32 s18, s18, 8
	s_addc_u32 s19, s19, 0
	v_or_b32_e32 v16, v6, v16
	s_cmp_lg_u32 s22, s20
	v_or_b32_e32 v17, v7, v17
	s_cbranch_scc1 .LBB8_1372
	s_branch .LBB8_1375
.LBB8_1373:                             ;   in Loop: Header=BB8_1338 Depth=1
                                        ; implicit-def: $sgpr15
	s_branch .LBB8_1376
.LBB8_1374:                             ;   in Loop: Header=BB8_1338 Depth=1
	v_mov_b32_e32 v16, 0
	v_mov_b32_e32 v17, 0
.LBB8_1375:                             ;   in Loop: Header=BB8_1338 Depth=1
	s_mov_b32 s15, 0
	s_cbranch_execnz .LBB8_1377
.LBB8_1376:                             ;   in Loop: Header=BB8_1338 Depth=1
	global_load_dwordx2 v[16:17], v26, s[4:5]
	s_add_i32 s15, s22, -8
	s_add_u32 s4, s4, 8
	s_addc_u32 s5, s5, 0
.LBB8_1377:                             ;   in Loop: Header=BB8_1338 Depth=1
	s_cmp_gt_u32 s15, 7
	s_cbranch_scc1 .LBB8_1381
; %bb.1378:                             ;   in Loop: Header=BB8_1338 Depth=1
	s_cmp_eq_u32 s15, 0
	s_cbranch_scc1 .LBB8_1382
; %bb.1379:                             ;   in Loop: Header=BB8_1338 Depth=1
	v_mov_b32_e32 v18, 0
	s_mov_b64 s[18:19], 0
	v_mov_b32_e32 v19, 0
	s_mov_b64 s[20:21], 0
.LBB8_1380:                             ;   Parent Loop BB8_1338 Depth=1
                                        ; =>  This Inner Loop Header: Depth=2
	s_add_u32 s22, s4, s20
	s_addc_u32 s23, s5, s21
	global_load_ubyte v6, v26, s[22:23]
	s_add_u32 s20, s20, 1
	s_addc_u32 s21, s21, 0
	s_waitcnt vmcnt(0)
	v_and_b32_e32 v25, 0xffff, v6
	v_lshlrev_b64 v[6:7], s18, v[25:26]
	s_add_u32 s18, s18, 8
	s_addc_u32 s19, s19, 0
	v_or_b32_e32 v18, v6, v18
	s_cmp_lg_u32 s15, s20
	v_or_b32_e32 v19, v7, v19
	s_cbranch_scc1 .LBB8_1380
	s_branch .LBB8_1383
.LBB8_1381:                             ;   in Loop: Header=BB8_1338 Depth=1
                                        ; implicit-def: $vgpr18_vgpr19
                                        ; implicit-def: $sgpr22
	s_branch .LBB8_1384
.LBB8_1382:                             ;   in Loop: Header=BB8_1338 Depth=1
	v_mov_b32_e32 v18, 0
	v_mov_b32_e32 v19, 0
.LBB8_1383:                             ;   in Loop: Header=BB8_1338 Depth=1
	s_mov_b32 s22, 0
	s_cbranch_execnz .LBB8_1385
.LBB8_1384:                             ;   in Loop: Header=BB8_1338 Depth=1
	global_load_dwordx2 v[18:19], v26, s[4:5]
	s_add_i32 s22, s15, -8
	s_add_u32 s4, s4, 8
	s_addc_u32 s5, s5, 0
.LBB8_1385:                             ;   in Loop: Header=BB8_1338 Depth=1
	s_cmp_gt_u32 s22, 7
	s_cbranch_scc1 .LBB8_1389
; %bb.1386:                             ;   in Loop: Header=BB8_1338 Depth=1
	s_cmp_eq_u32 s22, 0
	s_cbranch_scc1 .LBB8_1390
; %bb.1387:                             ;   in Loop: Header=BB8_1338 Depth=1
	v_mov_b32_e32 v20, 0
	s_mov_b64 s[18:19], 0
	v_mov_b32_e32 v21, 0
	s_mov_b64 s[20:21], s[4:5]
.LBB8_1388:                             ;   Parent Loop BB8_1338 Depth=1
                                        ; =>  This Inner Loop Header: Depth=2
	global_load_ubyte v6, v26, s[20:21]
	s_add_i32 s22, s22, -1
	s_waitcnt vmcnt(0)
	v_and_b32_e32 v25, 0xffff, v6
	v_lshlrev_b64 v[6:7], s18, v[25:26]
	s_add_u32 s18, s18, 8
	s_addc_u32 s19, s19, 0
	s_add_u32 s20, s20, 1
	s_addc_u32 s21, s21, 0
	v_or_b32_e32 v20, v6, v20
	s_cmp_lg_u32 s22, 0
	v_or_b32_e32 v21, v7, v21
	s_cbranch_scc1 .LBB8_1388
	s_branch .LBB8_1391
.LBB8_1389:                             ;   in Loop: Header=BB8_1338 Depth=1
	s_branch .LBB8_1392
.LBB8_1390:                             ;   in Loop: Header=BB8_1338 Depth=1
	v_mov_b32_e32 v20, 0
	v_mov_b32_e32 v21, 0
.LBB8_1391:                             ;   in Loop: Header=BB8_1338 Depth=1
	s_cbranch_execnz .LBB8_1393
.LBB8_1392:                             ;   in Loop: Header=BB8_1338 Depth=1
	global_load_dwordx2 v[20:21], v26, s[4:5]
.LBB8_1393:                             ;   in Loop: Header=BB8_1338 Depth=1
	v_readfirstlane_b32 s4, v51
	v_mov_b32_e32 v6, 0
	v_mov_b32_e32 v7, 0
	v_cmp_eq_u32_e64 s[4:5], s4, v51
	s_and_saveexec_b64 s[18:19], s[4:5]
	s_cbranch_execz .LBB8_1399
; %bb.1394:                             ;   in Loop: Header=BB8_1338 Depth=1
	global_load_dwordx2 v[24:25], v26, s[42:43] offset:24 glc
	s_waitcnt vmcnt(0)
	buffer_wbinvl1_vol
	global_load_dwordx2 v[6:7], v26, s[42:43] offset:40
	global_load_dwordx2 v[22:23], v26, s[42:43]
	s_waitcnt vmcnt(1)
	v_and_b32_e32 v6, v6, v24
	v_and_b32_e32 v7, v7, v25
	v_mul_lo_u32 v7, v7, 24
	v_mul_hi_u32 v27, v6, 24
	v_mul_lo_u32 v6, v6, 24
	v_add_u32_e32 v7, v27, v7
	s_waitcnt vmcnt(0)
	v_add_co_u32_e32 v6, vcc, v22, v6
	v_addc_co_u32_e32 v7, vcc, v23, v7, vcc
	global_load_dwordx2 v[22:23], v[6:7], off glc
	s_waitcnt vmcnt(0)
	global_atomic_cmpswap_x2 v[6:7], v26, v[22:25], s[42:43] offset:24 glc
	s_waitcnt vmcnt(0)
	buffer_wbinvl1_vol
	v_cmp_ne_u64_e32 vcc, v[6:7], v[24:25]
	s_and_saveexec_b64 s[20:21], vcc
	s_cbranch_execz .LBB8_1398
; %bb.1395:                             ;   in Loop: Header=BB8_1338 Depth=1
	s_mov_b64 s[22:23], 0
.LBB8_1396:                             ;   Parent Loop BB8_1338 Depth=1
                                        ; =>  This Inner Loop Header: Depth=2
	s_sleep 1
	global_load_dwordx2 v[22:23], v26, s[42:43] offset:40
	global_load_dwordx2 v[27:28], v26, s[42:43]
	v_mov_b32_e32 v25, v7
	v_mov_b32_e32 v24, v6
	s_waitcnt vmcnt(1)
	v_and_b32_e32 v6, v22, v24
	s_waitcnt vmcnt(0)
	v_mad_u64_u32 v[6:7], s[24:25], v6, 24, v[27:28]
	v_and_b32_e32 v22, v23, v25
	v_mad_u64_u32 v[22:23], s[24:25], v22, 24, v[7:8]
	v_mov_b32_e32 v7, v22
	global_load_dwordx2 v[22:23], v[6:7], off glc
	s_waitcnt vmcnt(0)
	global_atomic_cmpswap_x2 v[6:7], v26, v[22:25], s[42:43] offset:24 glc
	s_waitcnt vmcnt(0)
	buffer_wbinvl1_vol
	v_cmp_eq_u64_e32 vcc, v[6:7], v[24:25]
	s_or_b64 s[22:23], vcc, s[22:23]
	s_andn2_b64 exec, exec, s[22:23]
	s_cbranch_execnz .LBB8_1396
; %bb.1397:                             ;   in Loop: Header=BB8_1338 Depth=1
	s_or_b64 exec, exec, s[22:23]
.LBB8_1398:                             ;   in Loop: Header=BB8_1338 Depth=1
	s_or_b64 exec, exec, s[20:21]
.LBB8_1399:                             ;   in Loop: Header=BB8_1338 Depth=1
	s_or_b64 exec, exec, s[18:19]
	global_load_dwordx2 v[27:28], v26, s[42:43] offset:40
	global_load_dwordx4 v[22:25], v26, s[42:43]
	v_readfirstlane_b32 s18, v6
	v_readfirstlane_b32 s19, v7
	s_mov_b64 s[20:21], exec
	s_waitcnt vmcnt(1)
	v_readfirstlane_b32 s22, v27
	v_readfirstlane_b32 s23, v28
	s_and_b64 s[22:23], s[18:19], s[22:23]
	s_mul_i32 s15, s23, 24
	s_mul_hi_u32 s24, s22, 24
	s_mul_i32 s25, s22, 24
	s_add_i32 s15, s24, s15
	v_mov_b32_e32 v6, s15
	s_waitcnt vmcnt(0)
	v_add_co_u32_e32 v27, vcc, s25, v22
	v_addc_co_u32_e32 v28, vcc, v23, v6, vcc
	s_and_saveexec_b64 s[24:25], s[4:5]
	s_cbranch_execz .LBB8_1401
; %bb.1400:                             ;   in Loop: Header=BB8_1338 Depth=1
	v_mov_b32_e32 v6, s20
	v_mov_b32_e32 v7, s21
	global_store_dwordx4 v[27:28], v[6:9], off offset:8
.LBB8_1401:                             ;   in Loop: Header=BB8_1338 Depth=1
	s_or_b64 exec, exec, s[24:25]
	s_lshl_b64 s[20:21], s[22:23], 12
	v_mov_b32_e32 v6, s21
	v_add_co_u32_e32 v24, vcc, s20, v24
	v_addc_co_u32_e32 v30, vcc, v25, v6, vcc
	v_cmp_gt_u64_e64 vcc, s[10:11], 56
	v_or_b32_e32 v7, v0, v29
	s_lshl_b32 s15, s16, 2
	v_cndmask_b32_e32 v0, v7, v0, vcc
	s_add_i32 s15, s15, 28
	v_or_b32_e32 v6, 0, v1
	s_and_b32 s15, s15, 0x1e0
	v_and_b32_e32 v0, 0xffffff1f, v0
	v_cndmask_b32_e32 v1, v6, v1, vcc
	v_or_b32_e32 v0, s15, v0
	v_readfirstlane_b32 s20, v24
	v_readfirstlane_b32 s21, v30
	s_nop 4
	global_store_dwordx4 v50, v[0:3], s[20:21]
	global_store_dwordx4 v50, v[10:13], s[20:21] offset:16
	global_store_dwordx4 v50, v[14:17], s[20:21] offset:32
	;; [unrolled: 1-line block ×3, first 2 shown]
	s_and_saveexec_b64 s[20:21], s[4:5]
	s_cbranch_execz .LBB8_1409
; %bb.1402:                             ;   in Loop: Header=BB8_1338 Depth=1
	global_load_dwordx2 v[12:13], v26, s[42:43] offset:32 glc
	global_load_dwordx2 v[0:1], v26, s[42:43] offset:40
	v_mov_b32_e32 v10, s18
	v_mov_b32_e32 v11, s19
	s_waitcnt vmcnt(0)
	v_readfirstlane_b32 s22, v0
	v_readfirstlane_b32 s23, v1
	s_and_b64 s[22:23], s[22:23], s[18:19]
	s_mul_i32 s15, s23, 24
	s_mul_hi_u32 s23, s22, 24
	s_mul_i32 s22, s22, 24
	s_add_i32 s15, s23, s15
	v_mov_b32_e32 v0, s15
	v_add_co_u32_e32 v6, vcc, s22, v22
	v_addc_co_u32_e32 v7, vcc, v23, v0, vcc
	global_store_dwordx2 v[6:7], v[12:13], off
	s_waitcnt vmcnt(0)
	global_atomic_cmpswap_x2 v[2:3], v26, v[10:13], s[42:43] offset:32 glc
	s_waitcnt vmcnt(0)
	v_cmp_ne_u64_e32 vcc, v[2:3], v[12:13]
	s_and_saveexec_b64 s[22:23], vcc
	s_cbranch_execz .LBB8_1405
; %bb.1403:                             ;   in Loop: Header=BB8_1338 Depth=1
	s_mov_b64 s[24:25], 0
.LBB8_1404:                             ;   Parent Loop BB8_1338 Depth=1
                                        ; =>  This Inner Loop Header: Depth=2
	s_sleep 1
	global_store_dwordx2 v[6:7], v[2:3], off
	v_mov_b32_e32 v0, s18
	v_mov_b32_e32 v1, s19
	s_waitcnt vmcnt(0)
	global_atomic_cmpswap_x2 v[0:1], v26, v[0:3], s[42:43] offset:32 glc
	s_waitcnt vmcnt(0)
	v_cmp_eq_u64_e32 vcc, v[0:1], v[2:3]
	v_mov_b32_e32 v3, v1
	s_or_b64 s[24:25], vcc, s[24:25]
	v_mov_b32_e32 v2, v0
	s_andn2_b64 exec, exec, s[24:25]
	s_cbranch_execnz .LBB8_1404
.LBB8_1405:                             ;   in Loop: Header=BB8_1338 Depth=1
	s_or_b64 exec, exec, s[22:23]
	global_load_dwordx2 v[0:1], v26, s[42:43] offset:16
	s_mov_b64 s[24:25], exec
	v_mbcnt_lo_u32_b32 v2, s24, 0
	v_mbcnt_hi_u32_b32 v2, s25, v2
	v_cmp_eq_u32_e32 vcc, 0, v2
	s_and_saveexec_b64 s[22:23], vcc
	s_cbranch_execz .LBB8_1407
; %bb.1406:                             ;   in Loop: Header=BB8_1338 Depth=1
	s_bcnt1_i32_b64 s15, s[24:25]
	v_mov_b32_e32 v25, s15
	s_waitcnt vmcnt(0)
	global_atomic_add_x2 v[0:1], v[25:26], off offset:8
.LBB8_1407:                             ;   in Loop: Header=BB8_1338 Depth=1
	s_or_b64 exec, exec, s[22:23]
	s_waitcnt vmcnt(0)
	global_load_dwordx2 v[2:3], v[0:1], off offset:16
	s_waitcnt vmcnt(0)
	v_cmp_eq_u64_e32 vcc, 0, v[2:3]
	s_cbranch_vccnz .LBB8_1409
; %bb.1408:                             ;   in Loop: Header=BB8_1338 Depth=1
	global_load_dword v25, v[0:1], off offset:24
	s_waitcnt vmcnt(0)
	v_and_b32_e32 v0, 0xffffff, v25
	v_readfirstlane_b32 m0, v0
	global_store_dwordx2 v[2:3], v[25:26], off
	s_sendmsg sendmsg(MSG_INTERRUPT)
.LBB8_1409:                             ;   in Loop: Header=BB8_1338 Depth=1
	s_or_b64 exec, exec, s[20:21]
	v_add_co_u32_e32 v0, vcc, v24, v50
	v_addc_co_u32_e32 v1, vcc, 0, v30, vcc
	s_branch .LBB8_1413
.LBB8_1410:                             ;   in Loop: Header=BB8_1413 Depth=2
	s_or_b64 exec, exec, s[20:21]
	v_readfirstlane_b32 s15, v2
	s_cmp_eq_u32 s15, 0
	s_cbranch_scc1 .LBB8_1412
; %bb.1411:                             ;   in Loop: Header=BB8_1413 Depth=2
	s_sleep 1
	s_cbranch_execnz .LBB8_1413
	s_branch .LBB8_1415
.LBB8_1412:                             ;   in Loop: Header=BB8_1338 Depth=1
	s_branch .LBB8_1415
.LBB8_1413:                             ;   Parent Loop BB8_1338 Depth=1
                                        ; =>  This Inner Loop Header: Depth=2
	v_mov_b32_e32 v2, 1
	s_and_saveexec_b64 s[20:21], s[4:5]
	s_cbranch_execz .LBB8_1410
; %bb.1414:                             ;   in Loop: Header=BB8_1413 Depth=2
	global_load_dword v2, v[27:28], off offset:20 glc
	s_waitcnt vmcnt(0)
	buffer_wbinvl1_vol
	v_and_b32_e32 v2, 1, v2
	s_branch .LBB8_1410
.LBB8_1415:                             ;   in Loop: Header=BB8_1338 Depth=1
	global_load_dwordx4 v[0:3], v[0:1], off
	s_and_saveexec_b64 s[20:21], s[4:5]
	s_cbranch_execz .LBB8_1337
; %bb.1416:                             ;   in Loop: Header=BB8_1338 Depth=1
	global_load_dwordx2 v[2:3], v26, s[42:43] offset:40
	global_load_dwordx2 v[6:7], v26, s[42:43] offset:24 glc
	global_load_dwordx2 v[13:14], v26, s[42:43]
	v_mov_b32_e32 v11, s19
	s_waitcnt vmcnt(2)
	v_add_co_u32_e32 v12, vcc, 1, v2
	v_addc_co_u32_e32 v15, vcc, 0, v3, vcc
	v_add_co_u32_e32 v10, vcc, s18, v12
	v_addc_co_u32_e32 v11, vcc, v15, v11, vcc
	v_cmp_eq_u64_e32 vcc, 0, v[10:11]
	v_cndmask_b32_e32 v11, v11, v15, vcc
	v_cndmask_b32_e32 v10, v10, v12, vcc
	v_and_b32_e32 v3, v11, v3
	v_and_b32_e32 v2, v10, v2
	v_mul_lo_u32 v3, v3, 24
	v_mul_hi_u32 v15, v2, 24
	v_mul_lo_u32 v2, v2, 24
	s_waitcnt vmcnt(1)
	v_mov_b32_e32 v12, v6
	v_add_u32_e32 v3, v15, v3
	s_waitcnt vmcnt(0)
	v_add_co_u32_e32 v2, vcc, v13, v2
	v_addc_co_u32_e32 v3, vcc, v14, v3, vcc
	global_store_dwordx2 v[2:3], v[6:7], off
	v_mov_b32_e32 v13, v7
	s_waitcnt vmcnt(0)
	global_atomic_cmpswap_x2 v[12:13], v26, v[10:13], s[42:43] offset:24 glc
	s_waitcnt vmcnt(0)
	v_cmp_ne_u64_e32 vcc, v[12:13], v[6:7]
	s_and_b64 exec, exec, vcc
	s_cbranch_execz .LBB8_1337
; %bb.1417:                             ;   in Loop: Header=BB8_1338 Depth=1
	s_mov_b64 s[4:5], 0
.LBB8_1418:                             ;   Parent Loop BB8_1338 Depth=1
                                        ; =>  This Inner Loop Header: Depth=2
	s_sleep 1
	global_store_dwordx2 v[2:3], v[12:13], off
	s_waitcnt vmcnt(0)
	global_atomic_cmpswap_x2 v[6:7], v26, v[10:13], s[42:43] offset:24 glc
	s_waitcnt vmcnt(0)
	v_cmp_eq_u64_e32 vcc, v[6:7], v[12:13]
	v_mov_b32_e32 v13, v7
	s_or_b64 s[4:5], vcc, s[4:5]
	v_mov_b32_e32 v12, v6
	s_andn2_b64 exec, exec, s[4:5]
	s_cbranch_execnz .LBB8_1418
	s_branch .LBB8_1337
.LBB8_1419:
	s_branch .LBB8_1447
.LBB8_1420:
                                        ; implicit-def: $vgpr0_vgpr1
	s_cbranch_execz .LBB8_1447
; %bb.1421:
	v_readfirstlane_b32 s4, v51
	v_mov_b32_e32 v7, 0
	v_mov_b32_e32 v8, 0
	v_cmp_eq_u32_e64 s[4:5], s4, v51
	s_and_saveexec_b64 s[6:7], s[4:5]
	s_cbranch_execz .LBB8_1427
; %bb.1422:
	s_waitcnt vmcnt(0)
	v_mov_b32_e32 v0, 0
	global_load_dwordx2 v[9:10], v0, s[42:43] offset:24 glc
	s_waitcnt vmcnt(0)
	buffer_wbinvl1_vol
	global_load_dwordx2 v[1:2], v0, s[42:43] offset:40
	global_load_dwordx2 v[6:7], v0, s[42:43]
	s_waitcnt vmcnt(1)
	v_and_b32_e32 v1, v1, v9
	v_and_b32_e32 v2, v2, v10
	v_mul_lo_u32 v2, v2, 24
	v_mul_hi_u32 v3, v1, 24
	v_mul_lo_u32 v1, v1, 24
	v_add_u32_e32 v2, v3, v2
	s_waitcnt vmcnt(0)
	v_add_co_u32_e32 v1, vcc, v6, v1
	v_addc_co_u32_e32 v2, vcc, v7, v2, vcc
	global_load_dwordx2 v[7:8], v[1:2], off glc
	s_waitcnt vmcnt(0)
	global_atomic_cmpswap_x2 v[7:8], v0, v[7:10], s[42:43] offset:24 glc
	s_waitcnt vmcnt(0)
	buffer_wbinvl1_vol
	v_cmp_ne_u64_e32 vcc, v[7:8], v[9:10]
	s_and_saveexec_b64 s[10:11], vcc
	s_cbranch_execz .LBB8_1426
; %bb.1423:
	s_mov_b64 s[16:17], 0
.LBB8_1424:                             ; =>This Inner Loop Header: Depth=1
	s_sleep 1
	global_load_dwordx2 v[1:2], v0, s[42:43] offset:40
	global_load_dwordx2 v[11:12], v0, s[42:43]
	v_mov_b32_e32 v10, v8
	v_mov_b32_e32 v9, v7
	s_waitcnt vmcnt(1)
	v_and_b32_e32 v1, v1, v9
	s_waitcnt vmcnt(0)
	v_mad_u64_u32 v[6:7], s[18:19], v1, 24, v[11:12]
	v_and_b32_e32 v2, v2, v10
	v_mov_b32_e32 v1, v7
	v_mad_u64_u32 v[1:2], s[18:19], v2, 24, v[1:2]
	v_mov_b32_e32 v7, v1
	global_load_dwordx2 v[7:8], v[6:7], off glc
	s_waitcnt vmcnt(0)
	global_atomic_cmpswap_x2 v[7:8], v0, v[7:10], s[42:43] offset:24 glc
	s_waitcnt vmcnt(0)
	buffer_wbinvl1_vol
	v_cmp_eq_u64_e32 vcc, v[7:8], v[9:10]
	s_or_b64 s[16:17], vcc, s[16:17]
	s_andn2_b64 exec, exec, s[16:17]
	s_cbranch_execnz .LBB8_1424
; %bb.1425:
	s_or_b64 exec, exec, s[16:17]
.LBB8_1426:
	s_or_b64 exec, exec, s[10:11]
.LBB8_1427:
	s_or_b64 exec, exec, s[6:7]
	v_mov_b32_e32 v6, 0
	global_load_dwordx2 v[9:10], v6, s[42:43] offset:40
	global_load_dwordx4 v[0:3], v6, s[42:43]
	v_readfirstlane_b32 s6, v7
	v_readfirstlane_b32 s7, v8
	s_mov_b64 s[10:11], exec
	s_waitcnt vmcnt(1)
	v_readfirstlane_b32 s16, v9
	v_readfirstlane_b32 s17, v10
	s_and_b64 s[16:17], s[6:7], s[16:17]
	s_mul_i32 s15, s17, 24
	s_mul_hi_u32 s18, s16, 24
	s_mul_i32 s19, s16, 24
	s_add_i32 s15, s18, s15
	v_mov_b32_e32 v7, s15
	s_waitcnt vmcnt(0)
	v_add_co_u32_e32 v8, vcc, s19, v0
	v_addc_co_u32_e32 v9, vcc, v1, v7, vcc
	s_and_saveexec_b64 s[18:19], s[4:5]
	s_cbranch_execz .LBB8_1429
; %bb.1428:
	v_mov_b32_e32 v10, s10
	v_mov_b32_e32 v11, s11
	v_mov_b32_e32 v12, 2
	v_mov_b32_e32 v13, 1
	global_store_dwordx4 v[8:9], v[10:13], off offset:8
.LBB8_1429:
	s_or_b64 exec, exec, s[18:19]
	s_lshl_b64 s[10:11], s[16:17], 12
	v_mov_b32_e32 v7, s11
	v_add_co_u32_e32 v2, vcc, s10, v2
	v_addc_co_u32_e32 v3, vcc, v3, v7, vcc
	s_movk_i32 s10, 0xff1f
	v_and_or_b32 v4, v4, s10, 32
	v_add_co_u32_e32 v10, vcc, v2, v50
	s_mov_b32 s16, 0
	v_mov_b32_e32 v7, v6
	v_readfirstlane_b32 s10, v2
	v_readfirstlane_b32 s11, v3
	v_addc_co_u32_e32 v11, vcc, 0, v3, vcc
	s_mov_b32 s17, s16
	s_mov_b32 s18, s16
	;; [unrolled: 1-line block ×3, first 2 shown]
	s_nop 0
	global_store_dwordx4 v50, v[4:7], s[10:11]
	v_mov_b32_e32 v2, s16
	v_mov_b32_e32 v3, s17
	;; [unrolled: 1-line block ×4, first 2 shown]
	global_store_dwordx4 v50, v[2:5], s[10:11] offset:16
	global_store_dwordx4 v50, v[2:5], s[10:11] offset:32
	;; [unrolled: 1-line block ×3, first 2 shown]
	s_and_saveexec_b64 s[10:11], s[4:5]
	s_cbranch_execz .LBB8_1437
; %bb.1430:
	v_mov_b32_e32 v6, 0
	global_load_dwordx2 v[14:15], v6, s[42:43] offset:32 glc
	global_load_dwordx2 v[2:3], v6, s[42:43] offset:40
	v_mov_b32_e32 v12, s6
	v_mov_b32_e32 v13, s7
	s_waitcnt vmcnt(0)
	v_readfirstlane_b32 s16, v2
	v_readfirstlane_b32 s17, v3
	s_and_b64 s[16:17], s[16:17], s[6:7]
	s_mul_i32 s15, s17, 24
	s_mul_hi_u32 s17, s16, 24
	s_mul_i32 s16, s16, 24
	s_add_i32 s15, s17, s15
	v_mov_b32_e32 v2, s15
	v_add_co_u32_e32 v4, vcc, s16, v0
	v_addc_co_u32_e32 v5, vcc, v1, v2, vcc
	global_store_dwordx2 v[4:5], v[14:15], off
	s_waitcnt vmcnt(0)
	global_atomic_cmpswap_x2 v[2:3], v6, v[12:15], s[42:43] offset:32 glc
	s_waitcnt vmcnt(0)
	v_cmp_ne_u64_e32 vcc, v[2:3], v[14:15]
	s_and_saveexec_b64 s[16:17], vcc
	s_cbranch_execz .LBB8_1433
; %bb.1431:
	s_mov_b64 s[18:19], 0
.LBB8_1432:                             ; =>This Inner Loop Header: Depth=1
	s_sleep 1
	global_store_dwordx2 v[4:5], v[2:3], off
	v_mov_b32_e32 v0, s6
	v_mov_b32_e32 v1, s7
	s_waitcnt vmcnt(0)
	global_atomic_cmpswap_x2 v[0:1], v6, v[0:3], s[42:43] offset:32 glc
	s_waitcnt vmcnt(0)
	v_cmp_eq_u64_e32 vcc, v[0:1], v[2:3]
	v_mov_b32_e32 v3, v1
	s_or_b64 s[18:19], vcc, s[18:19]
	v_mov_b32_e32 v2, v0
	s_andn2_b64 exec, exec, s[18:19]
	s_cbranch_execnz .LBB8_1432
.LBB8_1433:
	s_or_b64 exec, exec, s[16:17]
	v_mov_b32_e32 v3, 0
	global_load_dwordx2 v[0:1], v3, s[42:43] offset:16
	s_mov_b64 s[16:17], exec
	v_mbcnt_lo_u32_b32 v2, s16, 0
	v_mbcnt_hi_u32_b32 v2, s17, v2
	v_cmp_eq_u32_e32 vcc, 0, v2
	s_and_saveexec_b64 s[18:19], vcc
	s_cbranch_execz .LBB8_1435
; %bb.1434:
	s_bcnt1_i32_b64 s15, s[16:17]
	v_mov_b32_e32 v2, s15
	s_waitcnt vmcnt(0)
	global_atomic_add_x2 v[0:1], v[2:3], off offset:8
.LBB8_1435:
	s_or_b64 exec, exec, s[18:19]
	s_waitcnt vmcnt(0)
	global_load_dwordx2 v[2:3], v[0:1], off offset:16
	s_waitcnt vmcnt(0)
	v_cmp_eq_u64_e32 vcc, 0, v[2:3]
	s_cbranch_vccnz .LBB8_1437
; %bb.1436:
	global_load_dword v0, v[0:1], off offset:24
	v_mov_b32_e32 v1, 0
	s_waitcnt vmcnt(0)
	global_store_dwordx2 v[2:3], v[0:1], off
	v_and_b32_e32 v0, 0xffffff, v0
	v_readfirstlane_b32 m0, v0
	s_sendmsg sendmsg(MSG_INTERRUPT)
.LBB8_1437:
	s_or_b64 exec, exec, s[10:11]
	s_branch .LBB8_1441
.LBB8_1438:                             ;   in Loop: Header=BB8_1441 Depth=1
	s_or_b64 exec, exec, s[10:11]
	v_readfirstlane_b32 s10, v0
	s_cmp_eq_u32 s10, 0
	s_cbranch_scc1 .LBB8_1440
; %bb.1439:                             ;   in Loop: Header=BB8_1441 Depth=1
	s_sleep 1
	s_cbranch_execnz .LBB8_1441
	s_branch .LBB8_1443
.LBB8_1440:
	s_branch .LBB8_1443
.LBB8_1441:                             ; =>This Inner Loop Header: Depth=1
	v_mov_b32_e32 v0, 1
	s_and_saveexec_b64 s[10:11], s[4:5]
	s_cbranch_execz .LBB8_1438
; %bb.1442:                             ;   in Loop: Header=BB8_1441 Depth=1
	global_load_dword v0, v[8:9], off offset:20 glc
	s_waitcnt vmcnt(0)
	buffer_wbinvl1_vol
	v_and_b32_e32 v0, 1, v0
	s_branch .LBB8_1438
.LBB8_1443:
	global_load_dwordx2 v[0:1], v[10:11], off
	s_and_saveexec_b64 s[10:11], s[4:5]
	s_cbranch_execz .LBB8_1446
; %bb.1444:
	v_mov_b32_e32 v8, 0
	global_load_dwordx2 v[4:5], v8, s[42:43] offset:40
	global_load_dwordx2 v[9:10], v8, s[42:43] offset:24 glc
	global_load_dwordx2 v[6:7], v8, s[42:43]
	v_mov_b32_e32 v3, s7
	s_mov_b64 s[4:5], 0
	s_waitcnt vmcnt(2)
	v_add_co_u32_e32 v11, vcc, 1, v4
	v_addc_co_u32_e32 v12, vcc, 0, v5, vcc
	v_add_co_u32_e32 v2, vcc, s6, v11
	v_addc_co_u32_e32 v3, vcc, v12, v3, vcc
	v_cmp_eq_u64_e32 vcc, 0, v[2:3]
	v_cndmask_b32_e32 v3, v3, v12, vcc
	v_cndmask_b32_e32 v2, v2, v11, vcc
	v_and_b32_e32 v5, v3, v5
	v_and_b32_e32 v4, v2, v4
	v_mul_lo_u32 v5, v5, 24
	v_mul_hi_u32 v11, v4, 24
	v_mul_lo_u32 v12, v4, 24
	s_waitcnt vmcnt(1)
	v_mov_b32_e32 v4, v9
	v_add_u32_e32 v5, v11, v5
	s_waitcnt vmcnt(0)
	v_add_co_u32_e32 v6, vcc, v6, v12
	v_addc_co_u32_e32 v7, vcc, v7, v5, vcc
	global_store_dwordx2 v[6:7], v[9:10], off
	v_mov_b32_e32 v5, v10
	s_waitcnt vmcnt(0)
	global_atomic_cmpswap_x2 v[4:5], v8, v[2:5], s[42:43] offset:24 glc
	s_waitcnt vmcnt(0)
	v_cmp_ne_u64_e32 vcc, v[4:5], v[9:10]
	s_and_b64 exec, exec, vcc
	s_cbranch_execz .LBB8_1446
.LBB8_1445:                             ; =>This Inner Loop Header: Depth=1
	s_sleep 1
	global_store_dwordx2 v[6:7], v[4:5], off
	s_waitcnt vmcnt(0)
	global_atomic_cmpswap_x2 v[9:10], v8, v[2:5], s[42:43] offset:24 glc
	s_waitcnt vmcnt(0)
	v_cmp_eq_u64_e32 vcc, v[9:10], v[4:5]
	v_mov_b32_e32 v4, v9
	s_or_b64 s[4:5], vcc, s[4:5]
	v_mov_b32_e32 v5, v10
	s_andn2_b64 exec, exec, s[4:5]
	s_cbranch_execnz .LBB8_1445
.LBB8_1446:
	s_or_b64 exec, exec, s[10:11]
.LBB8_1447:
	s_getpc_b64 s[6:7]
	s_add_u32 s6, s6, .str.4@rel32@lo+4
	s_addc_u32 s7, s7, .str.4@rel32@hi+12
	s_cmp_lg_u64 s[6:7], 0
	s_cbranch_scc0 .LBB8_1532
; %bb.1448:
	s_waitcnt vmcnt(0)
	v_and_b32_e32 v6, -3, v0
	v_mov_b32_e32 v7, v1
	s_mov_b64 s[10:11], 13
	v_mov_b32_e32 v26, 0
	v_mov_b32_e32 v4, 2
	;; [unrolled: 1-line block ×3, first 2 shown]
	s_branch .LBB8_1450
.LBB8_1449:                             ;   in Loop: Header=BB8_1450 Depth=1
	s_or_b64 exec, exec, s[20:21]
	s_sub_u32 s10, s10, s16
	s_subb_u32 s11, s11, s17
	s_add_u32 s6, s6, s16
	s_addc_u32 s7, s7, s17
	s_cmp_lg_u64 s[10:11], 0
	s_cbranch_scc0 .LBB8_1531
.LBB8_1450:                             ; =>This Loop Header: Depth=1
                                        ;     Child Loop BB8_1453 Depth 2
                                        ;     Child Loop BB8_1460 Depth 2
	;; [unrolled: 1-line block ×11, first 2 shown]
	v_cmp_lt_u64_e64 s[4:5], s[10:11], 56
	v_cmp_gt_u64_e64 s[18:19], s[10:11], 7
	s_and_b64 s[4:5], s[4:5], exec
	s_cselect_b32 s17, s11, 0
	s_cselect_b32 s16, s10, 56
	s_and_b64 vcc, exec, s[18:19]
	s_cbranch_vccnz .LBB8_1455
; %bb.1451:                             ;   in Loop: Header=BB8_1450 Depth=1
	s_waitcnt vmcnt(0)
	v_mov_b32_e32 v8, 0
	s_cmp_eq_u64 s[10:11], 0
	v_mov_b32_e32 v9, 0
	s_mov_b64 s[4:5], 0
	s_cbranch_scc1 .LBB8_1454
; %bb.1452:                             ;   in Loop: Header=BB8_1450 Depth=1
	v_mov_b32_e32 v8, 0
	s_lshl_b64 s[18:19], s[16:17], 3
	s_mov_b64 s[20:21], 0
	v_mov_b32_e32 v9, 0
	s_mov_b64 s[22:23], s[6:7]
.LBB8_1453:                             ;   Parent Loop BB8_1450 Depth=1
                                        ; =>  This Inner Loop Header: Depth=2
	global_load_ubyte v2, v26, s[22:23]
	s_waitcnt vmcnt(0)
	v_and_b32_e32 v25, 0xffff, v2
	v_lshlrev_b64 v[2:3], s20, v[25:26]
	s_add_u32 s20, s20, 8
	s_addc_u32 s21, s21, 0
	s_add_u32 s22, s22, 1
	s_addc_u32 s23, s23, 0
	v_or_b32_e32 v8, v2, v8
	s_cmp_lg_u32 s18, s20
	v_or_b32_e32 v9, v3, v9
	s_cbranch_scc1 .LBB8_1453
.LBB8_1454:                             ;   in Loop: Header=BB8_1450 Depth=1
	s_mov_b32 s15, 0
	s_andn2_b64 vcc, exec, s[4:5]
	s_mov_b64 s[4:5], s[6:7]
	s_cbranch_vccz .LBB8_1456
	s_branch .LBB8_1457
.LBB8_1455:                             ;   in Loop: Header=BB8_1450 Depth=1
                                        ; implicit-def: $sgpr15
	s_mov_b64 s[4:5], s[6:7]
.LBB8_1456:                             ;   in Loop: Header=BB8_1450 Depth=1
	global_load_dwordx2 v[8:9], v26, s[6:7]
	s_add_i32 s15, s16, -8
	s_add_u32 s4, s6, 8
	s_addc_u32 s5, s7, 0
.LBB8_1457:                             ;   in Loop: Header=BB8_1450 Depth=1
	s_cmp_gt_u32 s15, 7
	s_cbranch_scc1 .LBB8_1461
; %bb.1458:                             ;   in Loop: Header=BB8_1450 Depth=1
	s_cmp_eq_u32 s15, 0
	s_cbranch_scc1 .LBB8_1462
; %bb.1459:                             ;   in Loop: Header=BB8_1450 Depth=1
	v_mov_b32_e32 v10, 0
	s_mov_b64 s[18:19], 0
	v_mov_b32_e32 v11, 0
	s_mov_b64 s[20:21], 0
.LBB8_1460:                             ;   Parent Loop BB8_1450 Depth=1
                                        ; =>  This Inner Loop Header: Depth=2
	s_add_u32 s22, s4, s20
	s_addc_u32 s23, s5, s21
	global_load_ubyte v2, v26, s[22:23]
	s_add_u32 s20, s20, 1
	s_addc_u32 s21, s21, 0
	s_waitcnt vmcnt(0)
	v_and_b32_e32 v25, 0xffff, v2
	v_lshlrev_b64 v[2:3], s18, v[25:26]
	s_add_u32 s18, s18, 8
	s_addc_u32 s19, s19, 0
	v_or_b32_e32 v10, v2, v10
	s_cmp_lg_u32 s15, s20
	v_or_b32_e32 v11, v3, v11
	s_cbranch_scc1 .LBB8_1460
	s_branch .LBB8_1463
.LBB8_1461:                             ;   in Loop: Header=BB8_1450 Depth=1
                                        ; implicit-def: $vgpr10_vgpr11
                                        ; implicit-def: $sgpr22
	s_branch .LBB8_1464
.LBB8_1462:                             ;   in Loop: Header=BB8_1450 Depth=1
	v_mov_b32_e32 v10, 0
	v_mov_b32_e32 v11, 0
.LBB8_1463:                             ;   in Loop: Header=BB8_1450 Depth=1
	s_mov_b32 s22, 0
	s_cbranch_execnz .LBB8_1465
.LBB8_1464:                             ;   in Loop: Header=BB8_1450 Depth=1
	global_load_dwordx2 v[10:11], v26, s[4:5]
	s_add_i32 s22, s15, -8
	s_add_u32 s4, s4, 8
	s_addc_u32 s5, s5, 0
.LBB8_1465:                             ;   in Loop: Header=BB8_1450 Depth=1
	s_cmp_gt_u32 s22, 7
	s_cbranch_scc1 .LBB8_1469
; %bb.1466:                             ;   in Loop: Header=BB8_1450 Depth=1
	s_cmp_eq_u32 s22, 0
	s_cbranch_scc1 .LBB8_1470
; %bb.1467:                             ;   in Loop: Header=BB8_1450 Depth=1
	v_mov_b32_e32 v12, 0
	s_mov_b64 s[18:19], 0
	v_mov_b32_e32 v13, 0
	s_mov_b64 s[20:21], 0
.LBB8_1468:                             ;   Parent Loop BB8_1450 Depth=1
                                        ; =>  This Inner Loop Header: Depth=2
	s_add_u32 s24, s4, s20
	s_addc_u32 s25, s5, s21
	global_load_ubyte v2, v26, s[24:25]
	s_add_u32 s20, s20, 1
	s_addc_u32 s21, s21, 0
	s_waitcnt vmcnt(0)
	v_and_b32_e32 v25, 0xffff, v2
	v_lshlrev_b64 v[2:3], s18, v[25:26]
	s_add_u32 s18, s18, 8
	s_addc_u32 s19, s19, 0
	v_or_b32_e32 v12, v2, v12
	s_cmp_lg_u32 s22, s20
	v_or_b32_e32 v13, v3, v13
	s_cbranch_scc1 .LBB8_1468
	s_branch .LBB8_1471
.LBB8_1469:                             ;   in Loop: Header=BB8_1450 Depth=1
                                        ; implicit-def: $sgpr15
	s_branch .LBB8_1472
.LBB8_1470:                             ;   in Loop: Header=BB8_1450 Depth=1
	v_mov_b32_e32 v12, 0
	v_mov_b32_e32 v13, 0
.LBB8_1471:                             ;   in Loop: Header=BB8_1450 Depth=1
	s_mov_b32 s15, 0
	s_cbranch_execnz .LBB8_1473
.LBB8_1472:                             ;   in Loop: Header=BB8_1450 Depth=1
	global_load_dwordx2 v[12:13], v26, s[4:5]
	s_add_i32 s15, s22, -8
	s_add_u32 s4, s4, 8
	s_addc_u32 s5, s5, 0
.LBB8_1473:                             ;   in Loop: Header=BB8_1450 Depth=1
	s_cmp_gt_u32 s15, 7
	s_cbranch_scc1 .LBB8_1477
; %bb.1474:                             ;   in Loop: Header=BB8_1450 Depth=1
	s_cmp_eq_u32 s15, 0
	s_cbranch_scc1 .LBB8_1478
; %bb.1475:                             ;   in Loop: Header=BB8_1450 Depth=1
	v_mov_b32_e32 v14, 0
	s_mov_b64 s[18:19], 0
	v_mov_b32_e32 v15, 0
	s_mov_b64 s[20:21], 0
.LBB8_1476:                             ;   Parent Loop BB8_1450 Depth=1
                                        ; =>  This Inner Loop Header: Depth=2
	s_add_u32 s22, s4, s20
	s_addc_u32 s23, s5, s21
	global_load_ubyte v2, v26, s[22:23]
	s_add_u32 s20, s20, 1
	s_addc_u32 s21, s21, 0
	s_waitcnt vmcnt(0)
	v_and_b32_e32 v25, 0xffff, v2
	v_lshlrev_b64 v[2:3], s18, v[25:26]
	s_add_u32 s18, s18, 8
	s_addc_u32 s19, s19, 0
	v_or_b32_e32 v14, v2, v14
	s_cmp_lg_u32 s15, s20
	v_or_b32_e32 v15, v3, v15
	s_cbranch_scc1 .LBB8_1476
	s_branch .LBB8_1479
.LBB8_1477:                             ;   in Loop: Header=BB8_1450 Depth=1
                                        ; implicit-def: $vgpr14_vgpr15
                                        ; implicit-def: $sgpr22
	s_branch .LBB8_1480
.LBB8_1478:                             ;   in Loop: Header=BB8_1450 Depth=1
	v_mov_b32_e32 v14, 0
	v_mov_b32_e32 v15, 0
.LBB8_1479:                             ;   in Loop: Header=BB8_1450 Depth=1
	s_mov_b32 s22, 0
	s_cbranch_execnz .LBB8_1481
.LBB8_1480:                             ;   in Loop: Header=BB8_1450 Depth=1
	global_load_dwordx2 v[14:15], v26, s[4:5]
	s_add_i32 s22, s15, -8
	s_add_u32 s4, s4, 8
	s_addc_u32 s5, s5, 0
.LBB8_1481:                             ;   in Loop: Header=BB8_1450 Depth=1
	s_cmp_gt_u32 s22, 7
	s_cbranch_scc1 .LBB8_1485
; %bb.1482:                             ;   in Loop: Header=BB8_1450 Depth=1
	s_cmp_eq_u32 s22, 0
	s_cbranch_scc1 .LBB8_1486
; %bb.1483:                             ;   in Loop: Header=BB8_1450 Depth=1
	v_mov_b32_e32 v16, 0
	s_mov_b64 s[18:19], 0
	v_mov_b32_e32 v17, 0
	s_mov_b64 s[20:21], 0
.LBB8_1484:                             ;   Parent Loop BB8_1450 Depth=1
                                        ; =>  This Inner Loop Header: Depth=2
	s_add_u32 s24, s4, s20
	s_addc_u32 s25, s5, s21
	global_load_ubyte v2, v26, s[24:25]
	s_add_u32 s20, s20, 1
	s_addc_u32 s21, s21, 0
	s_waitcnt vmcnt(0)
	v_and_b32_e32 v25, 0xffff, v2
	v_lshlrev_b64 v[2:3], s18, v[25:26]
	s_add_u32 s18, s18, 8
	s_addc_u32 s19, s19, 0
	v_or_b32_e32 v16, v2, v16
	s_cmp_lg_u32 s22, s20
	v_or_b32_e32 v17, v3, v17
	s_cbranch_scc1 .LBB8_1484
	s_branch .LBB8_1487
.LBB8_1485:                             ;   in Loop: Header=BB8_1450 Depth=1
                                        ; implicit-def: $sgpr15
	s_branch .LBB8_1488
.LBB8_1486:                             ;   in Loop: Header=BB8_1450 Depth=1
	v_mov_b32_e32 v16, 0
	v_mov_b32_e32 v17, 0
.LBB8_1487:                             ;   in Loop: Header=BB8_1450 Depth=1
	s_mov_b32 s15, 0
	s_cbranch_execnz .LBB8_1489
.LBB8_1488:                             ;   in Loop: Header=BB8_1450 Depth=1
	global_load_dwordx2 v[16:17], v26, s[4:5]
	s_add_i32 s15, s22, -8
	s_add_u32 s4, s4, 8
	s_addc_u32 s5, s5, 0
.LBB8_1489:                             ;   in Loop: Header=BB8_1450 Depth=1
	s_cmp_gt_u32 s15, 7
	s_cbranch_scc1 .LBB8_1493
; %bb.1490:                             ;   in Loop: Header=BB8_1450 Depth=1
	s_cmp_eq_u32 s15, 0
	s_cbranch_scc1 .LBB8_1494
; %bb.1491:                             ;   in Loop: Header=BB8_1450 Depth=1
	v_mov_b32_e32 v18, 0
	s_mov_b64 s[18:19], 0
	v_mov_b32_e32 v19, 0
	s_mov_b64 s[20:21], 0
.LBB8_1492:                             ;   Parent Loop BB8_1450 Depth=1
                                        ; =>  This Inner Loop Header: Depth=2
	s_add_u32 s22, s4, s20
	s_addc_u32 s23, s5, s21
	global_load_ubyte v2, v26, s[22:23]
	s_add_u32 s20, s20, 1
	s_addc_u32 s21, s21, 0
	s_waitcnt vmcnt(0)
	v_and_b32_e32 v25, 0xffff, v2
	v_lshlrev_b64 v[2:3], s18, v[25:26]
	s_add_u32 s18, s18, 8
	s_addc_u32 s19, s19, 0
	v_or_b32_e32 v18, v2, v18
	s_cmp_lg_u32 s15, s20
	v_or_b32_e32 v19, v3, v19
	s_cbranch_scc1 .LBB8_1492
	s_branch .LBB8_1495
.LBB8_1493:                             ;   in Loop: Header=BB8_1450 Depth=1
                                        ; implicit-def: $vgpr18_vgpr19
                                        ; implicit-def: $sgpr22
	s_branch .LBB8_1496
.LBB8_1494:                             ;   in Loop: Header=BB8_1450 Depth=1
	v_mov_b32_e32 v18, 0
	v_mov_b32_e32 v19, 0
.LBB8_1495:                             ;   in Loop: Header=BB8_1450 Depth=1
	s_mov_b32 s22, 0
	s_cbranch_execnz .LBB8_1497
.LBB8_1496:                             ;   in Loop: Header=BB8_1450 Depth=1
	global_load_dwordx2 v[18:19], v26, s[4:5]
	s_add_i32 s22, s15, -8
	s_add_u32 s4, s4, 8
	s_addc_u32 s5, s5, 0
.LBB8_1497:                             ;   in Loop: Header=BB8_1450 Depth=1
	s_cmp_gt_u32 s22, 7
	s_cbranch_scc1 .LBB8_1501
; %bb.1498:                             ;   in Loop: Header=BB8_1450 Depth=1
	s_cmp_eq_u32 s22, 0
	s_cbranch_scc1 .LBB8_1502
; %bb.1499:                             ;   in Loop: Header=BB8_1450 Depth=1
	v_mov_b32_e32 v20, 0
	s_mov_b64 s[18:19], 0
	v_mov_b32_e32 v21, 0
	s_mov_b64 s[20:21], s[4:5]
.LBB8_1500:                             ;   Parent Loop BB8_1450 Depth=1
                                        ; =>  This Inner Loop Header: Depth=2
	global_load_ubyte v2, v26, s[20:21]
	s_add_i32 s22, s22, -1
	s_waitcnt vmcnt(0)
	v_and_b32_e32 v25, 0xffff, v2
	v_lshlrev_b64 v[2:3], s18, v[25:26]
	s_add_u32 s18, s18, 8
	s_addc_u32 s19, s19, 0
	s_add_u32 s20, s20, 1
	s_addc_u32 s21, s21, 0
	v_or_b32_e32 v20, v2, v20
	s_cmp_lg_u32 s22, 0
	v_or_b32_e32 v21, v3, v21
	s_cbranch_scc1 .LBB8_1500
	s_branch .LBB8_1503
.LBB8_1501:                             ;   in Loop: Header=BB8_1450 Depth=1
	s_branch .LBB8_1504
.LBB8_1502:                             ;   in Loop: Header=BB8_1450 Depth=1
	v_mov_b32_e32 v20, 0
	v_mov_b32_e32 v21, 0
.LBB8_1503:                             ;   in Loop: Header=BB8_1450 Depth=1
	s_cbranch_execnz .LBB8_1505
.LBB8_1504:                             ;   in Loop: Header=BB8_1450 Depth=1
	global_load_dwordx2 v[20:21], v26, s[4:5]
.LBB8_1505:                             ;   in Loop: Header=BB8_1450 Depth=1
	v_readfirstlane_b32 s4, v51
	v_mov_b32_e32 v2, 0
	v_mov_b32_e32 v3, 0
	v_cmp_eq_u32_e64 s[4:5], s4, v51
	s_and_saveexec_b64 s[18:19], s[4:5]
	s_cbranch_execz .LBB8_1511
; %bb.1506:                             ;   in Loop: Header=BB8_1450 Depth=1
	global_load_dwordx2 v[24:25], v26, s[42:43] offset:24 glc
	s_waitcnt vmcnt(0)
	buffer_wbinvl1_vol
	global_load_dwordx2 v[2:3], v26, s[42:43] offset:40
	global_load_dwordx2 v[22:23], v26, s[42:43]
	s_waitcnt vmcnt(1)
	v_and_b32_e32 v2, v2, v24
	v_and_b32_e32 v3, v3, v25
	v_mul_lo_u32 v3, v3, 24
	v_mul_hi_u32 v27, v2, 24
	v_mul_lo_u32 v2, v2, 24
	v_add_u32_e32 v3, v27, v3
	s_waitcnt vmcnt(0)
	v_add_co_u32_e32 v2, vcc, v22, v2
	v_addc_co_u32_e32 v3, vcc, v23, v3, vcc
	global_load_dwordx2 v[22:23], v[2:3], off glc
	s_waitcnt vmcnt(0)
	global_atomic_cmpswap_x2 v[2:3], v26, v[22:25], s[42:43] offset:24 glc
	s_waitcnt vmcnt(0)
	buffer_wbinvl1_vol
	v_cmp_ne_u64_e32 vcc, v[2:3], v[24:25]
	s_and_saveexec_b64 s[20:21], vcc
	s_cbranch_execz .LBB8_1510
; %bb.1507:                             ;   in Loop: Header=BB8_1450 Depth=1
	s_mov_b64 s[22:23], 0
.LBB8_1508:                             ;   Parent Loop BB8_1450 Depth=1
                                        ; =>  This Inner Loop Header: Depth=2
	s_sleep 1
	global_load_dwordx2 v[22:23], v26, s[42:43] offset:40
	global_load_dwordx2 v[27:28], v26, s[42:43]
	v_mov_b32_e32 v25, v3
	v_mov_b32_e32 v24, v2
	s_waitcnt vmcnt(1)
	v_and_b32_e32 v2, v22, v24
	s_waitcnt vmcnt(0)
	v_mad_u64_u32 v[2:3], s[24:25], v2, 24, v[27:28]
	v_and_b32_e32 v22, v23, v25
	v_mad_u64_u32 v[22:23], s[24:25], v22, 24, v[3:4]
	v_mov_b32_e32 v3, v22
	global_load_dwordx2 v[22:23], v[2:3], off glc
	s_waitcnt vmcnt(0)
	global_atomic_cmpswap_x2 v[2:3], v26, v[22:25], s[42:43] offset:24 glc
	s_waitcnt vmcnt(0)
	buffer_wbinvl1_vol
	v_cmp_eq_u64_e32 vcc, v[2:3], v[24:25]
	s_or_b64 s[22:23], vcc, s[22:23]
	s_andn2_b64 exec, exec, s[22:23]
	s_cbranch_execnz .LBB8_1508
; %bb.1509:                             ;   in Loop: Header=BB8_1450 Depth=1
	s_or_b64 exec, exec, s[22:23]
.LBB8_1510:                             ;   in Loop: Header=BB8_1450 Depth=1
	s_or_b64 exec, exec, s[20:21]
.LBB8_1511:                             ;   in Loop: Header=BB8_1450 Depth=1
	s_or_b64 exec, exec, s[18:19]
	global_load_dwordx2 v[27:28], v26, s[42:43] offset:40
	global_load_dwordx4 v[22:25], v26, s[42:43]
	v_readfirstlane_b32 s18, v2
	v_readfirstlane_b32 s19, v3
	s_mov_b64 s[20:21], exec
	s_waitcnt vmcnt(1)
	v_readfirstlane_b32 s22, v27
	v_readfirstlane_b32 s23, v28
	s_and_b64 s[22:23], s[18:19], s[22:23]
	s_mul_i32 s15, s23, 24
	s_mul_hi_u32 s24, s22, 24
	s_mul_i32 s25, s22, 24
	s_add_i32 s15, s24, s15
	v_mov_b32_e32 v2, s15
	s_waitcnt vmcnt(0)
	v_add_co_u32_e32 v27, vcc, s25, v22
	v_addc_co_u32_e32 v28, vcc, v23, v2, vcc
	s_and_saveexec_b64 s[24:25], s[4:5]
	s_cbranch_execz .LBB8_1513
; %bb.1512:                             ;   in Loop: Header=BB8_1450 Depth=1
	v_mov_b32_e32 v2, s20
	v_mov_b32_e32 v3, s21
	global_store_dwordx4 v[27:28], v[2:5], off offset:8
.LBB8_1513:                             ;   in Loop: Header=BB8_1450 Depth=1
	s_or_b64 exec, exec, s[24:25]
	s_lshl_b64 s[20:21], s[22:23], 12
	v_mov_b32_e32 v2, s21
	v_add_co_u32_e32 v24, vcc, s20, v24
	v_addc_co_u32_e32 v29, vcc, v25, v2, vcc
	v_cmp_gt_u64_e64 vcc, s[10:11], 56
	v_or_b32_e32 v2, 2, v6
	s_lshl_b32 s15, s16, 2
	v_cndmask_b32_e32 v2, v2, v6, vcc
	s_add_i32 s15, s15, 28
	s_and_b32 s15, s15, 0x1e0
	v_and_b32_e32 v2, 0xffffff1f, v2
	v_or_b32_e32 v6, s15, v2
	v_readfirstlane_b32 s20, v24
	v_readfirstlane_b32 s21, v29
	s_nop 4
	global_store_dwordx4 v50, v[6:9], s[20:21]
	global_store_dwordx4 v50, v[10:13], s[20:21] offset:16
	global_store_dwordx4 v50, v[14:17], s[20:21] offset:32
	;; [unrolled: 1-line block ×3, first 2 shown]
	s_and_saveexec_b64 s[20:21], s[4:5]
	s_cbranch_execz .LBB8_1521
; %bb.1514:                             ;   in Loop: Header=BB8_1450 Depth=1
	global_load_dwordx2 v[10:11], v26, s[42:43] offset:32 glc
	global_load_dwordx2 v[2:3], v26, s[42:43] offset:40
	v_mov_b32_e32 v8, s18
	v_mov_b32_e32 v9, s19
	s_waitcnt vmcnt(0)
	v_readfirstlane_b32 s22, v2
	v_readfirstlane_b32 s23, v3
	s_and_b64 s[22:23], s[22:23], s[18:19]
	s_mul_i32 s15, s23, 24
	s_mul_hi_u32 s23, s22, 24
	s_mul_i32 s22, s22, 24
	s_add_i32 s15, s23, s15
	v_mov_b32_e32 v3, s15
	v_add_co_u32_e32 v2, vcc, s22, v22
	v_addc_co_u32_e32 v3, vcc, v23, v3, vcc
	global_store_dwordx2 v[2:3], v[10:11], off
	s_waitcnt vmcnt(0)
	global_atomic_cmpswap_x2 v[8:9], v26, v[8:11], s[42:43] offset:32 glc
	s_waitcnt vmcnt(0)
	v_cmp_ne_u64_e32 vcc, v[8:9], v[10:11]
	s_and_saveexec_b64 s[22:23], vcc
	s_cbranch_execz .LBB8_1517
; %bb.1515:                             ;   in Loop: Header=BB8_1450 Depth=1
	s_mov_b64 s[24:25], 0
.LBB8_1516:                             ;   Parent Loop BB8_1450 Depth=1
                                        ; =>  This Inner Loop Header: Depth=2
	s_sleep 1
	global_store_dwordx2 v[2:3], v[8:9], off
	v_mov_b32_e32 v6, s18
	v_mov_b32_e32 v7, s19
	s_waitcnt vmcnt(0)
	global_atomic_cmpswap_x2 v[6:7], v26, v[6:9], s[42:43] offset:32 glc
	s_waitcnt vmcnt(0)
	v_cmp_eq_u64_e32 vcc, v[6:7], v[8:9]
	v_mov_b32_e32 v9, v7
	s_or_b64 s[24:25], vcc, s[24:25]
	v_mov_b32_e32 v8, v6
	s_andn2_b64 exec, exec, s[24:25]
	s_cbranch_execnz .LBB8_1516
.LBB8_1517:                             ;   in Loop: Header=BB8_1450 Depth=1
	s_or_b64 exec, exec, s[22:23]
	global_load_dwordx2 v[2:3], v26, s[42:43] offset:16
	s_mov_b64 s[24:25], exec
	v_mbcnt_lo_u32_b32 v6, s24, 0
	v_mbcnt_hi_u32_b32 v6, s25, v6
	v_cmp_eq_u32_e32 vcc, 0, v6
	s_and_saveexec_b64 s[22:23], vcc
	s_cbranch_execz .LBB8_1519
; %bb.1518:                             ;   in Loop: Header=BB8_1450 Depth=1
	s_bcnt1_i32_b64 s15, s[24:25]
	v_mov_b32_e32 v25, s15
	s_waitcnt vmcnt(0)
	global_atomic_add_x2 v[2:3], v[25:26], off offset:8
.LBB8_1519:                             ;   in Loop: Header=BB8_1450 Depth=1
	s_or_b64 exec, exec, s[22:23]
	s_waitcnt vmcnt(0)
	global_load_dwordx2 v[6:7], v[2:3], off offset:16
	s_waitcnt vmcnt(0)
	v_cmp_eq_u64_e32 vcc, 0, v[6:7]
	s_cbranch_vccnz .LBB8_1521
; %bb.1520:                             ;   in Loop: Header=BB8_1450 Depth=1
	global_load_dword v25, v[2:3], off offset:24
	s_waitcnt vmcnt(0)
	v_and_b32_e32 v2, 0xffffff, v25
	v_readfirstlane_b32 m0, v2
	global_store_dwordx2 v[6:7], v[25:26], off
	s_sendmsg sendmsg(MSG_INTERRUPT)
.LBB8_1521:                             ;   in Loop: Header=BB8_1450 Depth=1
	s_or_b64 exec, exec, s[20:21]
	v_add_co_u32_e32 v2, vcc, v24, v50
	v_addc_co_u32_e32 v3, vcc, 0, v29, vcc
	s_branch .LBB8_1525
.LBB8_1522:                             ;   in Loop: Header=BB8_1525 Depth=2
	s_or_b64 exec, exec, s[20:21]
	v_readfirstlane_b32 s15, v6
	s_cmp_eq_u32 s15, 0
	s_cbranch_scc1 .LBB8_1524
; %bb.1523:                             ;   in Loop: Header=BB8_1525 Depth=2
	s_sleep 1
	s_cbranch_execnz .LBB8_1525
	s_branch .LBB8_1527
.LBB8_1524:                             ;   in Loop: Header=BB8_1450 Depth=1
	s_branch .LBB8_1527
.LBB8_1525:                             ;   Parent Loop BB8_1450 Depth=1
                                        ; =>  This Inner Loop Header: Depth=2
	v_mov_b32_e32 v6, 1
	s_and_saveexec_b64 s[20:21], s[4:5]
	s_cbranch_execz .LBB8_1522
; %bb.1526:                             ;   in Loop: Header=BB8_1525 Depth=2
	global_load_dword v6, v[27:28], off offset:20 glc
	s_waitcnt vmcnt(0)
	buffer_wbinvl1_vol
	v_and_b32_e32 v6, 1, v6
	s_branch .LBB8_1522
.LBB8_1527:                             ;   in Loop: Header=BB8_1450 Depth=1
	global_load_dwordx4 v[6:9], v[2:3], off
	s_and_saveexec_b64 s[20:21], s[4:5]
	s_cbranch_execz .LBB8_1449
; %bb.1528:                             ;   in Loop: Header=BB8_1450 Depth=1
	global_load_dwordx2 v[2:3], v26, s[42:43] offset:40
	global_load_dwordx2 v[12:13], v26, s[42:43] offset:24 glc
	global_load_dwordx2 v[14:15], v26, s[42:43]
	s_waitcnt vmcnt(3)
	v_mov_b32_e32 v9, s19
	s_waitcnt vmcnt(2)
	v_add_co_u32_e32 v10, vcc, 1, v2
	v_addc_co_u32_e32 v11, vcc, 0, v3, vcc
	v_add_co_u32_e32 v8, vcc, s18, v10
	v_addc_co_u32_e32 v9, vcc, v11, v9, vcc
	v_cmp_eq_u64_e32 vcc, 0, v[8:9]
	v_cndmask_b32_e32 v9, v9, v11, vcc
	v_cndmask_b32_e32 v8, v8, v10, vcc
	v_and_b32_e32 v3, v9, v3
	v_and_b32_e32 v2, v8, v2
	v_mul_lo_u32 v3, v3, 24
	v_mul_hi_u32 v11, v2, 24
	v_mul_lo_u32 v2, v2, 24
	s_waitcnt vmcnt(1)
	v_mov_b32_e32 v10, v12
	v_add_u32_e32 v3, v11, v3
	s_waitcnt vmcnt(0)
	v_add_co_u32_e32 v2, vcc, v14, v2
	v_addc_co_u32_e32 v3, vcc, v15, v3, vcc
	global_store_dwordx2 v[2:3], v[12:13], off
	v_mov_b32_e32 v11, v13
	s_waitcnt vmcnt(0)
	global_atomic_cmpswap_x2 v[10:11], v26, v[8:11], s[42:43] offset:24 glc
	s_waitcnt vmcnt(0)
	v_cmp_ne_u64_e32 vcc, v[10:11], v[12:13]
	s_and_b64 exec, exec, vcc
	s_cbranch_execz .LBB8_1449
; %bb.1529:                             ;   in Loop: Header=BB8_1450 Depth=1
	s_mov_b64 s[4:5], 0
.LBB8_1530:                             ;   Parent Loop BB8_1450 Depth=1
                                        ; =>  This Inner Loop Header: Depth=2
	s_sleep 1
	global_store_dwordx2 v[2:3], v[10:11], off
	s_waitcnt vmcnt(0)
	global_atomic_cmpswap_x2 v[12:13], v26, v[8:11], s[42:43] offset:24 glc
	s_waitcnt vmcnt(0)
	v_cmp_eq_u64_e32 vcc, v[12:13], v[10:11]
	v_mov_b32_e32 v10, v12
	s_or_b64 s[4:5], vcc, s[4:5]
	v_mov_b32_e32 v11, v13
	s_andn2_b64 exec, exec, s[4:5]
	s_cbranch_execnz .LBB8_1530
	s_branch .LBB8_1449
.LBB8_1531:
	s_mov_b64 s[4:5], 0
	s_branch .LBB8_1533
.LBB8_1532:
	s_mov_b64 s[4:5], -1
.LBB8_1533:
	s_mov_b32 s46, s12
	s_mov_b32 s47, s13
	;; [unrolled: 1-line block ×3, first 2 shown]
	s_and_b64 vcc, exec, s[4:5]
	s_cbranch_vccz .LBB8_1560
; %bb.1534:
	v_readfirstlane_b32 s4, v51
	s_waitcnt vmcnt(0)
	v_mov_b32_e32 v8, 0
	v_mov_b32_e32 v9, 0
	v_cmp_eq_u32_e64 s[4:5], s4, v51
	s_and_saveexec_b64 s[6:7], s[4:5]
	s_cbranch_execz .LBB8_1540
; %bb.1535:
	v_mov_b32_e32 v2, 0
	global_load_dwordx2 v[5:6], v2, s[42:43] offset:24 glc
	s_waitcnt vmcnt(0)
	buffer_wbinvl1_vol
	global_load_dwordx2 v[3:4], v2, s[42:43] offset:40
	global_load_dwordx2 v[7:8], v2, s[42:43]
	s_waitcnt vmcnt(1)
	v_and_b32_e32 v3, v3, v5
	v_and_b32_e32 v4, v4, v6
	v_mul_lo_u32 v4, v4, 24
	v_mul_hi_u32 v9, v3, 24
	v_mul_lo_u32 v3, v3, 24
	v_add_u32_e32 v4, v9, v4
	s_waitcnt vmcnt(0)
	v_add_co_u32_e32 v3, vcc, v7, v3
	v_addc_co_u32_e32 v4, vcc, v8, v4, vcc
	global_load_dwordx2 v[3:4], v[3:4], off glc
	s_waitcnt vmcnt(0)
	global_atomic_cmpswap_x2 v[8:9], v2, v[3:6], s[42:43] offset:24 glc
	s_waitcnt vmcnt(0)
	buffer_wbinvl1_vol
	v_cmp_ne_u64_e32 vcc, v[8:9], v[5:6]
	s_and_saveexec_b64 s[10:11], vcc
	s_cbranch_execz .LBB8_1539
; %bb.1536:
	s_mov_b64 s[12:13], 0
.LBB8_1537:                             ; =>This Inner Loop Header: Depth=1
	s_sleep 1
	global_load_dwordx2 v[3:4], v2, s[42:43] offset:40
	global_load_dwordx2 v[10:11], v2, s[42:43]
	v_mov_b32_e32 v5, v8
	v_mov_b32_e32 v6, v9
	s_waitcnt vmcnt(1)
	v_and_b32_e32 v3, v3, v5
	s_waitcnt vmcnt(0)
	v_mad_u64_u32 v[7:8], s[14:15], v3, 24, v[10:11]
	v_and_b32_e32 v4, v4, v6
	v_mov_b32_e32 v3, v8
	v_mad_u64_u32 v[3:4], s[14:15], v4, 24, v[3:4]
	v_mov_b32_e32 v8, v3
	global_load_dwordx2 v[3:4], v[7:8], off glc
	s_waitcnt vmcnt(0)
	global_atomic_cmpswap_x2 v[8:9], v2, v[3:6], s[42:43] offset:24 glc
	s_waitcnt vmcnt(0)
	buffer_wbinvl1_vol
	v_cmp_eq_u64_e32 vcc, v[8:9], v[5:6]
	s_or_b64 s[12:13], vcc, s[12:13]
	s_andn2_b64 exec, exec, s[12:13]
	s_cbranch_execnz .LBB8_1537
; %bb.1538:
	s_or_b64 exec, exec, s[12:13]
.LBB8_1539:
	s_or_b64 exec, exec, s[10:11]
.LBB8_1540:
	s_or_b64 exec, exec, s[6:7]
	v_mov_b32_e32 v2, 0
	global_load_dwordx2 v[10:11], v2, s[42:43] offset:40
	global_load_dwordx4 v[4:7], v2, s[42:43]
	v_readfirstlane_b32 s6, v8
	v_readfirstlane_b32 s7, v9
	s_mov_b64 s[10:11], exec
	s_waitcnt vmcnt(1)
	v_readfirstlane_b32 s12, v10
	v_readfirstlane_b32 s13, v11
	s_and_b64 s[12:13], s[6:7], s[12:13]
	s_mul_i32 s14, s13, 24
	s_mul_hi_u32 s15, s12, 24
	s_mul_i32 s16, s12, 24
	s_add_i32 s14, s15, s14
	v_mov_b32_e32 v3, s14
	s_waitcnt vmcnt(0)
	v_add_co_u32_e32 v8, vcc, s16, v4
	v_addc_co_u32_e32 v9, vcc, v5, v3, vcc
	s_and_saveexec_b64 s[14:15], s[4:5]
	s_cbranch_execz .LBB8_1542
; %bb.1541:
	v_mov_b32_e32 v10, s10
	v_mov_b32_e32 v11, s11
	;; [unrolled: 1-line block ×4, first 2 shown]
	global_store_dwordx4 v[8:9], v[10:13], off offset:8
.LBB8_1542:
	s_or_b64 exec, exec, s[14:15]
	s_lshl_b64 s[10:11], s[12:13], 12
	v_mov_b32_e32 v3, s11
	v_add_co_u32_e32 v6, vcc, s10, v6
	v_addc_co_u32_e32 v7, vcc, v7, v3, vcc
	s_movk_i32 s10, 0xff1d
	v_and_or_b32 v0, v0, s10, 34
	s_mov_b32 s12, 0
	v_mov_b32_e32 v3, v2
	v_readfirstlane_b32 s10, v6
	v_readfirstlane_b32 s11, v7
	s_mov_b32 s13, s12
	s_mov_b32 s14, s12
	;; [unrolled: 1-line block ×3, first 2 shown]
	s_nop 1
	global_store_dwordx4 v50, v[0:3], s[10:11]
	s_nop 0
	v_mov_b32_e32 v0, s12
	v_mov_b32_e32 v1, s13
	;; [unrolled: 1-line block ×4, first 2 shown]
	global_store_dwordx4 v50, v[0:3], s[10:11] offset:16
	global_store_dwordx4 v50, v[0:3], s[10:11] offset:32
	;; [unrolled: 1-line block ×3, first 2 shown]
	s_and_saveexec_b64 s[10:11], s[4:5]
	s_cbranch_execz .LBB8_1550
; %bb.1543:
	v_mov_b32_e32 v6, 0
	global_load_dwordx2 v[12:13], v6, s[42:43] offset:32 glc
	global_load_dwordx2 v[0:1], v6, s[42:43] offset:40
	v_mov_b32_e32 v10, s6
	v_mov_b32_e32 v11, s7
	s_waitcnt vmcnt(0)
	v_readfirstlane_b32 s12, v0
	v_readfirstlane_b32 s13, v1
	s_and_b64 s[12:13], s[12:13], s[6:7]
	s_mul_i32 s13, s13, 24
	s_mul_hi_u32 s14, s12, 24
	s_mul_i32 s12, s12, 24
	s_add_i32 s13, s14, s13
	v_mov_b32_e32 v0, s13
	v_add_co_u32_e32 v4, vcc, s12, v4
	v_addc_co_u32_e32 v5, vcc, v5, v0, vcc
	global_store_dwordx2 v[4:5], v[12:13], off
	s_waitcnt vmcnt(0)
	global_atomic_cmpswap_x2 v[2:3], v6, v[10:13], s[42:43] offset:32 glc
	s_waitcnt vmcnt(0)
	v_cmp_ne_u64_e32 vcc, v[2:3], v[12:13]
	s_and_saveexec_b64 s[12:13], vcc
	s_cbranch_execz .LBB8_1546
; %bb.1544:
	s_mov_b64 s[14:15], 0
.LBB8_1545:                             ; =>This Inner Loop Header: Depth=1
	s_sleep 1
	global_store_dwordx2 v[4:5], v[2:3], off
	v_mov_b32_e32 v0, s6
	v_mov_b32_e32 v1, s7
	s_waitcnt vmcnt(0)
	global_atomic_cmpswap_x2 v[0:1], v6, v[0:3], s[42:43] offset:32 glc
	s_waitcnt vmcnt(0)
	v_cmp_eq_u64_e32 vcc, v[0:1], v[2:3]
	v_mov_b32_e32 v3, v1
	s_or_b64 s[14:15], vcc, s[14:15]
	v_mov_b32_e32 v2, v0
	s_andn2_b64 exec, exec, s[14:15]
	s_cbranch_execnz .LBB8_1545
.LBB8_1546:
	s_or_b64 exec, exec, s[12:13]
	v_mov_b32_e32 v3, 0
	global_load_dwordx2 v[0:1], v3, s[42:43] offset:16
	s_mov_b64 s[12:13], exec
	v_mbcnt_lo_u32_b32 v2, s12, 0
	v_mbcnt_hi_u32_b32 v2, s13, v2
	v_cmp_eq_u32_e32 vcc, 0, v2
	s_and_saveexec_b64 s[14:15], vcc
	s_cbranch_execz .LBB8_1548
; %bb.1547:
	s_bcnt1_i32_b64 s12, s[12:13]
	v_mov_b32_e32 v2, s12
	s_waitcnt vmcnt(0)
	global_atomic_add_x2 v[0:1], v[2:3], off offset:8
.LBB8_1548:
	s_or_b64 exec, exec, s[14:15]
	s_waitcnt vmcnt(0)
	global_load_dwordx2 v[2:3], v[0:1], off offset:16
	s_waitcnt vmcnt(0)
	v_cmp_eq_u64_e32 vcc, 0, v[2:3]
	s_cbranch_vccnz .LBB8_1550
; %bb.1549:
	global_load_dword v0, v[0:1], off offset:24
	v_mov_b32_e32 v1, 0
	s_waitcnt vmcnt(0)
	global_store_dwordx2 v[2:3], v[0:1], off
	v_and_b32_e32 v0, 0xffffff, v0
	v_readfirstlane_b32 m0, v0
	s_sendmsg sendmsg(MSG_INTERRUPT)
.LBB8_1550:
	s_or_b64 exec, exec, s[10:11]
	s_branch .LBB8_1554
.LBB8_1551:                             ;   in Loop: Header=BB8_1554 Depth=1
	s_or_b64 exec, exec, s[10:11]
	v_readfirstlane_b32 s10, v0
	s_cmp_eq_u32 s10, 0
	s_cbranch_scc1 .LBB8_1553
; %bb.1552:                             ;   in Loop: Header=BB8_1554 Depth=1
	s_sleep 1
	s_cbranch_execnz .LBB8_1554
	s_branch .LBB8_1556
.LBB8_1553:
	s_branch .LBB8_1556
.LBB8_1554:                             ; =>This Inner Loop Header: Depth=1
	v_mov_b32_e32 v0, 1
	s_and_saveexec_b64 s[10:11], s[4:5]
	s_cbranch_execz .LBB8_1551
; %bb.1555:                             ;   in Loop: Header=BB8_1554 Depth=1
	global_load_dword v0, v[8:9], off offset:20 glc
	s_waitcnt vmcnt(0)
	buffer_wbinvl1_vol
	v_and_b32_e32 v0, 1, v0
	s_branch .LBB8_1551
.LBB8_1556:
	s_and_saveexec_b64 s[10:11], s[4:5]
	s_cbranch_execz .LBB8_1559
; %bb.1557:
	v_mov_b32_e32 v6, 0
	global_load_dwordx2 v[2:3], v6, s[42:43] offset:40
	global_load_dwordx2 v[7:8], v6, s[42:43] offset:24 glc
	global_load_dwordx2 v[4:5], v6, s[42:43]
	v_mov_b32_e32 v1, s7
	s_mov_b64 s[4:5], 0
	s_waitcnt vmcnt(2)
	v_add_co_u32_e32 v9, vcc, 1, v2
	v_addc_co_u32_e32 v10, vcc, 0, v3, vcc
	v_add_co_u32_e32 v0, vcc, s6, v9
	v_addc_co_u32_e32 v1, vcc, v10, v1, vcc
	v_cmp_eq_u64_e32 vcc, 0, v[0:1]
	v_cndmask_b32_e32 v1, v1, v10, vcc
	v_cndmask_b32_e32 v0, v0, v9, vcc
	v_and_b32_e32 v3, v1, v3
	v_and_b32_e32 v2, v0, v2
	v_mul_lo_u32 v3, v3, 24
	v_mul_hi_u32 v9, v2, 24
	v_mul_lo_u32 v10, v2, 24
	s_waitcnt vmcnt(1)
	v_mov_b32_e32 v2, v7
	v_add_u32_e32 v3, v9, v3
	s_waitcnt vmcnt(0)
	v_add_co_u32_e32 v4, vcc, v4, v10
	v_addc_co_u32_e32 v5, vcc, v5, v3, vcc
	global_store_dwordx2 v[4:5], v[7:8], off
	v_mov_b32_e32 v3, v8
	s_waitcnt vmcnt(0)
	global_atomic_cmpswap_x2 v[2:3], v6, v[0:3], s[42:43] offset:24 glc
	s_waitcnt vmcnt(0)
	v_cmp_ne_u64_e32 vcc, v[2:3], v[7:8]
	s_and_b64 exec, exec, vcc
	s_cbranch_execz .LBB8_1559
.LBB8_1558:                             ; =>This Inner Loop Header: Depth=1
	s_sleep 1
	global_store_dwordx2 v[4:5], v[2:3], off
	s_waitcnt vmcnt(0)
	global_atomic_cmpswap_x2 v[7:8], v6, v[0:3], s[42:43] offset:24 glc
	s_waitcnt vmcnt(0)
	v_cmp_eq_u64_e32 vcc, v[7:8], v[2:3]
	v_mov_b32_e32 v2, v7
	s_or_b64 s[4:5], vcc, s[4:5]
	v_mov_b32_e32 v3, v8
	s_andn2_b64 exec, exec, s[4:5]
	s_cbranch_execnz .LBB8_1558
.LBB8_1559:
	s_or_b64 exec, exec, s[10:11]
.LBB8_1560:
	s_getpc_b64 s[4:5]
	s_add_u32 s4, s4, .str.25@rel32@lo+4
	s_addc_u32 s5, s5, .str.25@rel32@hi+12
	s_waitcnt vmcnt(0)
	v_mov_b32_e32 v0, s4
	v_mov_b32_e32 v1, s5
	s_getpc_b64 s[50:51]
	s_add_u32 s50, s50, _ZNK8migraphx13basic_printerIZNS_4coutEvEUlT_E_ElsEPKc@rel32@lo+4
	s_addc_u32 s51, s51, _ZNK8migraphx13basic_printerIZNS_4coutEvEUlT_E_ElsEPKc@rel32@hi+12
	s_mov_b64 s[36:37], s[8:9]
	s_swappc_b64 s[30:31], s[50:51]
	s_getpc_b64 s[4:5]
	s_add_u32 s4, s4, .str.5@rel32@lo+4
	s_addc_u32 s5, s5, .str.5@rel32@hi+12
	s_mov_b64 s[8:9], s[36:37]
	v_mov_b32_e32 v0, s4
	v_mov_b32_e32 v1, s5
	s_swappc_b64 s[30:31], s[50:51]
	s_mov_b64 s[8:9], s[36:37]
	v_mov_b32_e32 v0, v36
	v_mov_b32_e32 v1, v37
	s_getpc_b64 s[4:5]
	s_add_u32 s4, s4, _ZN8migraphx4testlsIKNS_13basic_printerIZNS_4coutEvEUlT_E_EEEERS3_S7_RKNS0_10expressionINS0_14lhs_expressionINS_17integral_constantIjLj1EEENS0_3nopEEEiNS0_5equalEEE@rel32@lo+4
	s_addc_u32 s5, s5, _ZN8migraphx4testlsIKNS_13basic_printerIZNS_4coutEvEUlT_E_EEEERS3_S7_RKNS0_10expressionINS0_14lhs_expressionINS_17integral_constantIjLj1EEENS0_3nopEEEiNS0_5equalEEE@rel32@hi+12
	s_swappc_b64 s[30:31], s[4:5]
	s_getpc_b64 s[4:5]
	s_add_u32 s4, s4, .str.6@rel32@lo+4
	s_addc_u32 s5, s5, .str.6@rel32@hi+12
	s_mov_b64 s[8:9], s[36:37]
	v_mov_b32_e32 v0, s4
	v_mov_b32_e32 v1, s5
	s_mov_b64 s[24:25], s[36:37]
	s_swappc_b64 s[30:31], s[50:51]
	v_readfirstlane_b32 s4, v51
	v_mov_b32_e32 v5, 0
	v_mov_b32_e32 v6, 0
	v_cmp_eq_u32_e64 s[4:5], s4, v51
	s_and_saveexec_b64 s[6:7], s[4:5]
	s_mov_b32 s14, s48
	s_mov_b32 s13, s47
	;; [unrolled: 1-line block ×3, first 2 shown]
	s_cbranch_execz .LBB8_1566
; %bb.1561:
	v_mov_b32_e32 v0, 0
	global_load_dwordx2 v[3:4], v0, s[42:43] offset:24 glc
	s_waitcnt vmcnt(0)
	buffer_wbinvl1_vol
	global_load_dwordx2 v[1:2], v0, s[42:43] offset:40
	global_load_dwordx2 v[5:6], v0, s[42:43]
	s_waitcnt vmcnt(1)
	v_and_b32_e32 v1, v1, v3
	v_and_b32_e32 v2, v2, v4
	v_mul_lo_u32 v2, v2, 24
	v_mul_hi_u32 v7, v1, 24
	v_mul_lo_u32 v1, v1, 24
	v_add_u32_e32 v2, v7, v2
	s_waitcnt vmcnt(0)
	v_add_co_u32_e32 v1, vcc, v5, v1
	v_addc_co_u32_e32 v2, vcc, v6, v2, vcc
	global_load_dwordx2 v[1:2], v[1:2], off glc
	s_waitcnt vmcnt(0)
	global_atomic_cmpswap_x2 v[5:6], v0, v[1:4], s[42:43] offset:24 glc
	s_waitcnt vmcnt(0)
	buffer_wbinvl1_vol
	v_cmp_ne_u64_e32 vcc, v[5:6], v[3:4]
	s_and_saveexec_b64 s[8:9], vcc
	s_cbranch_execz .LBB8_1565
; %bb.1562:
	s_mov_b64 s[10:11], 0
.LBB8_1563:                             ; =>This Inner Loop Header: Depth=1
	s_sleep 1
	global_load_dwordx2 v[1:2], v0, s[42:43] offset:40
	global_load_dwordx2 v[7:8], v0, s[42:43]
	v_mov_b32_e32 v3, v5
	v_mov_b32_e32 v4, v6
	s_waitcnt vmcnt(1)
	v_and_b32_e32 v1, v1, v3
	s_waitcnt vmcnt(0)
	v_mad_u64_u32 v[5:6], s[16:17], v1, 24, v[7:8]
	v_and_b32_e32 v2, v2, v4
	v_mov_b32_e32 v1, v6
	v_mad_u64_u32 v[1:2], s[16:17], v2, 24, v[1:2]
	v_mov_b32_e32 v6, v1
	global_load_dwordx2 v[1:2], v[5:6], off glc
	s_waitcnt vmcnt(0)
	global_atomic_cmpswap_x2 v[5:6], v0, v[1:4], s[42:43] offset:24 glc
	s_waitcnt vmcnt(0)
	buffer_wbinvl1_vol
	v_cmp_eq_u64_e32 vcc, v[5:6], v[3:4]
	s_or_b64 s[10:11], vcc, s[10:11]
	s_andn2_b64 exec, exec, s[10:11]
	s_cbranch_execnz .LBB8_1563
; %bb.1564:
	s_or_b64 exec, exec, s[10:11]
.LBB8_1565:
	s_or_b64 exec, exec, s[8:9]
.LBB8_1566:
	s_or_b64 exec, exec, s[6:7]
	v_mov_b32_e32 v4, 0
	global_load_dwordx2 v[7:8], v4, s[42:43] offset:40
	global_load_dwordx4 v[0:3], v4, s[42:43]
	v_readfirstlane_b32 s6, v5
	v_readfirstlane_b32 s7, v6
	s_mov_b64 s[8:9], exec
	s_waitcnt vmcnt(1)
	v_readfirstlane_b32 s10, v7
	v_readfirstlane_b32 s11, v8
	s_and_b64 s[10:11], s[6:7], s[10:11]
	s_mul_i32 s15, s11, 24
	s_mul_hi_u32 s16, s10, 24
	s_mul_i32 s17, s10, 24
	s_add_i32 s15, s16, s15
	v_mov_b32_e32 v5, s15
	s_waitcnt vmcnt(0)
	v_add_co_u32_e32 v7, vcc, s17, v0
	v_addc_co_u32_e32 v8, vcc, v1, v5, vcc
	s_and_saveexec_b64 s[16:17], s[4:5]
	s_cbranch_execz .LBB8_1568
; %bb.1567:
	v_mov_b32_e32 v10, s9
	v_mov_b32_e32 v9, s8
	;; [unrolled: 1-line block ×4, first 2 shown]
	global_store_dwordx4 v[7:8], v[9:12], off offset:8
.LBB8_1568:
	s_or_b64 exec, exec, s[16:17]
	s_lshl_b64 s[8:9], s[10:11], 12
	v_mov_b32_e32 v5, s9
	v_add_co_u32_e32 v2, vcc, s8, v2
	v_addc_co_u32_e32 v11, vcc, v3, v5, vcc
	s_mov_b32 s8, 0
	v_mov_b32_e32 v3, 33
	v_mov_b32_e32 v5, v4
	;; [unrolled: 1-line block ×3, first 2 shown]
	v_readfirstlane_b32 s16, v2
	v_readfirstlane_b32 s17, v11
	v_add_co_u32_e32 v9, vcc, v2, v50
	s_mov_b32 s9, s8
	s_mov_b32 s10, s8
	;; [unrolled: 1-line block ×3, first 2 shown]
	s_nop 0
	global_store_dwordx4 v50, v[3:6], s[16:17]
	v_mov_b32_e32 v2, s8
	v_addc_co_u32_e32 v10, vcc, 0, v11, vcc
	v_mov_b32_e32 v3, s9
	v_mov_b32_e32 v4, s10
	v_mov_b32_e32 v5, s11
	global_store_dwordx4 v50, v[2:5], s[16:17] offset:16
	global_store_dwordx4 v50, v[2:5], s[16:17] offset:32
	global_store_dwordx4 v50, v[2:5], s[16:17] offset:48
	s_and_saveexec_b64 s[10:11], s[4:5]
	s_mov_b64 s[8:9], s[24:25]
	s_cbranch_execz .LBB8_1576
; %bb.1569:
	v_mov_b32_e32 v6, 0
	global_load_dwordx2 v[13:14], v6, s[42:43] offset:32 glc
	global_load_dwordx2 v[2:3], v6, s[42:43] offset:40
	v_mov_b32_e32 v11, s6
	v_mov_b32_e32 v12, s7
	s_waitcnt vmcnt(0)
	v_readfirstlane_b32 s16, v2
	v_readfirstlane_b32 s17, v3
	s_and_b64 s[16:17], s[16:17], s[6:7]
	s_mul_i32 s15, s17, 24
	s_mul_hi_u32 s17, s16, 24
	s_mul_i32 s16, s16, 24
	s_add_i32 s15, s17, s15
	v_mov_b32_e32 v2, s15
	v_add_co_u32_e32 v4, vcc, s16, v0
	v_addc_co_u32_e32 v5, vcc, v1, v2, vcc
	global_store_dwordx2 v[4:5], v[13:14], off
	s_waitcnt vmcnt(0)
	global_atomic_cmpswap_x2 v[2:3], v6, v[11:14], s[42:43] offset:32 glc
	s_waitcnt vmcnt(0)
	v_cmp_ne_u64_e32 vcc, v[2:3], v[13:14]
	s_and_saveexec_b64 s[16:17], vcc
	s_cbranch_execz .LBB8_1572
; %bb.1570:
	s_mov_b64 s[18:19], 0
.LBB8_1571:                             ; =>This Inner Loop Header: Depth=1
	s_sleep 1
	global_store_dwordx2 v[4:5], v[2:3], off
	v_mov_b32_e32 v0, s6
	v_mov_b32_e32 v1, s7
	s_waitcnt vmcnt(0)
	global_atomic_cmpswap_x2 v[0:1], v6, v[0:3], s[42:43] offset:32 glc
	s_waitcnt vmcnt(0)
	v_cmp_eq_u64_e32 vcc, v[0:1], v[2:3]
	v_mov_b32_e32 v3, v1
	s_or_b64 s[18:19], vcc, s[18:19]
	v_mov_b32_e32 v2, v0
	s_andn2_b64 exec, exec, s[18:19]
	s_cbranch_execnz .LBB8_1571
.LBB8_1572:
	s_or_b64 exec, exec, s[16:17]
	v_mov_b32_e32 v3, 0
	global_load_dwordx2 v[0:1], v3, s[42:43] offset:16
	s_mov_b64 s[16:17], exec
	v_mbcnt_lo_u32_b32 v2, s16, 0
	v_mbcnt_hi_u32_b32 v2, s17, v2
	v_cmp_eq_u32_e32 vcc, 0, v2
	s_and_saveexec_b64 s[18:19], vcc
	s_cbranch_execz .LBB8_1574
; %bb.1573:
	s_bcnt1_i32_b64 s15, s[16:17]
	v_mov_b32_e32 v2, s15
	s_waitcnt vmcnt(0)
	global_atomic_add_x2 v[0:1], v[2:3], off offset:8
.LBB8_1574:
	s_or_b64 exec, exec, s[18:19]
	s_waitcnt vmcnt(0)
	global_load_dwordx2 v[2:3], v[0:1], off offset:16
	s_waitcnt vmcnt(0)
	v_cmp_eq_u64_e32 vcc, 0, v[2:3]
	s_cbranch_vccnz .LBB8_1576
; %bb.1575:
	global_load_dword v0, v[0:1], off offset:24
	v_mov_b32_e32 v1, 0
	s_waitcnt vmcnt(0)
	global_store_dwordx2 v[2:3], v[0:1], off
	v_and_b32_e32 v0, 0xffffff, v0
	v_readfirstlane_b32 m0, v0
	s_sendmsg sendmsg(MSG_INTERRUPT)
.LBB8_1576:
	s_or_b64 exec, exec, s[10:11]
	s_branch .LBB8_1580
.LBB8_1577:                             ;   in Loop: Header=BB8_1580 Depth=1
	s_or_b64 exec, exec, s[10:11]
	v_readfirstlane_b32 s10, v0
	s_cmp_eq_u32 s10, 0
	s_cbranch_scc1 .LBB8_1579
; %bb.1578:                             ;   in Loop: Header=BB8_1580 Depth=1
	s_sleep 1
	s_cbranch_execnz .LBB8_1580
	s_branch .LBB8_1582
.LBB8_1579:
	s_branch .LBB8_1582
.LBB8_1580:                             ; =>This Inner Loop Header: Depth=1
	v_mov_b32_e32 v0, 1
	s_and_saveexec_b64 s[10:11], s[4:5]
	s_cbranch_execz .LBB8_1577
; %bb.1581:                             ;   in Loop: Header=BB8_1580 Depth=1
	global_load_dword v0, v[7:8], off offset:20 glc
	s_waitcnt vmcnt(0)
	buffer_wbinvl1_vol
	v_and_b32_e32 v0, 1, v0
	s_branch .LBB8_1577
.LBB8_1582:
	global_load_dwordx2 v[0:1], v[9:10], off
	s_and_saveexec_b64 s[10:11], s[4:5]
	s_cbranch_execz .LBB8_1585
; %bb.1583:
	v_mov_b32_e32 v8, 0
	global_load_dwordx2 v[4:5], v8, s[42:43] offset:40
	global_load_dwordx2 v[9:10], v8, s[42:43] offset:24 glc
	global_load_dwordx2 v[6:7], v8, s[42:43]
	v_mov_b32_e32 v3, s7
	s_mov_b64 s[4:5], 0
	s_waitcnt vmcnt(2)
	v_add_co_u32_e32 v11, vcc, 1, v4
	v_addc_co_u32_e32 v12, vcc, 0, v5, vcc
	v_add_co_u32_e32 v2, vcc, s6, v11
	v_addc_co_u32_e32 v3, vcc, v12, v3, vcc
	v_cmp_eq_u64_e32 vcc, 0, v[2:3]
	v_cndmask_b32_e32 v3, v3, v12, vcc
	v_cndmask_b32_e32 v2, v2, v11, vcc
	v_and_b32_e32 v5, v3, v5
	v_and_b32_e32 v4, v2, v4
	v_mul_lo_u32 v5, v5, 24
	v_mul_hi_u32 v11, v4, 24
	v_mul_lo_u32 v12, v4, 24
	s_waitcnt vmcnt(1)
	v_mov_b32_e32 v4, v9
	v_add_u32_e32 v5, v11, v5
	s_waitcnt vmcnt(0)
	v_add_co_u32_e32 v6, vcc, v6, v12
	v_addc_co_u32_e32 v7, vcc, v7, v5, vcc
	global_store_dwordx2 v[6:7], v[9:10], off
	v_mov_b32_e32 v5, v10
	s_waitcnt vmcnt(0)
	global_atomic_cmpswap_x2 v[4:5], v8, v[2:5], s[42:43] offset:24 glc
	s_waitcnt vmcnt(0)
	v_cmp_ne_u64_e32 vcc, v[4:5], v[9:10]
	s_and_b64 exec, exec, vcc
	s_cbranch_execz .LBB8_1585
.LBB8_1584:                             ; =>This Inner Loop Header: Depth=1
	s_sleep 1
	global_store_dwordx2 v[6:7], v[4:5], off
	s_waitcnt vmcnt(0)
	global_atomic_cmpswap_x2 v[9:10], v8, v[2:5], s[42:43] offset:24 glc
	s_waitcnt vmcnt(0)
	v_cmp_eq_u64_e32 vcc, v[9:10], v[4:5]
	v_mov_b32_e32 v4, v9
	s_or_b64 s[4:5], vcc, s[4:5]
	v_mov_b32_e32 v5, v10
	s_andn2_b64 exec, exec, s[4:5]
	s_cbranch_execnz .LBB8_1584
.LBB8_1585:
	s_or_b64 exec, exec, s[10:11]
	s_and_b64 vcc, exec, s[44:45]
	s_cbranch_vccz .LBB8_1670
; %bb.1586:
	s_waitcnt vmcnt(0)
	v_and_b32_e32 v31, 2, v0
	v_mov_b32_e32 v28, 0
	v_and_b32_e32 v2, -3, v0
	v_mov_b32_e32 v3, v1
	s_mov_b64 s[10:11], 3
	v_mov_b32_e32 v6, 2
	v_mov_b32_e32 v7, 1
	s_getpc_b64 s[6:7]
	s_add_u32 s6, s6, .str.8@rel32@lo+4
	s_addc_u32 s7, s7, .str.8@rel32@hi+12
	s_branch .LBB8_1588
.LBB8_1587:                             ;   in Loop: Header=BB8_1588 Depth=1
	s_or_b64 exec, exec, s[20:21]
	s_sub_u32 s10, s10, s16
	s_subb_u32 s11, s11, s17
	s_add_u32 s6, s6, s16
	s_addc_u32 s7, s7, s17
	s_cmp_lg_u64 s[10:11], 0
	s_cbranch_scc0 .LBB8_1669
.LBB8_1588:                             ; =>This Loop Header: Depth=1
                                        ;     Child Loop BB8_1591 Depth 2
                                        ;     Child Loop BB8_1598 Depth 2
	;; [unrolled: 1-line block ×11, first 2 shown]
	v_cmp_lt_u64_e64 s[4:5], s[10:11], 56
	v_cmp_gt_u64_e64 s[18:19], s[10:11], 7
	s_and_b64 s[4:5], s[4:5], exec
	s_cselect_b32 s17, s11, 0
	s_cselect_b32 s16, s10, 56
	s_and_b64 vcc, exec, s[18:19]
	s_cbranch_vccnz .LBB8_1593
; %bb.1589:                             ;   in Loop: Header=BB8_1588 Depth=1
	v_mov_b32_e32 v10, 0
	s_cmp_eq_u64 s[10:11], 0
	v_mov_b32_e32 v11, 0
	s_mov_b64 s[4:5], 0
	s_cbranch_scc1 .LBB8_1592
; %bb.1590:                             ;   in Loop: Header=BB8_1588 Depth=1
	v_mov_b32_e32 v10, 0
	s_lshl_b64 s[18:19], s[16:17], 3
	s_mov_b64 s[20:21], 0
	v_mov_b32_e32 v11, 0
	s_mov_b64 s[22:23], s[6:7]
.LBB8_1591:                             ;   Parent Loop BB8_1588 Depth=1
                                        ; =>  This Inner Loop Header: Depth=2
	global_load_ubyte v4, v28, s[22:23]
	s_waitcnt vmcnt(0)
	v_and_b32_e32 v27, 0xffff, v4
	v_lshlrev_b64 v[4:5], s20, v[27:28]
	s_add_u32 s20, s20, 8
	s_addc_u32 s21, s21, 0
	s_add_u32 s22, s22, 1
	s_addc_u32 s23, s23, 0
	v_or_b32_e32 v10, v4, v10
	s_cmp_lg_u32 s18, s20
	v_or_b32_e32 v11, v5, v11
	s_cbranch_scc1 .LBB8_1591
.LBB8_1592:                             ;   in Loop: Header=BB8_1588 Depth=1
	s_mov_b32 s15, 0
	s_andn2_b64 vcc, exec, s[4:5]
	s_mov_b64 s[4:5], s[6:7]
	s_cbranch_vccz .LBB8_1594
	s_branch .LBB8_1595
.LBB8_1593:                             ;   in Loop: Header=BB8_1588 Depth=1
                                        ; implicit-def: $vgpr10_vgpr11
                                        ; implicit-def: $sgpr15
	s_mov_b64 s[4:5], s[6:7]
.LBB8_1594:                             ;   in Loop: Header=BB8_1588 Depth=1
	global_load_dwordx2 v[10:11], v28, s[6:7]
	s_add_i32 s15, s16, -8
	s_add_u32 s4, s6, 8
	s_addc_u32 s5, s7, 0
.LBB8_1595:                             ;   in Loop: Header=BB8_1588 Depth=1
	s_cmp_gt_u32 s15, 7
	s_cbranch_scc1 .LBB8_1599
; %bb.1596:                             ;   in Loop: Header=BB8_1588 Depth=1
	s_cmp_eq_u32 s15, 0
	s_cbranch_scc1 .LBB8_1600
; %bb.1597:                             ;   in Loop: Header=BB8_1588 Depth=1
	v_mov_b32_e32 v12, 0
	s_mov_b64 s[18:19], 0
	v_mov_b32_e32 v13, 0
	s_mov_b64 s[20:21], 0
.LBB8_1598:                             ;   Parent Loop BB8_1588 Depth=1
                                        ; =>  This Inner Loop Header: Depth=2
	s_add_u32 s22, s4, s20
	s_addc_u32 s23, s5, s21
	global_load_ubyte v4, v28, s[22:23]
	s_add_u32 s20, s20, 1
	s_addc_u32 s21, s21, 0
	s_waitcnt vmcnt(0)
	v_and_b32_e32 v27, 0xffff, v4
	v_lshlrev_b64 v[4:5], s18, v[27:28]
	s_add_u32 s18, s18, 8
	s_addc_u32 s19, s19, 0
	v_or_b32_e32 v12, v4, v12
	s_cmp_lg_u32 s15, s20
	v_or_b32_e32 v13, v5, v13
	s_cbranch_scc1 .LBB8_1598
	s_branch .LBB8_1601
.LBB8_1599:                             ;   in Loop: Header=BB8_1588 Depth=1
                                        ; implicit-def: $vgpr12_vgpr13
                                        ; implicit-def: $sgpr22
	s_branch .LBB8_1602
.LBB8_1600:                             ;   in Loop: Header=BB8_1588 Depth=1
	v_mov_b32_e32 v12, 0
	v_mov_b32_e32 v13, 0
.LBB8_1601:                             ;   in Loop: Header=BB8_1588 Depth=1
	s_mov_b32 s22, 0
	s_cbranch_execnz .LBB8_1603
.LBB8_1602:                             ;   in Loop: Header=BB8_1588 Depth=1
	global_load_dwordx2 v[12:13], v28, s[4:5]
	s_add_i32 s22, s15, -8
	s_add_u32 s4, s4, 8
	s_addc_u32 s5, s5, 0
.LBB8_1603:                             ;   in Loop: Header=BB8_1588 Depth=1
	s_cmp_gt_u32 s22, 7
	s_cbranch_scc1 .LBB8_1607
; %bb.1604:                             ;   in Loop: Header=BB8_1588 Depth=1
	s_cmp_eq_u32 s22, 0
	s_cbranch_scc1 .LBB8_1608
; %bb.1605:                             ;   in Loop: Header=BB8_1588 Depth=1
	v_mov_b32_e32 v14, 0
	s_mov_b64 s[18:19], 0
	v_mov_b32_e32 v15, 0
	s_mov_b64 s[20:21], 0
.LBB8_1606:                             ;   Parent Loop BB8_1588 Depth=1
                                        ; =>  This Inner Loop Header: Depth=2
	s_add_u32 s24, s4, s20
	s_addc_u32 s25, s5, s21
	global_load_ubyte v4, v28, s[24:25]
	s_add_u32 s20, s20, 1
	s_addc_u32 s21, s21, 0
	s_waitcnt vmcnt(0)
	v_and_b32_e32 v27, 0xffff, v4
	v_lshlrev_b64 v[4:5], s18, v[27:28]
	s_add_u32 s18, s18, 8
	s_addc_u32 s19, s19, 0
	v_or_b32_e32 v14, v4, v14
	s_cmp_lg_u32 s22, s20
	v_or_b32_e32 v15, v5, v15
	s_cbranch_scc1 .LBB8_1606
	s_branch .LBB8_1609
.LBB8_1607:                             ;   in Loop: Header=BB8_1588 Depth=1
                                        ; implicit-def: $sgpr15
	s_branch .LBB8_1610
.LBB8_1608:                             ;   in Loop: Header=BB8_1588 Depth=1
	v_mov_b32_e32 v14, 0
	v_mov_b32_e32 v15, 0
.LBB8_1609:                             ;   in Loop: Header=BB8_1588 Depth=1
	s_mov_b32 s15, 0
	s_cbranch_execnz .LBB8_1611
.LBB8_1610:                             ;   in Loop: Header=BB8_1588 Depth=1
	global_load_dwordx2 v[14:15], v28, s[4:5]
	s_add_i32 s15, s22, -8
	s_add_u32 s4, s4, 8
	s_addc_u32 s5, s5, 0
.LBB8_1611:                             ;   in Loop: Header=BB8_1588 Depth=1
	s_cmp_gt_u32 s15, 7
	s_cbranch_scc1 .LBB8_1615
; %bb.1612:                             ;   in Loop: Header=BB8_1588 Depth=1
	s_cmp_eq_u32 s15, 0
	s_cbranch_scc1 .LBB8_1616
; %bb.1613:                             ;   in Loop: Header=BB8_1588 Depth=1
	v_mov_b32_e32 v16, 0
	s_mov_b64 s[18:19], 0
	v_mov_b32_e32 v17, 0
	s_mov_b64 s[20:21], 0
.LBB8_1614:                             ;   Parent Loop BB8_1588 Depth=1
                                        ; =>  This Inner Loop Header: Depth=2
	s_add_u32 s22, s4, s20
	s_addc_u32 s23, s5, s21
	global_load_ubyte v4, v28, s[22:23]
	s_add_u32 s20, s20, 1
	s_addc_u32 s21, s21, 0
	s_waitcnt vmcnt(0)
	v_and_b32_e32 v27, 0xffff, v4
	v_lshlrev_b64 v[4:5], s18, v[27:28]
	s_add_u32 s18, s18, 8
	s_addc_u32 s19, s19, 0
	v_or_b32_e32 v16, v4, v16
	s_cmp_lg_u32 s15, s20
	v_or_b32_e32 v17, v5, v17
	s_cbranch_scc1 .LBB8_1614
	s_branch .LBB8_1617
.LBB8_1615:                             ;   in Loop: Header=BB8_1588 Depth=1
                                        ; implicit-def: $vgpr16_vgpr17
                                        ; implicit-def: $sgpr22
	s_branch .LBB8_1618
.LBB8_1616:                             ;   in Loop: Header=BB8_1588 Depth=1
	v_mov_b32_e32 v16, 0
	v_mov_b32_e32 v17, 0
.LBB8_1617:                             ;   in Loop: Header=BB8_1588 Depth=1
	s_mov_b32 s22, 0
	s_cbranch_execnz .LBB8_1619
.LBB8_1618:                             ;   in Loop: Header=BB8_1588 Depth=1
	global_load_dwordx2 v[16:17], v28, s[4:5]
	s_add_i32 s22, s15, -8
	s_add_u32 s4, s4, 8
	s_addc_u32 s5, s5, 0
.LBB8_1619:                             ;   in Loop: Header=BB8_1588 Depth=1
	s_cmp_gt_u32 s22, 7
	s_cbranch_scc1 .LBB8_1623
; %bb.1620:                             ;   in Loop: Header=BB8_1588 Depth=1
	s_cmp_eq_u32 s22, 0
	s_cbranch_scc1 .LBB8_1624
; %bb.1621:                             ;   in Loop: Header=BB8_1588 Depth=1
	v_mov_b32_e32 v18, 0
	s_mov_b64 s[18:19], 0
	v_mov_b32_e32 v19, 0
	s_mov_b64 s[20:21], 0
.LBB8_1622:                             ;   Parent Loop BB8_1588 Depth=1
                                        ; =>  This Inner Loop Header: Depth=2
	s_add_u32 s24, s4, s20
	s_addc_u32 s25, s5, s21
	global_load_ubyte v4, v28, s[24:25]
	s_add_u32 s20, s20, 1
	s_addc_u32 s21, s21, 0
	s_waitcnt vmcnt(0)
	v_and_b32_e32 v27, 0xffff, v4
	v_lshlrev_b64 v[4:5], s18, v[27:28]
	s_add_u32 s18, s18, 8
	s_addc_u32 s19, s19, 0
	v_or_b32_e32 v18, v4, v18
	s_cmp_lg_u32 s22, s20
	v_or_b32_e32 v19, v5, v19
	s_cbranch_scc1 .LBB8_1622
	s_branch .LBB8_1625
.LBB8_1623:                             ;   in Loop: Header=BB8_1588 Depth=1
                                        ; implicit-def: $sgpr15
	s_branch .LBB8_1626
.LBB8_1624:                             ;   in Loop: Header=BB8_1588 Depth=1
	v_mov_b32_e32 v18, 0
	v_mov_b32_e32 v19, 0
.LBB8_1625:                             ;   in Loop: Header=BB8_1588 Depth=1
	s_mov_b32 s15, 0
	s_cbranch_execnz .LBB8_1627
.LBB8_1626:                             ;   in Loop: Header=BB8_1588 Depth=1
	global_load_dwordx2 v[18:19], v28, s[4:5]
	s_add_i32 s15, s22, -8
	s_add_u32 s4, s4, 8
	s_addc_u32 s5, s5, 0
.LBB8_1627:                             ;   in Loop: Header=BB8_1588 Depth=1
	s_cmp_gt_u32 s15, 7
	s_cbranch_scc1 .LBB8_1631
; %bb.1628:                             ;   in Loop: Header=BB8_1588 Depth=1
	s_cmp_eq_u32 s15, 0
	s_cbranch_scc1 .LBB8_1632
; %bb.1629:                             ;   in Loop: Header=BB8_1588 Depth=1
	v_mov_b32_e32 v20, 0
	s_mov_b64 s[18:19], 0
	v_mov_b32_e32 v21, 0
	s_mov_b64 s[20:21], 0
.LBB8_1630:                             ;   Parent Loop BB8_1588 Depth=1
                                        ; =>  This Inner Loop Header: Depth=2
	s_add_u32 s22, s4, s20
	s_addc_u32 s23, s5, s21
	global_load_ubyte v4, v28, s[22:23]
	s_add_u32 s20, s20, 1
	s_addc_u32 s21, s21, 0
	s_waitcnt vmcnt(0)
	v_and_b32_e32 v27, 0xffff, v4
	v_lshlrev_b64 v[4:5], s18, v[27:28]
	s_add_u32 s18, s18, 8
	s_addc_u32 s19, s19, 0
	v_or_b32_e32 v20, v4, v20
	s_cmp_lg_u32 s15, s20
	v_or_b32_e32 v21, v5, v21
	s_cbranch_scc1 .LBB8_1630
	s_branch .LBB8_1633
.LBB8_1631:                             ;   in Loop: Header=BB8_1588 Depth=1
                                        ; implicit-def: $vgpr20_vgpr21
                                        ; implicit-def: $sgpr22
	s_branch .LBB8_1634
.LBB8_1632:                             ;   in Loop: Header=BB8_1588 Depth=1
	v_mov_b32_e32 v20, 0
	v_mov_b32_e32 v21, 0
.LBB8_1633:                             ;   in Loop: Header=BB8_1588 Depth=1
	s_mov_b32 s22, 0
	s_cbranch_execnz .LBB8_1635
.LBB8_1634:                             ;   in Loop: Header=BB8_1588 Depth=1
	global_load_dwordx2 v[20:21], v28, s[4:5]
	s_add_i32 s22, s15, -8
	s_add_u32 s4, s4, 8
	s_addc_u32 s5, s5, 0
.LBB8_1635:                             ;   in Loop: Header=BB8_1588 Depth=1
	s_cmp_gt_u32 s22, 7
	s_cbranch_scc1 .LBB8_1639
; %bb.1636:                             ;   in Loop: Header=BB8_1588 Depth=1
	s_cmp_eq_u32 s22, 0
	s_cbranch_scc1 .LBB8_1640
; %bb.1637:                             ;   in Loop: Header=BB8_1588 Depth=1
	v_mov_b32_e32 v22, 0
	s_mov_b64 s[18:19], 0
	v_mov_b32_e32 v23, 0
	s_mov_b64 s[20:21], s[4:5]
.LBB8_1638:                             ;   Parent Loop BB8_1588 Depth=1
                                        ; =>  This Inner Loop Header: Depth=2
	global_load_ubyte v4, v28, s[20:21]
	s_add_i32 s22, s22, -1
	s_waitcnt vmcnt(0)
	v_and_b32_e32 v27, 0xffff, v4
	v_lshlrev_b64 v[4:5], s18, v[27:28]
	s_add_u32 s18, s18, 8
	s_addc_u32 s19, s19, 0
	s_add_u32 s20, s20, 1
	s_addc_u32 s21, s21, 0
	v_or_b32_e32 v22, v4, v22
	s_cmp_lg_u32 s22, 0
	v_or_b32_e32 v23, v5, v23
	s_cbranch_scc1 .LBB8_1638
	s_branch .LBB8_1641
.LBB8_1639:                             ;   in Loop: Header=BB8_1588 Depth=1
	s_branch .LBB8_1642
.LBB8_1640:                             ;   in Loop: Header=BB8_1588 Depth=1
	v_mov_b32_e32 v22, 0
	v_mov_b32_e32 v23, 0
.LBB8_1641:                             ;   in Loop: Header=BB8_1588 Depth=1
	s_cbranch_execnz .LBB8_1643
.LBB8_1642:                             ;   in Loop: Header=BB8_1588 Depth=1
	global_load_dwordx2 v[22:23], v28, s[4:5]
.LBB8_1643:                             ;   in Loop: Header=BB8_1588 Depth=1
	v_readfirstlane_b32 s4, v51
	s_waitcnt vmcnt(0)
	v_mov_b32_e32 v4, 0
	v_mov_b32_e32 v5, 0
	v_cmp_eq_u32_e64 s[4:5], s4, v51
	s_and_saveexec_b64 s[18:19], s[4:5]
	s_cbranch_execz .LBB8_1649
; %bb.1644:                             ;   in Loop: Header=BB8_1588 Depth=1
	global_load_dwordx2 v[26:27], v28, s[42:43] offset:24 glc
	s_waitcnt vmcnt(0)
	buffer_wbinvl1_vol
	global_load_dwordx2 v[4:5], v28, s[42:43] offset:40
	global_load_dwordx2 v[8:9], v28, s[42:43]
	s_waitcnt vmcnt(1)
	v_and_b32_e32 v4, v4, v26
	v_and_b32_e32 v5, v5, v27
	v_mul_lo_u32 v5, v5, 24
	v_mul_hi_u32 v24, v4, 24
	v_mul_lo_u32 v4, v4, 24
	v_add_u32_e32 v5, v24, v5
	s_waitcnt vmcnt(0)
	v_add_co_u32_e32 v4, vcc, v8, v4
	v_addc_co_u32_e32 v5, vcc, v9, v5, vcc
	global_load_dwordx2 v[24:25], v[4:5], off glc
	s_waitcnt vmcnt(0)
	global_atomic_cmpswap_x2 v[4:5], v28, v[24:27], s[42:43] offset:24 glc
	s_waitcnt vmcnt(0)
	buffer_wbinvl1_vol
	v_cmp_ne_u64_e32 vcc, v[4:5], v[26:27]
	s_and_saveexec_b64 s[20:21], vcc
	s_cbranch_execz .LBB8_1648
; %bb.1645:                             ;   in Loop: Header=BB8_1588 Depth=1
	s_mov_b64 s[22:23], 0
.LBB8_1646:                             ;   Parent Loop BB8_1588 Depth=1
                                        ; =>  This Inner Loop Header: Depth=2
	s_sleep 1
	global_load_dwordx2 v[8:9], v28, s[42:43] offset:40
	global_load_dwordx2 v[24:25], v28, s[42:43]
	v_mov_b32_e32 v27, v5
	v_mov_b32_e32 v26, v4
	s_waitcnt vmcnt(1)
	v_and_b32_e32 v4, v8, v26
	s_waitcnt vmcnt(0)
	v_mad_u64_u32 v[4:5], s[24:25], v4, 24, v[24:25]
	v_and_b32_e32 v8, v9, v27
	v_mad_u64_u32 v[8:9], s[24:25], v8, 24, v[5:6]
	v_mov_b32_e32 v5, v8
	global_load_dwordx2 v[24:25], v[4:5], off glc
	s_waitcnt vmcnt(0)
	global_atomic_cmpswap_x2 v[4:5], v28, v[24:27], s[42:43] offset:24 glc
	s_waitcnt vmcnt(0)
	buffer_wbinvl1_vol
	v_cmp_eq_u64_e32 vcc, v[4:5], v[26:27]
	s_or_b64 s[22:23], vcc, s[22:23]
	s_andn2_b64 exec, exec, s[22:23]
	s_cbranch_execnz .LBB8_1646
; %bb.1647:                             ;   in Loop: Header=BB8_1588 Depth=1
	s_or_b64 exec, exec, s[22:23]
.LBB8_1648:                             ;   in Loop: Header=BB8_1588 Depth=1
	s_or_b64 exec, exec, s[20:21]
.LBB8_1649:                             ;   in Loop: Header=BB8_1588 Depth=1
	s_or_b64 exec, exec, s[18:19]
	global_load_dwordx2 v[8:9], v28, s[42:43] offset:40
	global_load_dwordx4 v[24:27], v28, s[42:43]
	v_readfirstlane_b32 s18, v4
	v_readfirstlane_b32 s19, v5
	s_mov_b64 s[20:21], exec
	s_waitcnt vmcnt(1)
	v_readfirstlane_b32 s22, v8
	v_readfirstlane_b32 s23, v9
	s_and_b64 s[22:23], s[18:19], s[22:23]
	s_mul_i32 s15, s23, 24
	s_mul_hi_u32 s24, s22, 24
	s_mul_i32 s25, s22, 24
	s_add_i32 s15, s24, s15
	v_mov_b32_e32 v4, s15
	s_waitcnt vmcnt(0)
	v_add_co_u32_e32 v29, vcc, s25, v24
	v_addc_co_u32_e32 v30, vcc, v25, v4, vcc
	s_and_saveexec_b64 s[24:25], s[4:5]
	s_cbranch_execz .LBB8_1651
; %bb.1650:                             ;   in Loop: Header=BB8_1588 Depth=1
	v_mov_b32_e32 v4, s20
	v_mov_b32_e32 v5, s21
	global_store_dwordx4 v[29:30], v[4:7], off offset:8
.LBB8_1651:                             ;   in Loop: Header=BB8_1588 Depth=1
	s_or_b64 exec, exec, s[24:25]
	s_lshl_b64 s[20:21], s[22:23], 12
	v_mov_b32_e32 v4, s21
	v_add_co_u32_e32 v26, vcc, s20, v26
	v_addc_co_u32_e32 v32, vcc, v27, v4, vcc
	v_cmp_gt_u64_e64 vcc, s[10:11], 56
	v_or_b32_e32 v5, v2, v31
	s_lshl_b32 s15, s16, 2
	v_cndmask_b32_e32 v2, v5, v2, vcc
	s_add_i32 s15, s15, 28
	v_or_b32_e32 v4, 0, v3
	s_and_b32 s15, s15, 0x1e0
	v_and_b32_e32 v2, 0xffffff1f, v2
	v_cndmask_b32_e32 v9, v4, v3, vcc
	v_or_b32_e32 v8, s15, v2
	v_readfirstlane_b32 s20, v26
	v_readfirstlane_b32 s21, v32
	s_nop 4
	global_store_dwordx4 v50, v[8:11], s[20:21]
	global_store_dwordx4 v50, v[12:15], s[20:21] offset:16
	global_store_dwordx4 v50, v[16:19], s[20:21] offset:32
	;; [unrolled: 1-line block ×3, first 2 shown]
	s_and_saveexec_b64 s[20:21], s[4:5]
	s_cbranch_execz .LBB8_1659
; %bb.1652:                             ;   in Loop: Header=BB8_1588 Depth=1
	global_load_dwordx2 v[12:13], v28, s[42:43] offset:32 glc
	global_load_dwordx2 v[2:3], v28, s[42:43] offset:40
	v_mov_b32_e32 v10, s18
	v_mov_b32_e32 v11, s19
	s_waitcnt vmcnt(0)
	v_readfirstlane_b32 s22, v2
	v_readfirstlane_b32 s23, v3
	s_and_b64 s[22:23], s[22:23], s[18:19]
	s_mul_i32 s15, s23, 24
	s_mul_hi_u32 s23, s22, 24
	s_mul_i32 s22, s22, 24
	s_add_i32 s15, s23, s15
	v_mov_b32_e32 v2, s15
	v_add_co_u32_e32 v8, vcc, s22, v24
	v_addc_co_u32_e32 v9, vcc, v25, v2, vcc
	global_store_dwordx2 v[8:9], v[12:13], off
	s_waitcnt vmcnt(0)
	global_atomic_cmpswap_x2 v[4:5], v28, v[10:13], s[42:43] offset:32 glc
	s_waitcnt vmcnt(0)
	v_cmp_ne_u64_e32 vcc, v[4:5], v[12:13]
	s_and_saveexec_b64 s[22:23], vcc
	s_cbranch_execz .LBB8_1655
; %bb.1653:                             ;   in Loop: Header=BB8_1588 Depth=1
	s_mov_b64 s[24:25], 0
.LBB8_1654:                             ;   Parent Loop BB8_1588 Depth=1
                                        ; =>  This Inner Loop Header: Depth=2
	s_sleep 1
	global_store_dwordx2 v[8:9], v[4:5], off
	v_mov_b32_e32 v2, s18
	v_mov_b32_e32 v3, s19
	s_waitcnt vmcnt(0)
	global_atomic_cmpswap_x2 v[2:3], v28, v[2:5], s[42:43] offset:32 glc
	s_waitcnt vmcnt(0)
	v_cmp_eq_u64_e32 vcc, v[2:3], v[4:5]
	v_mov_b32_e32 v5, v3
	s_or_b64 s[24:25], vcc, s[24:25]
	v_mov_b32_e32 v4, v2
	s_andn2_b64 exec, exec, s[24:25]
	s_cbranch_execnz .LBB8_1654
.LBB8_1655:                             ;   in Loop: Header=BB8_1588 Depth=1
	s_or_b64 exec, exec, s[22:23]
	global_load_dwordx2 v[2:3], v28, s[42:43] offset:16
	s_mov_b64 s[24:25], exec
	v_mbcnt_lo_u32_b32 v4, s24, 0
	v_mbcnt_hi_u32_b32 v4, s25, v4
	v_cmp_eq_u32_e32 vcc, 0, v4
	s_and_saveexec_b64 s[22:23], vcc
	s_cbranch_execz .LBB8_1657
; %bb.1656:                             ;   in Loop: Header=BB8_1588 Depth=1
	s_bcnt1_i32_b64 s15, s[24:25]
	v_mov_b32_e32 v27, s15
	s_waitcnt vmcnt(0)
	global_atomic_add_x2 v[2:3], v[27:28], off offset:8
.LBB8_1657:                             ;   in Loop: Header=BB8_1588 Depth=1
	s_or_b64 exec, exec, s[22:23]
	s_waitcnt vmcnt(0)
	global_load_dwordx2 v[4:5], v[2:3], off offset:16
	s_waitcnt vmcnt(0)
	v_cmp_eq_u64_e32 vcc, 0, v[4:5]
	s_cbranch_vccnz .LBB8_1659
; %bb.1658:                             ;   in Loop: Header=BB8_1588 Depth=1
	global_load_dword v27, v[2:3], off offset:24
	s_waitcnt vmcnt(0)
	v_and_b32_e32 v2, 0xffffff, v27
	v_readfirstlane_b32 m0, v2
	global_store_dwordx2 v[4:5], v[27:28], off
	s_sendmsg sendmsg(MSG_INTERRUPT)
.LBB8_1659:                             ;   in Loop: Header=BB8_1588 Depth=1
	s_or_b64 exec, exec, s[20:21]
	v_add_co_u32_e32 v2, vcc, v26, v50
	v_addc_co_u32_e32 v3, vcc, 0, v32, vcc
	s_branch .LBB8_1663
.LBB8_1660:                             ;   in Loop: Header=BB8_1663 Depth=2
	s_or_b64 exec, exec, s[20:21]
	v_readfirstlane_b32 s15, v4
	s_cmp_eq_u32 s15, 0
	s_cbranch_scc1 .LBB8_1662
; %bb.1661:                             ;   in Loop: Header=BB8_1663 Depth=2
	s_sleep 1
	s_cbranch_execnz .LBB8_1663
	s_branch .LBB8_1665
.LBB8_1662:                             ;   in Loop: Header=BB8_1588 Depth=1
	s_branch .LBB8_1665
.LBB8_1663:                             ;   Parent Loop BB8_1588 Depth=1
                                        ; =>  This Inner Loop Header: Depth=2
	v_mov_b32_e32 v4, 1
	s_and_saveexec_b64 s[20:21], s[4:5]
	s_cbranch_execz .LBB8_1660
; %bb.1664:                             ;   in Loop: Header=BB8_1663 Depth=2
	global_load_dword v4, v[29:30], off offset:20 glc
	s_waitcnt vmcnt(0)
	buffer_wbinvl1_vol
	v_and_b32_e32 v4, 1, v4
	s_branch .LBB8_1660
.LBB8_1665:                             ;   in Loop: Header=BB8_1588 Depth=1
	global_load_dwordx4 v[2:5], v[2:3], off
	s_and_saveexec_b64 s[20:21], s[4:5]
	s_cbranch_execz .LBB8_1587
; %bb.1666:                             ;   in Loop: Header=BB8_1588 Depth=1
	global_load_dwordx2 v[4:5], v28, s[42:43] offset:40
	global_load_dwordx2 v[12:13], v28, s[42:43] offset:24 glc
	global_load_dwordx2 v[14:15], v28, s[42:43]
	v_mov_b32_e32 v9, s19
	s_waitcnt vmcnt(2)
	v_add_co_u32_e32 v10, vcc, 1, v4
	v_addc_co_u32_e32 v11, vcc, 0, v5, vcc
	v_add_co_u32_e32 v8, vcc, s18, v10
	v_addc_co_u32_e32 v9, vcc, v11, v9, vcc
	v_cmp_eq_u64_e32 vcc, 0, v[8:9]
	v_cndmask_b32_e32 v9, v9, v11, vcc
	v_cndmask_b32_e32 v8, v8, v10, vcc
	v_and_b32_e32 v5, v9, v5
	v_and_b32_e32 v4, v8, v4
	v_mul_lo_u32 v5, v5, 24
	v_mul_hi_u32 v11, v4, 24
	v_mul_lo_u32 v4, v4, 24
	s_waitcnt vmcnt(1)
	v_mov_b32_e32 v10, v12
	v_add_u32_e32 v5, v11, v5
	s_waitcnt vmcnt(0)
	v_add_co_u32_e32 v4, vcc, v14, v4
	v_addc_co_u32_e32 v5, vcc, v15, v5, vcc
	global_store_dwordx2 v[4:5], v[12:13], off
	v_mov_b32_e32 v11, v13
	s_waitcnt vmcnt(0)
	global_atomic_cmpswap_x2 v[10:11], v28, v[8:11], s[42:43] offset:24 glc
	s_waitcnt vmcnt(0)
	v_cmp_ne_u64_e32 vcc, v[10:11], v[12:13]
	s_and_b64 exec, exec, vcc
	s_cbranch_execz .LBB8_1587
; %bb.1667:                             ;   in Loop: Header=BB8_1588 Depth=1
	s_mov_b64 s[4:5], 0
.LBB8_1668:                             ;   Parent Loop BB8_1588 Depth=1
                                        ; =>  This Inner Loop Header: Depth=2
	s_sleep 1
	global_store_dwordx2 v[4:5], v[10:11], off
	s_waitcnt vmcnt(0)
	global_atomic_cmpswap_x2 v[12:13], v28, v[8:11], s[42:43] offset:24 glc
	s_waitcnt vmcnt(0)
	v_cmp_eq_u64_e32 vcc, v[12:13], v[10:11]
	v_mov_b32_e32 v10, v12
	s_or_b64 s[4:5], vcc, s[4:5]
	v_mov_b32_e32 v11, v13
	s_andn2_b64 exec, exec, s[4:5]
	s_cbranch_execnz .LBB8_1668
	s_branch .LBB8_1587
.LBB8_1669:
	s_branch .LBB8_1697
.LBB8_1670:
                                        ; implicit-def: $vgpr2_vgpr3
	s_cbranch_execz .LBB8_1697
; %bb.1671:
	v_readfirstlane_b32 s4, v51
	v_mov_b32_e32 v8, 0
	v_mov_b32_e32 v9, 0
	v_cmp_eq_u32_e64 s[4:5], s4, v51
	s_and_saveexec_b64 s[6:7], s[4:5]
	s_cbranch_execz .LBB8_1677
; %bb.1672:
	s_waitcnt vmcnt(0)
	v_mov_b32_e32 v2, 0
	global_load_dwordx2 v[5:6], v2, s[42:43] offset:24 glc
	s_waitcnt vmcnt(0)
	buffer_wbinvl1_vol
	global_load_dwordx2 v[3:4], v2, s[42:43] offset:40
	global_load_dwordx2 v[7:8], v2, s[42:43]
	s_waitcnt vmcnt(1)
	v_and_b32_e32 v3, v3, v5
	v_and_b32_e32 v4, v4, v6
	v_mul_lo_u32 v4, v4, 24
	v_mul_hi_u32 v9, v3, 24
	v_mul_lo_u32 v3, v3, 24
	v_add_u32_e32 v4, v9, v4
	s_waitcnt vmcnt(0)
	v_add_co_u32_e32 v3, vcc, v7, v3
	v_addc_co_u32_e32 v4, vcc, v8, v4, vcc
	global_load_dwordx2 v[3:4], v[3:4], off glc
	s_waitcnt vmcnt(0)
	global_atomic_cmpswap_x2 v[8:9], v2, v[3:6], s[42:43] offset:24 glc
	s_waitcnt vmcnt(0)
	buffer_wbinvl1_vol
	v_cmp_ne_u64_e32 vcc, v[8:9], v[5:6]
	s_and_saveexec_b64 s[10:11], vcc
	s_cbranch_execz .LBB8_1676
; %bb.1673:
	s_mov_b64 s[16:17], 0
.LBB8_1674:                             ; =>This Inner Loop Header: Depth=1
	s_sleep 1
	global_load_dwordx2 v[3:4], v2, s[42:43] offset:40
	global_load_dwordx2 v[10:11], v2, s[42:43]
	v_mov_b32_e32 v5, v8
	v_mov_b32_e32 v6, v9
	s_waitcnt vmcnt(1)
	v_and_b32_e32 v3, v3, v5
	s_waitcnt vmcnt(0)
	v_mad_u64_u32 v[7:8], s[18:19], v3, 24, v[10:11]
	v_and_b32_e32 v4, v4, v6
	v_mov_b32_e32 v3, v8
	v_mad_u64_u32 v[3:4], s[18:19], v4, 24, v[3:4]
	v_mov_b32_e32 v8, v3
	global_load_dwordx2 v[3:4], v[7:8], off glc
	s_waitcnt vmcnt(0)
	global_atomic_cmpswap_x2 v[8:9], v2, v[3:6], s[42:43] offset:24 glc
	s_waitcnt vmcnt(0)
	buffer_wbinvl1_vol
	v_cmp_eq_u64_e32 vcc, v[8:9], v[5:6]
	s_or_b64 s[16:17], vcc, s[16:17]
	s_andn2_b64 exec, exec, s[16:17]
	s_cbranch_execnz .LBB8_1674
; %bb.1675:
	s_or_b64 exec, exec, s[16:17]
.LBB8_1676:
	s_or_b64 exec, exec, s[10:11]
.LBB8_1677:
	s_or_b64 exec, exec, s[6:7]
	s_waitcnt vmcnt(0)
	v_mov_b32_e32 v2, 0
	global_load_dwordx2 v[10:11], v2, s[42:43] offset:40
	global_load_dwordx4 v[4:7], v2, s[42:43]
	v_readfirstlane_b32 s6, v8
	v_readfirstlane_b32 s7, v9
	s_mov_b64 s[10:11], exec
	s_waitcnt vmcnt(1)
	v_readfirstlane_b32 s16, v10
	v_readfirstlane_b32 s17, v11
	s_and_b64 s[16:17], s[6:7], s[16:17]
	s_mul_i32 s15, s17, 24
	s_mul_hi_u32 s18, s16, 24
	s_mul_i32 s19, s16, 24
	s_add_i32 s15, s18, s15
	v_mov_b32_e32 v3, s15
	s_waitcnt vmcnt(0)
	v_add_co_u32_e32 v8, vcc, s19, v4
	v_addc_co_u32_e32 v9, vcc, v5, v3, vcc
	s_and_saveexec_b64 s[18:19], s[4:5]
	s_cbranch_execz .LBB8_1679
; %bb.1678:
	v_mov_b32_e32 v10, s10
	v_mov_b32_e32 v11, s11
	;; [unrolled: 1-line block ×4, first 2 shown]
	global_store_dwordx4 v[8:9], v[10:13], off offset:8
.LBB8_1679:
	s_or_b64 exec, exec, s[18:19]
	s_lshl_b64 s[10:11], s[16:17], 12
	v_mov_b32_e32 v3, s11
	v_add_co_u32_e32 v10, vcc, s10, v6
	v_addc_co_u32_e32 v11, vcc, v7, v3, vcc
	s_movk_i32 s10, 0xff1f
	v_and_or_b32 v0, v0, s10, 32
	s_mov_b32 s16, 0
	v_mov_b32_e32 v3, v2
	v_readfirstlane_b32 s10, v10
	v_readfirstlane_b32 s11, v11
	v_add_co_u32_e32 v6, vcc, v10, v50
	s_mov_b32 s17, s16
	s_mov_b32 s18, s16
	s_mov_b32 s19, s16
	s_nop 0
	global_store_dwordx4 v50, v[0:3], s[10:11]
	v_addc_co_u32_e32 v7, vcc, 0, v11, vcc
	v_mov_b32_e32 v0, s16
	v_mov_b32_e32 v1, s17
	v_mov_b32_e32 v2, s18
	v_mov_b32_e32 v3, s19
	global_store_dwordx4 v50, v[0:3], s[10:11] offset:16
	global_store_dwordx4 v50, v[0:3], s[10:11] offset:32
	;; [unrolled: 1-line block ×3, first 2 shown]
	s_and_saveexec_b64 s[10:11], s[4:5]
	s_cbranch_execz .LBB8_1687
; %bb.1680:
	v_mov_b32_e32 v10, 0
	global_load_dwordx2 v[13:14], v10, s[42:43] offset:32 glc
	global_load_dwordx2 v[0:1], v10, s[42:43] offset:40
	v_mov_b32_e32 v11, s6
	v_mov_b32_e32 v12, s7
	s_waitcnt vmcnt(0)
	v_readfirstlane_b32 s16, v0
	v_readfirstlane_b32 s17, v1
	s_and_b64 s[16:17], s[16:17], s[6:7]
	s_mul_i32 s15, s17, 24
	s_mul_hi_u32 s17, s16, 24
	s_mul_i32 s16, s16, 24
	s_add_i32 s15, s17, s15
	v_mov_b32_e32 v0, s15
	v_add_co_u32_e32 v4, vcc, s16, v4
	v_addc_co_u32_e32 v5, vcc, v5, v0, vcc
	global_store_dwordx2 v[4:5], v[13:14], off
	s_waitcnt vmcnt(0)
	global_atomic_cmpswap_x2 v[2:3], v10, v[11:14], s[42:43] offset:32 glc
	s_waitcnt vmcnt(0)
	v_cmp_ne_u64_e32 vcc, v[2:3], v[13:14]
	s_and_saveexec_b64 s[16:17], vcc
	s_cbranch_execz .LBB8_1683
; %bb.1681:
	s_mov_b64 s[18:19], 0
.LBB8_1682:                             ; =>This Inner Loop Header: Depth=1
	s_sleep 1
	global_store_dwordx2 v[4:5], v[2:3], off
	v_mov_b32_e32 v0, s6
	v_mov_b32_e32 v1, s7
	s_waitcnt vmcnt(0)
	global_atomic_cmpswap_x2 v[0:1], v10, v[0:3], s[42:43] offset:32 glc
	s_waitcnt vmcnt(0)
	v_cmp_eq_u64_e32 vcc, v[0:1], v[2:3]
	v_mov_b32_e32 v3, v1
	s_or_b64 s[18:19], vcc, s[18:19]
	v_mov_b32_e32 v2, v0
	s_andn2_b64 exec, exec, s[18:19]
	s_cbranch_execnz .LBB8_1682
.LBB8_1683:
	s_or_b64 exec, exec, s[16:17]
	v_mov_b32_e32 v3, 0
	global_load_dwordx2 v[0:1], v3, s[42:43] offset:16
	s_mov_b64 s[16:17], exec
	v_mbcnt_lo_u32_b32 v2, s16, 0
	v_mbcnt_hi_u32_b32 v2, s17, v2
	v_cmp_eq_u32_e32 vcc, 0, v2
	s_and_saveexec_b64 s[18:19], vcc
	s_cbranch_execz .LBB8_1685
; %bb.1684:
	s_bcnt1_i32_b64 s15, s[16:17]
	v_mov_b32_e32 v2, s15
	s_waitcnt vmcnt(0)
	global_atomic_add_x2 v[0:1], v[2:3], off offset:8
.LBB8_1685:
	s_or_b64 exec, exec, s[18:19]
	s_waitcnt vmcnt(0)
	global_load_dwordx2 v[2:3], v[0:1], off offset:16
	s_waitcnt vmcnt(0)
	v_cmp_eq_u64_e32 vcc, 0, v[2:3]
	s_cbranch_vccnz .LBB8_1687
; %bb.1686:
	global_load_dword v0, v[0:1], off offset:24
	v_mov_b32_e32 v1, 0
	s_waitcnt vmcnt(0)
	global_store_dwordx2 v[2:3], v[0:1], off
	v_and_b32_e32 v0, 0xffffff, v0
	v_readfirstlane_b32 m0, v0
	s_sendmsg sendmsg(MSG_INTERRUPT)
.LBB8_1687:
	s_or_b64 exec, exec, s[10:11]
	s_branch .LBB8_1691
.LBB8_1688:                             ;   in Loop: Header=BB8_1691 Depth=1
	s_or_b64 exec, exec, s[10:11]
	v_readfirstlane_b32 s10, v0
	s_cmp_eq_u32 s10, 0
	s_cbranch_scc1 .LBB8_1690
; %bb.1689:                             ;   in Loop: Header=BB8_1691 Depth=1
	s_sleep 1
	s_cbranch_execnz .LBB8_1691
	s_branch .LBB8_1693
.LBB8_1690:
	s_branch .LBB8_1693
.LBB8_1691:                             ; =>This Inner Loop Header: Depth=1
	v_mov_b32_e32 v0, 1
	s_and_saveexec_b64 s[10:11], s[4:5]
	s_cbranch_execz .LBB8_1688
; %bb.1692:                             ;   in Loop: Header=BB8_1691 Depth=1
	global_load_dword v0, v[8:9], off offset:20 glc
	s_waitcnt vmcnt(0)
	buffer_wbinvl1_vol
	v_and_b32_e32 v0, 1, v0
	s_branch .LBB8_1688
.LBB8_1693:
	global_load_dwordx2 v[2:3], v[6:7], off
	s_and_saveexec_b64 s[10:11], s[4:5]
	s_cbranch_execz .LBB8_1696
; %bb.1694:
	v_mov_b32_e32 v8, 0
	global_load_dwordx2 v[0:1], v8, s[42:43] offset:40
	global_load_dwordx2 v[9:10], v8, s[42:43] offset:24 glc
	global_load_dwordx2 v[11:12], v8, s[42:43]
	v_mov_b32_e32 v5, s7
	s_mov_b64 s[4:5], 0
	s_waitcnt vmcnt(2)
	v_add_co_u32_e32 v6, vcc, 1, v0
	v_addc_co_u32_e32 v7, vcc, 0, v1, vcc
	v_add_co_u32_e32 v4, vcc, s6, v6
	v_addc_co_u32_e32 v5, vcc, v7, v5, vcc
	v_cmp_eq_u64_e32 vcc, 0, v[4:5]
	v_cndmask_b32_e32 v5, v5, v7, vcc
	v_cndmask_b32_e32 v4, v4, v6, vcc
	v_and_b32_e32 v1, v5, v1
	v_and_b32_e32 v0, v4, v0
	v_mul_lo_u32 v1, v1, 24
	v_mul_hi_u32 v7, v0, 24
	v_mul_lo_u32 v0, v0, 24
	s_waitcnt vmcnt(1)
	v_mov_b32_e32 v6, v9
	v_add_u32_e32 v1, v7, v1
	s_waitcnt vmcnt(0)
	v_add_co_u32_e32 v0, vcc, v11, v0
	v_addc_co_u32_e32 v1, vcc, v12, v1, vcc
	global_store_dwordx2 v[0:1], v[9:10], off
	v_mov_b32_e32 v7, v10
	s_waitcnt vmcnt(0)
	global_atomic_cmpswap_x2 v[6:7], v8, v[4:7], s[42:43] offset:24 glc
	s_waitcnt vmcnt(0)
	v_cmp_ne_u64_e32 vcc, v[6:7], v[9:10]
	s_and_b64 exec, exec, vcc
	s_cbranch_execz .LBB8_1696
.LBB8_1695:                             ; =>This Inner Loop Header: Depth=1
	s_sleep 1
	global_store_dwordx2 v[0:1], v[6:7], off
	s_waitcnt vmcnt(0)
	global_atomic_cmpswap_x2 v[9:10], v8, v[4:7], s[42:43] offset:24 glc
	s_waitcnt vmcnt(0)
	v_cmp_eq_u64_e32 vcc, v[9:10], v[6:7]
	v_mov_b32_e32 v6, v9
	s_or_b64 s[4:5], vcc, s[4:5]
	v_mov_b32_e32 v7, v10
	s_andn2_b64 exec, exec, s[4:5]
	s_cbranch_execnz .LBB8_1695
.LBB8_1696:
	s_or_b64 exec, exec, s[10:11]
.LBB8_1697:
	v_readfirstlane_b32 s4, v51
	s_waitcnt vmcnt(0)
	v_mov_b32_e32 v0, 0
	v_mov_b32_e32 v1, 0
	v_cmp_eq_u32_e64 s[4:5], s4, v51
	s_and_saveexec_b64 s[6:7], s[4:5]
	s_cbranch_execz .LBB8_1703
; %bb.1698:
	v_mov_b32_e32 v4, 0
	global_load_dwordx2 v[7:8], v4, s[42:43] offset:24 glc
	s_waitcnt vmcnt(0)
	buffer_wbinvl1_vol
	global_load_dwordx2 v[0:1], v4, s[42:43] offset:40
	global_load_dwordx2 v[5:6], v4, s[42:43]
	s_waitcnt vmcnt(1)
	v_and_b32_e32 v0, v0, v7
	v_and_b32_e32 v1, v1, v8
	v_mul_lo_u32 v1, v1, 24
	v_mul_hi_u32 v9, v0, 24
	v_mul_lo_u32 v0, v0, 24
	v_add_u32_e32 v1, v9, v1
	s_waitcnt vmcnt(0)
	v_add_co_u32_e32 v0, vcc, v5, v0
	v_addc_co_u32_e32 v1, vcc, v6, v1, vcc
	global_load_dwordx2 v[5:6], v[0:1], off glc
	s_waitcnt vmcnt(0)
	global_atomic_cmpswap_x2 v[0:1], v4, v[5:8], s[42:43] offset:24 glc
	s_waitcnt vmcnt(0)
	buffer_wbinvl1_vol
	v_cmp_ne_u64_e32 vcc, v[0:1], v[7:8]
	s_and_saveexec_b64 s[10:11], vcc
	s_cbranch_execz .LBB8_1702
; %bb.1699:
	s_mov_b64 s[16:17], 0
.LBB8_1700:                             ; =>This Inner Loop Header: Depth=1
	s_sleep 1
	global_load_dwordx2 v[5:6], v4, s[42:43] offset:40
	global_load_dwordx2 v[9:10], v4, s[42:43]
	v_mov_b32_e32 v8, v1
	v_mov_b32_e32 v7, v0
	s_waitcnt vmcnt(1)
	v_and_b32_e32 v0, v5, v7
	s_waitcnt vmcnt(0)
	v_mad_u64_u32 v[0:1], s[18:19], v0, 24, v[9:10]
	v_and_b32_e32 v5, v6, v8
	v_mad_u64_u32 v[5:6], s[18:19], v5, 24, v[1:2]
	v_mov_b32_e32 v1, v5
	global_load_dwordx2 v[5:6], v[0:1], off glc
	s_waitcnt vmcnt(0)
	global_atomic_cmpswap_x2 v[0:1], v4, v[5:8], s[42:43] offset:24 glc
	s_waitcnt vmcnt(0)
	buffer_wbinvl1_vol
	v_cmp_eq_u64_e32 vcc, v[0:1], v[7:8]
	s_or_b64 s[16:17], vcc, s[16:17]
	s_andn2_b64 exec, exec, s[16:17]
	s_cbranch_execnz .LBB8_1700
; %bb.1701:
	s_or_b64 exec, exec, s[16:17]
.LBB8_1702:
	s_or_b64 exec, exec, s[10:11]
.LBB8_1703:
	s_or_b64 exec, exec, s[6:7]
	v_mov_b32_e32 v5, 0
	global_load_dwordx2 v[10:11], v5, s[42:43] offset:40
	global_load_dwordx4 v[6:9], v5, s[42:43]
	v_readfirstlane_b32 s6, v0
	v_readfirstlane_b32 s7, v1
	s_mov_b64 s[10:11], exec
	s_waitcnt vmcnt(1)
	v_readfirstlane_b32 s16, v10
	v_readfirstlane_b32 s17, v11
	s_and_b64 s[16:17], s[6:7], s[16:17]
	s_mul_i32 s15, s17, 24
	s_mul_hi_u32 s18, s16, 24
	s_mul_i32 s19, s16, 24
	s_add_i32 s15, s18, s15
	v_mov_b32_e32 v0, s15
	s_waitcnt vmcnt(0)
	v_add_co_u32_e32 v10, vcc, s19, v6
	v_addc_co_u32_e32 v11, vcc, v7, v0, vcc
	s_and_saveexec_b64 s[18:19], s[4:5]
	s_cbranch_execz .LBB8_1705
; %bb.1704:
	v_mov_b32_e32 v13, s11
	v_mov_b32_e32 v12, s10
	;; [unrolled: 1-line block ×4, first 2 shown]
	global_store_dwordx4 v[10:11], v[12:15], off offset:8
.LBB8_1705:
	s_or_b64 exec, exec, s[18:19]
	s_lshl_b64 s[10:11], s[16:17], 12
	v_mov_b32_e32 v0, s11
	v_add_co_u32_e32 v1, vcc, s10, v8
	v_addc_co_u32_e32 v0, vcc, v9, v0, vcc
	s_movk_i32 s10, 0xff1d
	v_and_or_b32 v2, v2, s10, 34
	s_mov_b32 s16, 0
	v_mov_b32_e32 v4, 10
	v_readfirstlane_b32 s10, v1
	v_readfirstlane_b32 s11, v0
	s_mov_b32 s17, s16
	s_mov_b32 s18, s16
	;; [unrolled: 1-line block ×3, first 2 shown]
	s_nop 1
	global_store_dwordx4 v50, v[2:5], s[10:11]
	v_mov_b32_e32 v0, s16
	v_mov_b32_e32 v1, s17
	;; [unrolled: 1-line block ×4, first 2 shown]
	global_store_dwordx4 v50, v[0:3], s[10:11] offset:16
	global_store_dwordx4 v50, v[0:3], s[10:11] offset:32
	;; [unrolled: 1-line block ×3, first 2 shown]
	s_and_saveexec_b64 s[10:11], s[4:5]
	s_cbranch_execz .LBB8_1713
; %bb.1706:
	v_mov_b32_e32 v8, 0
	global_load_dwordx2 v[14:15], v8, s[42:43] offset:32 glc
	global_load_dwordx2 v[0:1], v8, s[42:43] offset:40
	v_mov_b32_e32 v12, s6
	v_mov_b32_e32 v13, s7
	s_waitcnt vmcnt(0)
	v_readfirstlane_b32 s16, v0
	v_readfirstlane_b32 s17, v1
	s_and_b64 s[16:17], s[16:17], s[6:7]
	s_mul_i32 s15, s17, 24
	s_mul_hi_u32 s17, s16, 24
	s_mul_i32 s16, s16, 24
	s_add_i32 s15, s17, s15
	v_mov_b32_e32 v0, s15
	v_add_co_u32_e32 v4, vcc, s16, v6
	v_addc_co_u32_e32 v5, vcc, v7, v0, vcc
	global_store_dwordx2 v[4:5], v[14:15], off
	s_waitcnt vmcnt(0)
	global_atomic_cmpswap_x2 v[2:3], v8, v[12:15], s[42:43] offset:32 glc
	s_waitcnt vmcnt(0)
	v_cmp_ne_u64_e32 vcc, v[2:3], v[14:15]
	s_and_saveexec_b64 s[16:17], vcc
	s_cbranch_execz .LBB8_1709
; %bb.1707:
	s_mov_b64 s[18:19], 0
.LBB8_1708:                             ; =>This Inner Loop Header: Depth=1
	s_sleep 1
	global_store_dwordx2 v[4:5], v[2:3], off
	v_mov_b32_e32 v0, s6
	v_mov_b32_e32 v1, s7
	s_waitcnt vmcnt(0)
	global_atomic_cmpswap_x2 v[0:1], v8, v[0:3], s[42:43] offset:32 glc
	s_waitcnt vmcnt(0)
	v_cmp_eq_u64_e32 vcc, v[0:1], v[2:3]
	v_mov_b32_e32 v3, v1
	s_or_b64 s[18:19], vcc, s[18:19]
	v_mov_b32_e32 v2, v0
	s_andn2_b64 exec, exec, s[18:19]
	s_cbranch_execnz .LBB8_1708
.LBB8_1709:
	s_or_b64 exec, exec, s[16:17]
	v_mov_b32_e32 v3, 0
	global_load_dwordx2 v[0:1], v3, s[42:43] offset:16
	s_mov_b64 s[16:17], exec
	v_mbcnt_lo_u32_b32 v2, s16, 0
	v_mbcnt_hi_u32_b32 v2, s17, v2
	v_cmp_eq_u32_e32 vcc, 0, v2
	s_and_saveexec_b64 s[18:19], vcc
	s_cbranch_execz .LBB8_1711
; %bb.1710:
	s_bcnt1_i32_b64 s15, s[16:17]
	v_mov_b32_e32 v2, s15
	s_waitcnt vmcnt(0)
	global_atomic_add_x2 v[0:1], v[2:3], off offset:8
.LBB8_1711:
	s_or_b64 exec, exec, s[18:19]
	s_waitcnt vmcnt(0)
	global_load_dwordx2 v[2:3], v[0:1], off offset:16
	s_waitcnt vmcnt(0)
	v_cmp_eq_u64_e32 vcc, 0, v[2:3]
	s_cbranch_vccnz .LBB8_1713
; %bb.1712:
	global_load_dword v0, v[0:1], off offset:24
	v_mov_b32_e32 v1, 0
	s_waitcnt vmcnt(0)
	global_store_dwordx2 v[2:3], v[0:1], off
	v_and_b32_e32 v0, 0xffffff, v0
	v_readfirstlane_b32 m0, v0
	s_sendmsg sendmsg(MSG_INTERRUPT)
.LBB8_1713:
	s_or_b64 exec, exec, s[10:11]
	s_branch .LBB8_1717
.LBB8_1714:                             ;   in Loop: Header=BB8_1717 Depth=1
	s_or_b64 exec, exec, s[10:11]
	v_readfirstlane_b32 s10, v0
	s_cmp_eq_u32 s10, 0
	s_cbranch_scc1 .LBB8_1716
; %bb.1715:                             ;   in Loop: Header=BB8_1717 Depth=1
	s_sleep 1
	s_cbranch_execnz .LBB8_1717
	s_branch .LBB8_1719
.LBB8_1716:
	s_branch .LBB8_1719
.LBB8_1717:                             ; =>This Inner Loop Header: Depth=1
	v_mov_b32_e32 v0, 1
	s_and_saveexec_b64 s[10:11], s[4:5]
	s_cbranch_execz .LBB8_1714
; %bb.1718:                             ;   in Loop: Header=BB8_1717 Depth=1
	global_load_dword v0, v[10:11], off offset:20 glc
	s_waitcnt vmcnt(0)
	buffer_wbinvl1_vol
	v_and_b32_e32 v0, 1, v0
	s_branch .LBB8_1714
.LBB8_1719:
	s_and_saveexec_b64 s[10:11], s[4:5]
	s_cbranch_execz .LBB8_1722
; %bb.1720:
	v_mov_b32_e32 v6, 0
	global_load_dwordx2 v[2:3], v6, s[42:43] offset:40
	global_load_dwordx2 v[7:8], v6, s[42:43] offset:24 glc
	global_load_dwordx2 v[4:5], v6, s[42:43]
	v_mov_b32_e32 v1, s7
	s_mov_b64 s[4:5], 0
	s_waitcnt vmcnt(2)
	v_add_co_u32_e32 v9, vcc, 1, v2
	v_addc_co_u32_e32 v10, vcc, 0, v3, vcc
	v_add_co_u32_e32 v0, vcc, s6, v9
	v_addc_co_u32_e32 v1, vcc, v10, v1, vcc
	v_cmp_eq_u64_e32 vcc, 0, v[0:1]
	v_cndmask_b32_e32 v1, v1, v10, vcc
	v_cndmask_b32_e32 v0, v0, v9, vcc
	v_and_b32_e32 v3, v1, v3
	v_and_b32_e32 v2, v0, v2
	v_mul_lo_u32 v3, v3, 24
	v_mul_hi_u32 v9, v2, 24
	v_mul_lo_u32 v10, v2, 24
	s_waitcnt vmcnt(1)
	v_mov_b32_e32 v2, v7
	v_add_u32_e32 v3, v9, v3
	s_waitcnt vmcnt(0)
	v_add_co_u32_e32 v4, vcc, v4, v10
	v_addc_co_u32_e32 v5, vcc, v5, v3, vcc
	global_store_dwordx2 v[4:5], v[7:8], off
	v_mov_b32_e32 v3, v8
	s_waitcnt vmcnt(0)
	global_atomic_cmpswap_x2 v[2:3], v6, v[0:3], s[42:43] offset:24 glc
	s_waitcnt vmcnt(0)
	v_cmp_ne_u64_e32 vcc, v[2:3], v[7:8]
	s_and_b64 exec, exec, vcc
	s_cbranch_execz .LBB8_1722
.LBB8_1721:                             ; =>This Inner Loop Header: Depth=1
	s_sleep 1
	global_store_dwordx2 v[4:5], v[2:3], off
	s_waitcnt vmcnt(0)
	global_atomic_cmpswap_x2 v[7:8], v6, v[0:3], s[42:43] offset:24 glc
	s_waitcnt vmcnt(0)
	v_cmp_eq_u64_e32 vcc, v[7:8], v[2:3]
	v_mov_b32_e32 v2, v7
	s_or_b64 s[4:5], vcc, s[4:5]
	v_mov_b32_e32 v3, v8
	s_andn2_b64 exec, exec, s[4:5]
	s_cbranch_execnz .LBB8_1721
.LBB8_1722:
	s_or_b64 exec, exec, s[10:11]
	flat_load_dwordx2 v[0:1], v[48:49]
	s_waitcnt vmcnt(0) lgkmcnt(0)
	flat_load_dword v2, v[0:1]
	s_waitcnt vmcnt(0) lgkmcnt(0)
	v_add_u32_e32 v2, 1, v2
	flat_store_dword v[0:1], v2
.LBB8_1723:
	s_or_b64 exec, exec, s[40:41]
	s_getpc_b64 s[4:5]
	s_add_u32 s4, s4, _ZN8migraphx4test4failEv@rel32@lo+4
	s_addc_u32 s5, s5, _ZN8migraphx4test4failEv@rel32@hi+12
	s_swappc_b64 s[30:31], s[4:5]
	; divergent unreachable
.LBB8_1724:
	s_or_b64 exec, exec, s[38:39]
	v_readlane_b32 s30, v41, 0
	v_readlane_b32 s31, v41, 1
	;; [unrolled: 1-line block ×3, first 2 shown]
	s_or_saveexec_b64 s[6:7], -1
	buffer_load_dword v41, off, s[0:3], s33 ; 4-byte Folded Reload
	s_mov_b64 exec, s[6:7]
	s_addk_i32 s32, 0xfc00
	s_mov_b32 s33, s4
	s_waitcnt vmcnt(0)
	s_setpc_b64 s[30:31]
.Lfunc_end8:
	.size	_ZN8migraphx4test12test_manager6failedINS0_10expressionINS0_14lhs_expressionINS_17integral_constantIjLj1EEENS0_3nopEEEiNS0_5equalEEEPFvvEEEvRKT_PKcSH_SH_iT0_, .Lfunc_end8-_ZN8migraphx4test12test_manager6failedINS0_10expressionINS0_14lhs_expressionINS_17integral_constantIjLj1EEENS0_3nopEEEiNS0_5equalEEEPFvvEEEvRKT_PKcSH_SH_iT0_
                                        ; -- End function
	.section	.AMDGPU.csdata,"",@progbits
; Function info:
; codeLenInByte = 58796
; NumSgprs: 56
; NumVgprs: 52
; ScratchSize: 32
; MemoryBound: 0
	.text
	.p2align	2                               ; -- Begin function _ZN8migraphx4testlsIKNS_13basic_printerIZNS_4coutEvEUlT_E_EEEERS3_S7_RKNS0_10expressionINS0_14lhs_expressionIiNS0_3nopEEEiNS0_5equalEEE
	.type	_ZN8migraphx4testlsIKNS_13basic_printerIZNS_4coutEvEUlT_E_EEEERS3_S7_RKNS0_10expressionINS0_14lhs_expressionIiNS0_3nopEEEiNS0_5equalEEE,@function
_ZN8migraphx4testlsIKNS_13basic_printerIZNS_4coutEvEUlT_E_EEEERS3_S7_RKNS0_10expressionINS0_14lhs_expressionIiNS0_3nopEEEiNS0_5equalEEE: ; @_ZN8migraphx4testlsIKNS_13basic_printerIZNS_4coutEvEUlT_E_EEEERS3_S7_RKNS0_10expressionINS0_14lhs_expressionIiNS0_3nopEEEiNS0_5equalEEE
; %bb.0:
	s_waitcnt vmcnt(0) expcnt(0) lgkmcnt(0)
	s_mov_b32 s23, s33
	s_mov_b32 s33, s32
	s_or_saveexec_b64 s[4:5], -1
	buffer_store_dword v40, off, s[0:3], s33 ; 4-byte Folded Spill
	s_mov_b64 exec, s[4:5]
	s_addk_i32 s32, 0x400
	v_writelane_b32 v40, s34, 0
	v_writelane_b32 v40, s35, 1
	;; [unrolled: 1-line block ×6, first 2 shown]
	v_mov_b32_e32 v37, v1
	v_mov_b32_e32 v36, v0
	flat_load_dword v31, v[36:37]
	s_load_dwordx2 s[26:27], s[8:9], 0x50
	v_mbcnt_lo_u32_b32 v0, -1, 0
	v_mbcnt_hi_u32_b32 v39, -1, v0
	v_readfirstlane_b32 s4, v39
	v_mov_b32_e32 v5, 0
	s_mov_b64 s[24:25], s[8:9]
	v_mov_b32_e32 v6, 0
	v_cmp_eq_u32_e64 s[4:5], s4, v39
	s_and_saveexec_b64 s[6:7], s[4:5]
	s_cbranch_execz .LBB9_6
; %bb.1:
	v_mov_b32_e32 v0, 0
	s_waitcnt lgkmcnt(0)
	global_load_dwordx2 v[3:4], v0, s[26:27] offset:24 glc
	s_waitcnt vmcnt(0)
	buffer_wbinvl1_vol
	global_load_dwordx2 v[1:2], v0, s[26:27] offset:40
	global_load_dwordx2 v[5:6], v0, s[26:27]
	s_waitcnt vmcnt(1)
	v_and_b32_e32 v1, v1, v3
	v_and_b32_e32 v2, v2, v4
	v_mul_lo_u32 v2, v2, 24
	v_mul_hi_u32 v7, v1, 24
	v_mul_lo_u32 v1, v1, 24
	v_add_u32_e32 v2, v7, v2
	s_waitcnt vmcnt(0)
	v_add_co_u32_e32 v1, vcc, v5, v1
	v_addc_co_u32_e32 v2, vcc, v6, v2, vcc
	global_load_dwordx2 v[1:2], v[1:2], off glc
	s_waitcnt vmcnt(0)
	global_atomic_cmpswap_x2 v[5:6], v0, v[1:4], s[26:27] offset:24 glc
	s_waitcnt vmcnt(0)
	buffer_wbinvl1_vol
	v_cmp_ne_u64_e32 vcc, v[5:6], v[3:4]
	s_and_saveexec_b64 s[10:11], vcc
	s_cbranch_execz .LBB9_5
; %bb.2:
	s_mov_b64 s[12:13], 0
.LBB9_3:                                ; =>This Inner Loop Header: Depth=1
	s_sleep 1
	global_load_dwordx2 v[1:2], v0, s[26:27] offset:40
	global_load_dwordx2 v[7:8], v0, s[26:27]
	v_mov_b32_e32 v3, v5
	v_mov_b32_e32 v4, v6
	s_waitcnt vmcnt(1)
	v_and_b32_e32 v1, v1, v3
	s_waitcnt vmcnt(0)
	v_mad_u64_u32 v[5:6], s[14:15], v1, 24, v[7:8]
	v_and_b32_e32 v2, v2, v4
	v_mov_b32_e32 v1, v6
	v_mad_u64_u32 v[1:2], s[14:15], v2, 24, v[1:2]
	v_mov_b32_e32 v6, v1
	global_load_dwordx2 v[1:2], v[5:6], off glc
	s_waitcnt vmcnt(0)
	global_atomic_cmpswap_x2 v[5:6], v0, v[1:4], s[26:27] offset:24 glc
	s_waitcnt vmcnt(0)
	buffer_wbinvl1_vol
	v_cmp_eq_u64_e32 vcc, v[5:6], v[3:4]
	s_or_b64 s[12:13], vcc, s[12:13]
	s_andn2_b64 exec, exec, s[12:13]
	s_cbranch_execnz .LBB9_3
; %bb.4:
	s_or_b64 exec, exec, s[12:13]
.LBB9_5:
	s_or_b64 exec, exec, s[10:11]
.LBB9_6:
	s_or_b64 exec, exec, s[6:7]
	v_mov_b32_e32 v4, 0
	s_waitcnt lgkmcnt(0)
	global_load_dwordx2 v[7:8], v4, s[26:27] offset:40
	global_load_dwordx4 v[0:3], v4, s[26:27]
	v_readfirstlane_b32 s6, v5
	v_readfirstlane_b32 s7, v6
	s_mov_b64 s[10:11], exec
	s_waitcnt vmcnt(0)
	v_readfirstlane_b32 s12, v7
	v_readfirstlane_b32 s13, v8
	s_and_b64 s[12:13], s[6:7], s[12:13]
	s_mul_i32 s14, s13, 24
	s_mul_hi_u32 s15, s12, 24
	s_mul_i32 s16, s12, 24
	s_add_i32 s14, s15, s14
	v_mov_b32_e32 v5, s14
	v_add_co_u32_e32 v7, vcc, s16, v0
	v_addc_co_u32_e32 v8, vcc, v1, v5, vcc
	s_and_saveexec_b64 s[14:15], s[4:5]
	s_cbranch_execz .LBB9_8
; %bb.7:
	v_mov_b32_e32 v9, s10
	v_mov_b32_e32 v10, s11
	;; [unrolled: 1-line block ×4, first 2 shown]
	global_store_dwordx4 v[7:8], v[9:12], off offset:8
.LBB9_8:
	s_or_b64 exec, exec, s[14:15]
	s_lshl_b64 s[10:11], s[12:13], 12
	v_mov_b32_e32 v5, s11
	v_add_co_u32_e32 v2, vcc, s10, v2
	v_addc_co_u32_e32 v11, vcc, v3, v5, vcc
	s_mov_b32 s12, 0
	v_lshlrev_b32_e32 v38, 6, v39
	v_mov_b32_e32 v3, 33
	v_mov_b32_e32 v5, v4
	;; [unrolled: 1-line block ×3, first 2 shown]
	v_readfirstlane_b32 s10, v2
	v_readfirstlane_b32 s11, v11
	v_add_co_u32_e32 v9, vcc, v2, v38
	s_mov_b32 s13, s12
	s_mov_b32 s14, s12
	;; [unrolled: 1-line block ×3, first 2 shown]
	s_nop 0
	global_store_dwordx4 v38, v[3:6], s[10:11]
	v_mov_b32_e32 v2, s12
	v_addc_co_u32_e32 v10, vcc, 0, v11, vcc
	v_mov_b32_e32 v3, s13
	v_mov_b32_e32 v4, s14
	;; [unrolled: 1-line block ×3, first 2 shown]
	global_store_dwordx4 v38, v[2:5], s[10:11] offset:16
	global_store_dwordx4 v38, v[2:5], s[10:11] offset:32
	;; [unrolled: 1-line block ×3, first 2 shown]
	s_and_saveexec_b64 s[10:11], s[4:5]
	s_cbranch_execz .LBB9_16
; %bb.9:
	v_mov_b32_e32 v6, 0
	global_load_dwordx2 v[13:14], v6, s[26:27] offset:32 glc
	global_load_dwordx2 v[2:3], v6, s[26:27] offset:40
	v_mov_b32_e32 v11, s6
	v_mov_b32_e32 v12, s7
	s_waitcnt vmcnt(0)
	v_and_b32_e32 v2, s6, v2
	v_and_b32_e32 v3, s7, v3
	v_mul_lo_u32 v3, v3, 24
	v_mul_hi_u32 v4, v2, 24
	v_mul_lo_u32 v2, v2, 24
	v_add_u32_e32 v3, v4, v3
	v_add_co_u32_e32 v4, vcc, v0, v2
	v_addc_co_u32_e32 v5, vcc, v1, v3, vcc
	global_store_dwordx2 v[4:5], v[13:14], off
	s_waitcnt vmcnt(0)
	global_atomic_cmpswap_x2 v[2:3], v6, v[11:14], s[26:27] offset:32 glc
	s_waitcnt vmcnt(0)
	v_cmp_ne_u64_e32 vcc, v[2:3], v[13:14]
	s_and_saveexec_b64 s[12:13], vcc
	s_cbranch_execz .LBB9_12
; %bb.10:
	s_mov_b64 s[14:15], 0
.LBB9_11:                               ; =>This Inner Loop Header: Depth=1
	s_sleep 1
	global_store_dwordx2 v[4:5], v[2:3], off
	v_mov_b32_e32 v0, s6
	v_mov_b32_e32 v1, s7
	s_waitcnt vmcnt(0)
	global_atomic_cmpswap_x2 v[0:1], v6, v[0:3], s[26:27] offset:32 glc
	s_waitcnt vmcnt(0)
	v_cmp_eq_u64_e32 vcc, v[0:1], v[2:3]
	v_mov_b32_e32 v3, v1
	s_or_b64 s[14:15], vcc, s[14:15]
	v_mov_b32_e32 v2, v0
	s_andn2_b64 exec, exec, s[14:15]
	s_cbranch_execnz .LBB9_11
.LBB9_12:
	s_or_b64 exec, exec, s[12:13]
	v_mov_b32_e32 v3, 0
	global_load_dwordx2 v[0:1], v3, s[26:27] offset:16
	s_mov_b64 s[12:13], exec
	v_mbcnt_lo_u32_b32 v2, s12, 0
	v_mbcnt_hi_u32_b32 v2, s13, v2
	v_cmp_eq_u32_e32 vcc, 0, v2
	s_and_saveexec_b64 s[14:15], vcc
	s_cbranch_execz .LBB9_14
; %bb.13:
	s_bcnt1_i32_b64 s12, s[12:13]
	v_mov_b32_e32 v2, s12
	s_waitcnt vmcnt(0)
	global_atomic_add_x2 v[0:1], v[2:3], off offset:8
.LBB9_14:
	s_or_b64 exec, exec, s[14:15]
	s_waitcnt vmcnt(0)
	global_load_dwordx2 v[2:3], v[0:1], off offset:16
	s_waitcnt vmcnt(0)
	v_cmp_eq_u64_e32 vcc, 0, v[2:3]
	s_cbranch_vccnz .LBB9_16
; %bb.15:
	global_load_dword v0, v[0:1], off offset:24
	v_mov_b32_e32 v1, 0
	s_waitcnt vmcnt(0)
	global_store_dwordx2 v[2:3], v[0:1], off
	v_and_b32_e32 v0, 0xffffff, v0
	v_readfirstlane_b32 m0, v0
	s_sendmsg sendmsg(MSG_INTERRUPT)
.LBB9_16:
	s_or_b64 exec, exec, s[10:11]
	s_branch .LBB9_20
.LBB9_17:                               ;   in Loop: Header=BB9_20 Depth=1
	s_or_b64 exec, exec, s[10:11]
	v_readfirstlane_b32 s10, v0
	s_cmp_eq_u32 s10, 0
	s_cbranch_scc1 .LBB9_19
; %bb.18:                               ;   in Loop: Header=BB9_20 Depth=1
	s_sleep 1
	s_cbranch_execnz .LBB9_20
	s_branch .LBB9_22
.LBB9_19:
	s_branch .LBB9_22
.LBB9_20:                               ; =>This Inner Loop Header: Depth=1
	v_mov_b32_e32 v0, 1
	s_and_saveexec_b64 s[10:11], s[4:5]
	s_cbranch_execz .LBB9_17
; %bb.21:                               ;   in Loop: Header=BB9_20 Depth=1
	global_load_dword v0, v[7:8], off offset:20 glc
	s_waitcnt vmcnt(0)
	buffer_wbinvl1_vol
	v_and_b32_e32 v0, 1, v0
	s_branch .LBB9_17
.LBB9_22:
	global_load_dwordx2 v[0:1], v[9:10], off
	s_and_saveexec_b64 s[10:11], s[4:5]
	s_cbranch_execz .LBB9_25
; %bb.23:
	v_mov_b32_e32 v8, 0
	global_load_dwordx2 v[4:5], v8, s[26:27] offset:40
	global_load_dwordx2 v[9:10], v8, s[26:27] offset:24 glc
	global_load_dwordx2 v[6:7], v8, s[26:27]
	v_mov_b32_e32 v3, s7
	s_mov_b64 s[4:5], 0
	s_waitcnt vmcnt(2)
	v_add_co_u32_e32 v11, vcc, 1, v4
	v_addc_co_u32_e32 v12, vcc, 0, v5, vcc
	v_add_co_u32_e32 v2, vcc, s6, v11
	v_addc_co_u32_e32 v3, vcc, v12, v3, vcc
	v_cmp_eq_u64_e32 vcc, 0, v[2:3]
	v_cndmask_b32_e32 v3, v3, v12, vcc
	v_cndmask_b32_e32 v2, v2, v11, vcc
	v_and_b32_e32 v5, v3, v5
	v_and_b32_e32 v4, v2, v4
	v_mul_lo_u32 v5, v5, 24
	v_mul_hi_u32 v11, v4, 24
	v_mul_lo_u32 v12, v4, 24
	s_waitcnt vmcnt(1)
	v_mov_b32_e32 v4, v9
	v_add_u32_e32 v5, v11, v5
	s_waitcnt vmcnt(0)
	v_add_co_u32_e32 v6, vcc, v6, v12
	v_addc_co_u32_e32 v7, vcc, v7, v5, vcc
	global_store_dwordx2 v[6:7], v[9:10], off
	v_mov_b32_e32 v5, v10
	s_waitcnt vmcnt(0)
	global_atomic_cmpswap_x2 v[4:5], v8, v[2:5], s[26:27] offset:24 glc
	s_waitcnt vmcnt(0)
	v_cmp_ne_u64_e32 vcc, v[4:5], v[9:10]
	s_and_b64 exec, exec, vcc
	s_cbranch_execz .LBB9_25
.LBB9_24:                               ; =>This Inner Loop Header: Depth=1
	s_sleep 1
	global_store_dwordx2 v[6:7], v[4:5], off
	s_waitcnt vmcnt(0)
	global_atomic_cmpswap_x2 v[9:10], v8, v[2:5], s[26:27] offset:24 glc
	s_waitcnt vmcnt(0)
	v_cmp_eq_u64_e32 vcc, v[9:10], v[4:5]
	v_mov_b32_e32 v4, v9
	s_or_b64 s[4:5], vcc, s[4:5]
	v_mov_b32_e32 v5, v10
	s_andn2_b64 exec, exec, s[4:5]
	s_cbranch_execnz .LBB9_24
.LBB9_25:
	s_or_b64 exec, exec, s[10:11]
	s_getpc_b64 s[6:7]
	s_add_u32 s6, s6, .str.9@rel32@lo+4
	s_addc_u32 s7, s7, .str.9@rel32@hi+12
	s_cmp_lg_u64 s[6:7], 0
	s_cselect_b64 s[28:29], -1, 0
	s_and_b64 vcc, exec, s[28:29]
	s_cbranch_vccz .LBB9_110
; %bb.26:
	s_waitcnt vmcnt(0)
	v_and_b32_e32 v32, 2, v0
	v_mov_b32_e32 v28, 0
	v_and_b32_e32 v2, -3, v0
	v_mov_b32_e32 v3, v1
	s_mov_b64 s[10:11], 4
	v_mov_b32_e32 v6, 2
	v_mov_b32_e32 v7, 1
	s_branch .LBB9_28
.LBB9_27:                               ;   in Loop: Header=BB9_28 Depth=1
	s_or_b64 exec, exec, s[16:17]
	s_sub_u32 s10, s10, s12
	s_subb_u32 s11, s11, s13
	s_add_u32 s6, s6, s12
	s_addc_u32 s7, s7, s13
	s_cmp_lg_u64 s[10:11], 0
	s_cbranch_scc0 .LBB9_109
.LBB9_28:                               ; =>This Loop Header: Depth=1
                                        ;     Child Loop BB9_31 Depth 2
                                        ;     Child Loop BB9_38 Depth 2
	;; [unrolled: 1-line block ×11, first 2 shown]
	v_cmp_lt_u64_e64 s[4:5], s[10:11], 56
	v_cmp_gt_u64_e64 s[14:15], s[10:11], 7
	s_and_b64 s[4:5], s[4:5], exec
	s_cselect_b32 s13, s11, 0
	s_cselect_b32 s12, s10, 56
	s_and_b64 vcc, exec, s[14:15]
	s_cbranch_vccnz .LBB9_33
; %bb.29:                               ;   in Loop: Header=BB9_28 Depth=1
	v_mov_b32_e32 v10, 0
	s_cmp_eq_u64 s[10:11], 0
	v_mov_b32_e32 v11, 0
	s_mov_b64 s[4:5], 0
	s_cbranch_scc1 .LBB9_32
; %bb.30:                               ;   in Loop: Header=BB9_28 Depth=1
	v_mov_b32_e32 v10, 0
	s_lshl_b64 s[14:15], s[12:13], 3
	s_mov_b64 s[16:17], 0
	v_mov_b32_e32 v11, 0
	s_mov_b64 s[18:19], s[6:7]
.LBB9_31:                               ;   Parent Loop BB9_28 Depth=1
                                        ; =>  This Inner Loop Header: Depth=2
	global_load_ubyte v4, v28, s[18:19]
	s_waitcnt vmcnt(0)
	v_and_b32_e32 v27, 0xffff, v4
	v_lshlrev_b64 v[4:5], s16, v[27:28]
	s_add_u32 s16, s16, 8
	s_addc_u32 s17, s17, 0
	s_add_u32 s18, s18, 1
	s_addc_u32 s19, s19, 0
	v_or_b32_e32 v10, v4, v10
	s_cmp_lg_u32 s14, s16
	v_or_b32_e32 v11, v5, v11
	s_cbranch_scc1 .LBB9_31
.LBB9_32:                               ;   in Loop: Header=BB9_28 Depth=1
	s_mov_b32 s18, 0
	s_andn2_b64 vcc, exec, s[4:5]
	s_mov_b64 s[4:5], s[6:7]
	s_cbranch_vccz .LBB9_34
	s_branch .LBB9_35
.LBB9_33:                               ;   in Loop: Header=BB9_28 Depth=1
                                        ; implicit-def: $vgpr10_vgpr11
                                        ; implicit-def: $sgpr18
	s_mov_b64 s[4:5], s[6:7]
.LBB9_34:                               ;   in Loop: Header=BB9_28 Depth=1
	global_load_dwordx2 v[10:11], v28, s[6:7]
	s_add_i32 s18, s12, -8
	s_add_u32 s4, s6, 8
	s_addc_u32 s5, s7, 0
.LBB9_35:                               ;   in Loop: Header=BB9_28 Depth=1
	s_cmp_gt_u32 s18, 7
	s_cbranch_scc1 .LBB9_39
; %bb.36:                               ;   in Loop: Header=BB9_28 Depth=1
	s_cmp_eq_u32 s18, 0
	s_cbranch_scc1 .LBB9_40
; %bb.37:                               ;   in Loop: Header=BB9_28 Depth=1
	v_mov_b32_e32 v12, 0
	s_mov_b64 s[14:15], 0
	v_mov_b32_e32 v13, 0
	s_mov_b64 s[16:17], 0
.LBB9_38:                               ;   Parent Loop BB9_28 Depth=1
                                        ; =>  This Inner Loop Header: Depth=2
	s_add_u32 s20, s4, s16
	s_addc_u32 s21, s5, s17
	global_load_ubyte v4, v28, s[20:21]
	s_add_u32 s16, s16, 1
	s_addc_u32 s17, s17, 0
	s_waitcnt vmcnt(0)
	v_and_b32_e32 v27, 0xffff, v4
	v_lshlrev_b64 v[4:5], s14, v[27:28]
	s_add_u32 s14, s14, 8
	s_addc_u32 s15, s15, 0
	v_or_b32_e32 v12, v4, v12
	s_cmp_lg_u32 s18, s16
	v_or_b32_e32 v13, v5, v13
	s_cbranch_scc1 .LBB9_38
	s_branch .LBB9_41
.LBB9_39:                               ;   in Loop: Header=BB9_28 Depth=1
                                        ; implicit-def: $vgpr12_vgpr13
                                        ; implicit-def: $sgpr19
	s_branch .LBB9_42
.LBB9_40:                               ;   in Loop: Header=BB9_28 Depth=1
	v_mov_b32_e32 v12, 0
	v_mov_b32_e32 v13, 0
.LBB9_41:                               ;   in Loop: Header=BB9_28 Depth=1
	s_mov_b32 s19, 0
	s_cbranch_execnz .LBB9_43
.LBB9_42:                               ;   in Loop: Header=BB9_28 Depth=1
	global_load_dwordx2 v[12:13], v28, s[4:5]
	s_add_i32 s19, s18, -8
	s_add_u32 s4, s4, 8
	s_addc_u32 s5, s5, 0
.LBB9_43:                               ;   in Loop: Header=BB9_28 Depth=1
	s_cmp_gt_u32 s19, 7
	s_cbranch_scc1 .LBB9_47
; %bb.44:                               ;   in Loop: Header=BB9_28 Depth=1
	s_cmp_eq_u32 s19, 0
	s_cbranch_scc1 .LBB9_48
; %bb.45:                               ;   in Loop: Header=BB9_28 Depth=1
	v_mov_b32_e32 v14, 0
	s_mov_b64 s[14:15], 0
	v_mov_b32_e32 v15, 0
	s_mov_b64 s[16:17], 0
.LBB9_46:                               ;   Parent Loop BB9_28 Depth=1
                                        ; =>  This Inner Loop Header: Depth=2
	s_add_u32 s20, s4, s16
	s_addc_u32 s21, s5, s17
	global_load_ubyte v4, v28, s[20:21]
	s_add_u32 s16, s16, 1
	s_addc_u32 s17, s17, 0
	s_waitcnt vmcnt(0)
	v_and_b32_e32 v27, 0xffff, v4
	v_lshlrev_b64 v[4:5], s14, v[27:28]
	s_add_u32 s14, s14, 8
	s_addc_u32 s15, s15, 0
	v_or_b32_e32 v14, v4, v14
	s_cmp_lg_u32 s19, s16
	v_or_b32_e32 v15, v5, v15
	s_cbranch_scc1 .LBB9_46
	s_branch .LBB9_49
.LBB9_47:                               ;   in Loop: Header=BB9_28 Depth=1
                                        ; implicit-def: $sgpr18
	s_branch .LBB9_50
.LBB9_48:                               ;   in Loop: Header=BB9_28 Depth=1
	v_mov_b32_e32 v14, 0
	v_mov_b32_e32 v15, 0
.LBB9_49:                               ;   in Loop: Header=BB9_28 Depth=1
	s_mov_b32 s18, 0
	s_cbranch_execnz .LBB9_51
.LBB9_50:                               ;   in Loop: Header=BB9_28 Depth=1
	global_load_dwordx2 v[14:15], v28, s[4:5]
	s_add_i32 s18, s19, -8
	s_add_u32 s4, s4, 8
	s_addc_u32 s5, s5, 0
.LBB9_51:                               ;   in Loop: Header=BB9_28 Depth=1
	s_cmp_gt_u32 s18, 7
	s_cbranch_scc1 .LBB9_55
; %bb.52:                               ;   in Loop: Header=BB9_28 Depth=1
	s_cmp_eq_u32 s18, 0
	s_cbranch_scc1 .LBB9_56
; %bb.53:                               ;   in Loop: Header=BB9_28 Depth=1
	v_mov_b32_e32 v16, 0
	s_mov_b64 s[14:15], 0
	v_mov_b32_e32 v17, 0
	s_mov_b64 s[16:17], 0
.LBB9_54:                               ;   Parent Loop BB9_28 Depth=1
                                        ; =>  This Inner Loop Header: Depth=2
	s_add_u32 s20, s4, s16
	s_addc_u32 s21, s5, s17
	global_load_ubyte v4, v28, s[20:21]
	s_add_u32 s16, s16, 1
	s_addc_u32 s17, s17, 0
	s_waitcnt vmcnt(0)
	v_and_b32_e32 v27, 0xffff, v4
	v_lshlrev_b64 v[4:5], s14, v[27:28]
	s_add_u32 s14, s14, 8
	s_addc_u32 s15, s15, 0
	v_or_b32_e32 v16, v4, v16
	s_cmp_lg_u32 s18, s16
	v_or_b32_e32 v17, v5, v17
	s_cbranch_scc1 .LBB9_54
	s_branch .LBB9_57
.LBB9_55:                               ;   in Loop: Header=BB9_28 Depth=1
                                        ; implicit-def: $vgpr16_vgpr17
                                        ; implicit-def: $sgpr19
	s_branch .LBB9_58
.LBB9_56:                               ;   in Loop: Header=BB9_28 Depth=1
	v_mov_b32_e32 v16, 0
	v_mov_b32_e32 v17, 0
.LBB9_57:                               ;   in Loop: Header=BB9_28 Depth=1
	s_mov_b32 s19, 0
	s_cbranch_execnz .LBB9_59
.LBB9_58:                               ;   in Loop: Header=BB9_28 Depth=1
	global_load_dwordx2 v[16:17], v28, s[4:5]
	s_add_i32 s19, s18, -8
	s_add_u32 s4, s4, 8
	s_addc_u32 s5, s5, 0
.LBB9_59:                               ;   in Loop: Header=BB9_28 Depth=1
	s_cmp_gt_u32 s19, 7
	s_cbranch_scc1 .LBB9_63
; %bb.60:                               ;   in Loop: Header=BB9_28 Depth=1
	s_cmp_eq_u32 s19, 0
	s_cbranch_scc1 .LBB9_64
; %bb.61:                               ;   in Loop: Header=BB9_28 Depth=1
	v_mov_b32_e32 v18, 0
	s_mov_b64 s[14:15], 0
	v_mov_b32_e32 v19, 0
	s_mov_b64 s[16:17], 0
.LBB9_62:                               ;   Parent Loop BB9_28 Depth=1
                                        ; =>  This Inner Loop Header: Depth=2
	s_add_u32 s20, s4, s16
	s_addc_u32 s21, s5, s17
	global_load_ubyte v4, v28, s[20:21]
	s_add_u32 s16, s16, 1
	s_addc_u32 s17, s17, 0
	s_waitcnt vmcnt(0)
	v_and_b32_e32 v27, 0xffff, v4
	v_lshlrev_b64 v[4:5], s14, v[27:28]
	s_add_u32 s14, s14, 8
	s_addc_u32 s15, s15, 0
	v_or_b32_e32 v18, v4, v18
	s_cmp_lg_u32 s19, s16
	v_or_b32_e32 v19, v5, v19
	s_cbranch_scc1 .LBB9_62
	s_branch .LBB9_65
.LBB9_63:                               ;   in Loop: Header=BB9_28 Depth=1
                                        ; implicit-def: $sgpr18
	s_branch .LBB9_66
.LBB9_64:                               ;   in Loop: Header=BB9_28 Depth=1
	v_mov_b32_e32 v18, 0
	v_mov_b32_e32 v19, 0
.LBB9_65:                               ;   in Loop: Header=BB9_28 Depth=1
	s_mov_b32 s18, 0
	s_cbranch_execnz .LBB9_67
.LBB9_66:                               ;   in Loop: Header=BB9_28 Depth=1
	global_load_dwordx2 v[18:19], v28, s[4:5]
	s_add_i32 s18, s19, -8
	s_add_u32 s4, s4, 8
	s_addc_u32 s5, s5, 0
.LBB9_67:                               ;   in Loop: Header=BB9_28 Depth=1
	s_cmp_gt_u32 s18, 7
	s_cbranch_scc1 .LBB9_71
; %bb.68:                               ;   in Loop: Header=BB9_28 Depth=1
	s_cmp_eq_u32 s18, 0
	s_cbranch_scc1 .LBB9_72
; %bb.69:                               ;   in Loop: Header=BB9_28 Depth=1
	v_mov_b32_e32 v20, 0
	s_mov_b64 s[14:15], 0
	v_mov_b32_e32 v21, 0
	s_mov_b64 s[16:17], 0
.LBB9_70:                               ;   Parent Loop BB9_28 Depth=1
                                        ; =>  This Inner Loop Header: Depth=2
	s_add_u32 s20, s4, s16
	s_addc_u32 s21, s5, s17
	global_load_ubyte v4, v28, s[20:21]
	s_add_u32 s16, s16, 1
	s_addc_u32 s17, s17, 0
	s_waitcnt vmcnt(0)
	v_and_b32_e32 v27, 0xffff, v4
	v_lshlrev_b64 v[4:5], s14, v[27:28]
	s_add_u32 s14, s14, 8
	s_addc_u32 s15, s15, 0
	v_or_b32_e32 v20, v4, v20
	s_cmp_lg_u32 s18, s16
	v_or_b32_e32 v21, v5, v21
	s_cbranch_scc1 .LBB9_70
	s_branch .LBB9_73
.LBB9_71:                               ;   in Loop: Header=BB9_28 Depth=1
                                        ; implicit-def: $vgpr20_vgpr21
                                        ; implicit-def: $sgpr19
	s_branch .LBB9_74
.LBB9_72:                               ;   in Loop: Header=BB9_28 Depth=1
	v_mov_b32_e32 v20, 0
	v_mov_b32_e32 v21, 0
.LBB9_73:                               ;   in Loop: Header=BB9_28 Depth=1
	s_mov_b32 s19, 0
	s_cbranch_execnz .LBB9_75
.LBB9_74:                               ;   in Loop: Header=BB9_28 Depth=1
	global_load_dwordx2 v[20:21], v28, s[4:5]
	s_add_i32 s19, s18, -8
	s_add_u32 s4, s4, 8
	s_addc_u32 s5, s5, 0
.LBB9_75:                               ;   in Loop: Header=BB9_28 Depth=1
	s_cmp_gt_u32 s19, 7
	s_cbranch_scc1 .LBB9_79
; %bb.76:                               ;   in Loop: Header=BB9_28 Depth=1
	s_cmp_eq_u32 s19, 0
	s_cbranch_scc1 .LBB9_80
; %bb.77:                               ;   in Loop: Header=BB9_28 Depth=1
	v_mov_b32_e32 v22, 0
	s_mov_b64 s[14:15], 0
	v_mov_b32_e32 v23, 0
	s_mov_b64 s[16:17], s[4:5]
.LBB9_78:                               ;   Parent Loop BB9_28 Depth=1
                                        ; =>  This Inner Loop Header: Depth=2
	global_load_ubyte v4, v28, s[16:17]
	s_add_i32 s19, s19, -1
	s_waitcnt vmcnt(0)
	v_and_b32_e32 v27, 0xffff, v4
	v_lshlrev_b64 v[4:5], s14, v[27:28]
	s_add_u32 s14, s14, 8
	s_addc_u32 s15, s15, 0
	s_add_u32 s16, s16, 1
	s_addc_u32 s17, s17, 0
	v_or_b32_e32 v22, v4, v22
	s_cmp_lg_u32 s19, 0
	v_or_b32_e32 v23, v5, v23
	s_cbranch_scc1 .LBB9_78
	s_branch .LBB9_81
.LBB9_79:                               ;   in Loop: Header=BB9_28 Depth=1
	s_branch .LBB9_82
.LBB9_80:                               ;   in Loop: Header=BB9_28 Depth=1
	v_mov_b32_e32 v22, 0
	v_mov_b32_e32 v23, 0
.LBB9_81:                               ;   in Loop: Header=BB9_28 Depth=1
	s_cbranch_execnz .LBB9_83
.LBB9_82:                               ;   in Loop: Header=BB9_28 Depth=1
	global_load_dwordx2 v[22:23], v28, s[4:5]
.LBB9_83:                               ;   in Loop: Header=BB9_28 Depth=1
	v_readfirstlane_b32 s4, v39
	s_waitcnt vmcnt(0)
	v_mov_b32_e32 v4, 0
	v_mov_b32_e32 v5, 0
	v_cmp_eq_u32_e64 s[4:5], s4, v39
	s_and_saveexec_b64 s[14:15], s[4:5]
	s_cbranch_execz .LBB9_89
; %bb.84:                               ;   in Loop: Header=BB9_28 Depth=1
	global_load_dwordx2 v[26:27], v28, s[26:27] offset:24 glc
	s_waitcnt vmcnt(0)
	buffer_wbinvl1_vol
	global_load_dwordx2 v[4:5], v28, s[26:27] offset:40
	global_load_dwordx2 v[8:9], v28, s[26:27]
	s_waitcnt vmcnt(1)
	v_and_b32_e32 v4, v4, v26
	v_and_b32_e32 v5, v5, v27
	v_mul_lo_u32 v5, v5, 24
	v_mul_hi_u32 v24, v4, 24
	v_mul_lo_u32 v4, v4, 24
	v_add_u32_e32 v5, v24, v5
	s_waitcnt vmcnt(0)
	v_add_co_u32_e32 v4, vcc, v8, v4
	v_addc_co_u32_e32 v5, vcc, v9, v5, vcc
	global_load_dwordx2 v[24:25], v[4:5], off glc
	s_waitcnt vmcnt(0)
	global_atomic_cmpswap_x2 v[4:5], v28, v[24:27], s[26:27] offset:24 glc
	s_waitcnt vmcnt(0)
	buffer_wbinvl1_vol
	v_cmp_ne_u64_e32 vcc, v[4:5], v[26:27]
	s_and_saveexec_b64 s[16:17], vcc
	s_cbranch_execz .LBB9_88
; %bb.85:                               ;   in Loop: Header=BB9_28 Depth=1
	s_mov_b64 s[18:19], 0
.LBB9_86:                               ;   Parent Loop BB9_28 Depth=1
                                        ; =>  This Inner Loop Header: Depth=2
	s_sleep 1
	global_load_dwordx2 v[8:9], v28, s[26:27] offset:40
	global_load_dwordx2 v[24:25], v28, s[26:27]
	v_mov_b32_e32 v27, v5
	v_mov_b32_e32 v26, v4
	s_waitcnt vmcnt(1)
	v_and_b32_e32 v4, v8, v26
	s_waitcnt vmcnt(0)
	v_mad_u64_u32 v[4:5], s[20:21], v4, 24, v[24:25]
	v_and_b32_e32 v8, v9, v27
	v_mad_u64_u32 v[8:9], s[20:21], v8, 24, v[5:6]
	v_mov_b32_e32 v5, v8
	global_load_dwordx2 v[24:25], v[4:5], off glc
	s_waitcnt vmcnt(0)
	global_atomic_cmpswap_x2 v[4:5], v28, v[24:27], s[26:27] offset:24 glc
	s_waitcnt vmcnt(0)
	buffer_wbinvl1_vol
	v_cmp_eq_u64_e32 vcc, v[4:5], v[26:27]
	s_or_b64 s[18:19], vcc, s[18:19]
	s_andn2_b64 exec, exec, s[18:19]
	s_cbranch_execnz .LBB9_86
; %bb.87:                               ;   in Loop: Header=BB9_28 Depth=1
	s_or_b64 exec, exec, s[18:19]
.LBB9_88:                               ;   in Loop: Header=BB9_28 Depth=1
	s_or_b64 exec, exec, s[16:17]
.LBB9_89:                               ;   in Loop: Header=BB9_28 Depth=1
	s_or_b64 exec, exec, s[14:15]
	global_load_dwordx2 v[8:9], v28, s[26:27] offset:40
	global_load_dwordx4 v[24:27], v28, s[26:27]
	v_readfirstlane_b32 s14, v4
	v_readfirstlane_b32 s15, v5
	s_mov_b64 s[16:17], exec
	s_waitcnt vmcnt(1)
	v_readfirstlane_b32 s18, v8
	v_readfirstlane_b32 s19, v9
	s_and_b64 s[18:19], s[14:15], s[18:19]
	s_mul_i32 s20, s19, 24
	s_mul_hi_u32 s21, s18, 24
	s_mul_i32 s22, s18, 24
	s_add_i32 s20, s21, s20
	v_mov_b32_e32 v4, s20
	s_waitcnt vmcnt(0)
	v_add_co_u32_e32 v29, vcc, s22, v24
	v_addc_co_u32_e32 v30, vcc, v25, v4, vcc
	s_and_saveexec_b64 s[20:21], s[4:5]
	s_cbranch_execz .LBB9_91
; %bb.90:                               ;   in Loop: Header=BB9_28 Depth=1
	v_mov_b32_e32 v4, s16
	v_mov_b32_e32 v5, s17
	global_store_dwordx4 v[29:30], v[4:7], off offset:8
.LBB9_91:                               ;   in Loop: Header=BB9_28 Depth=1
	s_or_b64 exec, exec, s[20:21]
	s_lshl_b64 s[16:17], s[18:19], 12
	v_mov_b32_e32 v4, s17
	v_add_co_u32_e32 v26, vcc, s16, v26
	v_addc_co_u32_e32 v33, vcc, v27, v4, vcc
	v_cmp_gt_u64_e64 vcc, s[10:11], 56
	v_or_b32_e32 v5, v2, v32
	s_lshl_b32 s16, s12, 2
	v_cndmask_b32_e32 v2, v5, v2, vcc
	s_add_i32 s16, s16, 28
	v_or_b32_e32 v4, 0, v3
	s_and_b32 s16, s16, 0x1e0
	v_and_b32_e32 v2, 0xffffff1f, v2
	v_cndmask_b32_e32 v9, v4, v3, vcc
	v_or_b32_e32 v8, s16, v2
	v_readfirstlane_b32 s16, v26
	v_readfirstlane_b32 s17, v33
	s_nop 4
	global_store_dwordx4 v38, v[8:11], s[16:17]
	global_store_dwordx4 v38, v[12:15], s[16:17] offset:16
	global_store_dwordx4 v38, v[16:19], s[16:17] offset:32
	;; [unrolled: 1-line block ×3, first 2 shown]
	s_and_saveexec_b64 s[16:17], s[4:5]
	s_cbranch_execz .LBB9_99
; %bb.92:                               ;   in Loop: Header=BB9_28 Depth=1
	global_load_dwordx2 v[12:13], v28, s[26:27] offset:32 glc
	global_load_dwordx2 v[2:3], v28, s[26:27] offset:40
	v_mov_b32_e32 v10, s14
	v_mov_b32_e32 v11, s15
	s_waitcnt vmcnt(0)
	v_readfirstlane_b32 s18, v2
	v_readfirstlane_b32 s19, v3
	s_and_b64 s[18:19], s[18:19], s[14:15]
	s_mul_i32 s19, s19, 24
	s_mul_hi_u32 s20, s18, 24
	s_mul_i32 s18, s18, 24
	s_add_i32 s19, s20, s19
	v_mov_b32_e32 v2, s19
	v_add_co_u32_e32 v8, vcc, s18, v24
	v_addc_co_u32_e32 v9, vcc, v25, v2, vcc
	global_store_dwordx2 v[8:9], v[12:13], off
	s_waitcnt vmcnt(0)
	global_atomic_cmpswap_x2 v[4:5], v28, v[10:13], s[26:27] offset:32 glc
	s_waitcnt vmcnt(0)
	v_cmp_ne_u64_e32 vcc, v[4:5], v[12:13]
	s_and_saveexec_b64 s[18:19], vcc
	s_cbranch_execz .LBB9_95
; %bb.93:                               ;   in Loop: Header=BB9_28 Depth=1
	s_mov_b64 s[20:21], 0
.LBB9_94:                               ;   Parent Loop BB9_28 Depth=1
                                        ; =>  This Inner Loop Header: Depth=2
	s_sleep 1
	global_store_dwordx2 v[8:9], v[4:5], off
	v_mov_b32_e32 v2, s14
	v_mov_b32_e32 v3, s15
	s_waitcnt vmcnt(0)
	global_atomic_cmpswap_x2 v[2:3], v28, v[2:5], s[26:27] offset:32 glc
	s_waitcnt vmcnt(0)
	v_cmp_eq_u64_e32 vcc, v[2:3], v[4:5]
	v_mov_b32_e32 v5, v3
	s_or_b64 s[20:21], vcc, s[20:21]
	v_mov_b32_e32 v4, v2
	s_andn2_b64 exec, exec, s[20:21]
	s_cbranch_execnz .LBB9_94
.LBB9_95:                               ;   in Loop: Header=BB9_28 Depth=1
	s_or_b64 exec, exec, s[18:19]
	global_load_dwordx2 v[2:3], v28, s[26:27] offset:16
	s_mov_b64 s[20:21], exec
	v_mbcnt_lo_u32_b32 v4, s20, 0
	v_mbcnt_hi_u32_b32 v4, s21, v4
	v_cmp_eq_u32_e32 vcc, 0, v4
	s_and_saveexec_b64 s[18:19], vcc
	s_cbranch_execz .LBB9_97
; %bb.96:                               ;   in Loop: Header=BB9_28 Depth=1
	s_bcnt1_i32_b64 s20, s[20:21]
	v_mov_b32_e32 v27, s20
	s_waitcnt vmcnt(0)
	global_atomic_add_x2 v[2:3], v[27:28], off offset:8
.LBB9_97:                               ;   in Loop: Header=BB9_28 Depth=1
	s_or_b64 exec, exec, s[18:19]
	s_waitcnt vmcnt(0)
	global_load_dwordx2 v[4:5], v[2:3], off offset:16
	s_waitcnt vmcnt(0)
	v_cmp_eq_u64_e32 vcc, 0, v[4:5]
	s_cbranch_vccnz .LBB9_99
; %bb.98:                               ;   in Loop: Header=BB9_28 Depth=1
	global_load_dword v27, v[2:3], off offset:24
	s_waitcnt vmcnt(0)
	v_and_b32_e32 v2, 0xffffff, v27
	v_readfirstlane_b32 m0, v2
	global_store_dwordx2 v[4:5], v[27:28], off
	s_sendmsg sendmsg(MSG_INTERRUPT)
.LBB9_99:                               ;   in Loop: Header=BB9_28 Depth=1
	s_or_b64 exec, exec, s[16:17]
	v_add_co_u32_e32 v2, vcc, v26, v38
	v_addc_co_u32_e32 v3, vcc, 0, v33, vcc
	s_branch .LBB9_103
.LBB9_100:                              ;   in Loop: Header=BB9_103 Depth=2
	s_or_b64 exec, exec, s[16:17]
	v_readfirstlane_b32 s16, v4
	s_cmp_eq_u32 s16, 0
	s_cbranch_scc1 .LBB9_102
; %bb.101:                              ;   in Loop: Header=BB9_103 Depth=2
	s_sleep 1
	s_cbranch_execnz .LBB9_103
	s_branch .LBB9_105
.LBB9_102:                              ;   in Loop: Header=BB9_28 Depth=1
	s_branch .LBB9_105
.LBB9_103:                              ;   Parent Loop BB9_28 Depth=1
                                        ; =>  This Inner Loop Header: Depth=2
	v_mov_b32_e32 v4, 1
	s_and_saveexec_b64 s[16:17], s[4:5]
	s_cbranch_execz .LBB9_100
; %bb.104:                              ;   in Loop: Header=BB9_103 Depth=2
	global_load_dword v4, v[29:30], off offset:20 glc
	s_waitcnt vmcnt(0)
	buffer_wbinvl1_vol
	v_and_b32_e32 v4, 1, v4
	s_branch .LBB9_100
.LBB9_105:                              ;   in Loop: Header=BB9_28 Depth=1
	global_load_dwordx4 v[2:5], v[2:3], off
	s_and_saveexec_b64 s[16:17], s[4:5]
	s_cbranch_execz .LBB9_27
; %bb.106:                              ;   in Loop: Header=BB9_28 Depth=1
	global_load_dwordx2 v[4:5], v28, s[26:27] offset:40
	global_load_dwordx2 v[12:13], v28, s[26:27] offset:24 glc
	global_load_dwordx2 v[14:15], v28, s[26:27]
	v_mov_b32_e32 v9, s15
	s_waitcnt vmcnt(2)
	v_add_co_u32_e32 v10, vcc, 1, v4
	v_addc_co_u32_e32 v11, vcc, 0, v5, vcc
	v_add_co_u32_e32 v8, vcc, s14, v10
	v_addc_co_u32_e32 v9, vcc, v11, v9, vcc
	v_cmp_eq_u64_e32 vcc, 0, v[8:9]
	v_cndmask_b32_e32 v9, v9, v11, vcc
	v_cndmask_b32_e32 v8, v8, v10, vcc
	v_and_b32_e32 v5, v9, v5
	v_and_b32_e32 v4, v8, v4
	v_mul_lo_u32 v5, v5, 24
	v_mul_hi_u32 v11, v4, 24
	v_mul_lo_u32 v4, v4, 24
	s_waitcnt vmcnt(1)
	v_mov_b32_e32 v10, v12
	v_add_u32_e32 v5, v11, v5
	s_waitcnt vmcnt(0)
	v_add_co_u32_e32 v4, vcc, v14, v4
	v_addc_co_u32_e32 v5, vcc, v15, v5, vcc
	global_store_dwordx2 v[4:5], v[12:13], off
	v_mov_b32_e32 v11, v13
	s_waitcnt vmcnt(0)
	global_atomic_cmpswap_x2 v[10:11], v28, v[8:11], s[26:27] offset:24 glc
	s_waitcnt vmcnt(0)
	v_cmp_ne_u64_e32 vcc, v[10:11], v[12:13]
	s_and_b64 exec, exec, vcc
	s_cbranch_execz .LBB9_27
; %bb.107:                              ;   in Loop: Header=BB9_28 Depth=1
	s_mov_b64 s[4:5], 0
.LBB9_108:                              ;   Parent Loop BB9_28 Depth=1
                                        ; =>  This Inner Loop Header: Depth=2
	s_sleep 1
	global_store_dwordx2 v[4:5], v[10:11], off
	s_waitcnt vmcnt(0)
	global_atomic_cmpswap_x2 v[12:13], v28, v[8:11], s[26:27] offset:24 glc
	s_waitcnt vmcnt(0)
	v_cmp_eq_u64_e32 vcc, v[12:13], v[10:11]
	v_mov_b32_e32 v10, v12
	s_or_b64 s[4:5], vcc, s[4:5]
	v_mov_b32_e32 v11, v13
	s_andn2_b64 exec, exec, s[4:5]
	s_cbranch_execnz .LBB9_108
	s_branch .LBB9_27
.LBB9_109:
	s_branch .LBB9_137
.LBB9_110:
                                        ; implicit-def: $vgpr2_vgpr3
	s_cbranch_execz .LBB9_137
; %bb.111:
	v_readfirstlane_b32 s4, v39
	v_mov_b32_e32 v8, 0
	v_mov_b32_e32 v9, 0
	v_cmp_eq_u32_e64 s[4:5], s4, v39
	s_and_saveexec_b64 s[6:7], s[4:5]
	s_cbranch_execz .LBB9_117
; %bb.112:
	s_waitcnt vmcnt(0)
	v_mov_b32_e32 v2, 0
	global_load_dwordx2 v[5:6], v2, s[26:27] offset:24 glc
	s_waitcnt vmcnt(0)
	buffer_wbinvl1_vol
	global_load_dwordx2 v[3:4], v2, s[26:27] offset:40
	global_load_dwordx2 v[7:8], v2, s[26:27]
	s_waitcnt vmcnt(1)
	v_and_b32_e32 v3, v3, v5
	v_and_b32_e32 v4, v4, v6
	v_mul_lo_u32 v4, v4, 24
	v_mul_hi_u32 v9, v3, 24
	v_mul_lo_u32 v3, v3, 24
	v_add_u32_e32 v4, v9, v4
	s_waitcnt vmcnt(0)
	v_add_co_u32_e32 v3, vcc, v7, v3
	v_addc_co_u32_e32 v4, vcc, v8, v4, vcc
	global_load_dwordx2 v[3:4], v[3:4], off glc
	s_waitcnt vmcnt(0)
	global_atomic_cmpswap_x2 v[8:9], v2, v[3:6], s[26:27] offset:24 glc
	s_waitcnt vmcnt(0)
	buffer_wbinvl1_vol
	v_cmp_ne_u64_e32 vcc, v[8:9], v[5:6]
	s_and_saveexec_b64 s[10:11], vcc
	s_cbranch_execz .LBB9_116
; %bb.113:
	s_mov_b64 s[12:13], 0
.LBB9_114:                              ; =>This Inner Loop Header: Depth=1
	s_sleep 1
	global_load_dwordx2 v[3:4], v2, s[26:27] offset:40
	global_load_dwordx2 v[10:11], v2, s[26:27]
	v_mov_b32_e32 v5, v8
	v_mov_b32_e32 v6, v9
	s_waitcnt vmcnt(1)
	v_and_b32_e32 v3, v3, v5
	s_waitcnt vmcnt(0)
	v_mad_u64_u32 v[7:8], s[14:15], v3, 24, v[10:11]
	v_and_b32_e32 v4, v4, v6
	v_mov_b32_e32 v3, v8
	v_mad_u64_u32 v[3:4], s[14:15], v4, 24, v[3:4]
	v_mov_b32_e32 v8, v3
	global_load_dwordx2 v[3:4], v[7:8], off glc
	s_waitcnt vmcnt(0)
	global_atomic_cmpswap_x2 v[8:9], v2, v[3:6], s[26:27] offset:24 glc
	s_waitcnt vmcnt(0)
	buffer_wbinvl1_vol
	v_cmp_eq_u64_e32 vcc, v[8:9], v[5:6]
	s_or_b64 s[12:13], vcc, s[12:13]
	s_andn2_b64 exec, exec, s[12:13]
	s_cbranch_execnz .LBB9_114
; %bb.115:
	s_or_b64 exec, exec, s[12:13]
.LBB9_116:
	s_or_b64 exec, exec, s[10:11]
.LBB9_117:
	s_or_b64 exec, exec, s[6:7]
	s_waitcnt vmcnt(0)
	v_mov_b32_e32 v2, 0
	global_load_dwordx2 v[10:11], v2, s[26:27] offset:40
	global_load_dwordx4 v[4:7], v2, s[26:27]
	v_readfirstlane_b32 s6, v8
	v_readfirstlane_b32 s7, v9
	s_mov_b64 s[10:11], exec
	s_waitcnt vmcnt(1)
	v_readfirstlane_b32 s12, v10
	v_readfirstlane_b32 s13, v11
	s_and_b64 s[12:13], s[6:7], s[12:13]
	s_mul_i32 s14, s13, 24
	s_mul_hi_u32 s15, s12, 24
	s_mul_i32 s16, s12, 24
	s_add_i32 s14, s15, s14
	v_mov_b32_e32 v3, s14
	s_waitcnt vmcnt(0)
	v_add_co_u32_e32 v8, vcc, s16, v4
	v_addc_co_u32_e32 v9, vcc, v5, v3, vcc
	s_and_saveexec_b64 s[14:15], s[4:5]
	s_cbranch_execz .LBB9_119
; %bb.118:
	v_mov_b32_e32 v10, s10
	v_mov_b32_e32 v11, s11
	;; [unrolled: 1-line block ×4, first 2 shown]
	global_store_dwordx4 v[8:9], v[10:13], off offset:8
.LBB9_119:
	s_or_b64 exec, exec, s[14:15]
	s_lshl_b64 s[10:11], s[12:13], 12
	v_mov_b32_e32 v3, s11
	v_add_co_u32_e32 v10, vcc, s10, v6
	v_addc_co_u32_e32 v11, vcc, v7, v3, vcc
	s_movk_i32 s10, 0xff1f
	v_and_or_b32 v0, v0, s10, 32
	s_mov_b32 s12, 0
	v_mov_b32_e32 v3, v2
	v_readfirstlane_b32 s10, v10
	v_readfirstlane_b32 s11, v11
	v_add_co_u32_e32 v6, vcc, v10, v38
	s_mov_b32 s13, s12
	s_mov_b32 s14, s12
	;; [unrolled: 1-line block ×3, first 2 shown]
	s_nop 0
	global_store_dwordx4 v38, v[0:3], s[10:11]
	v_addc_co_u32_e32 v7, vcc, 0, v11, vcc
	v_mov_b32_e32 v0, s12
	v_mov_b32_e32 v1, s13
	;; [unrolled: 1-line block ×4, first 2 shown]
	global_store_dwordx4 v38, v[0:3], s[10:11] offset:16
	global_store_dwordx4 v38, v[0:3], s[10:11] offset:32
	;; [unrolled: 1-line block ×3, first 2 shown]
	s_and_saveexec_b64 s[10:11], s[4:5]
	s_cbranch_execz .LBB9_127
; %bb.120:
	v_mov_b32_e32 v10, 0
	global_load_dwordx2 v[13:14], v10, s[26:27] offset:32 glc
	global_load_dwordx2 v[0:1], v10, s[26:27] offset:40
	v_mov_b32_e32 v11, s6
	v_mov_b32_e32 v12, s7
	s_waitcnt vmcnt(0)
	v_readfirstlane_b32 s12, v0
	v_readfirstlane_b32 s13, v1
	s_and_b64 s[12:13], s[12:13], s[6:7]
	s_mul_i32 s13, s13, 24
	s_mul_hi_u32 s14, s12, 24
	s_mul_i32 s12, s12, 24
	s_add_i32 s13, s14, s13
	v_mov_b32_e32 v0, s13
	v_add_co_u32_e32 v4, vcc, s12, v4
	v_addc_co_u32_e32 v5, vcc, v5, v0, vcc
	global_store_dwordx2 v[4:5], v[13:14], off
	s_waitcnt vmcnt(0)
	global_atomic_cmpswap_x2 v[2:3], v10, v[11:14], s[26:27] offset:32 glc
	s_waitcnt vmcnt(0)
	v_cmp_ne_u64_e32 vcc, v[2:3], v[13:14]
	s_and_saveexec_b64 s[12:13], vcc
	s_cbranch_execz .LBB9_123
; %bb.121:
	s_mov_b64 s[14:15], 0
.LBB9_122:                              ; =>This Inner Loop Header: Depth=1
	s_sleep 1
	global_store_dwordx2 v[4:5], v[2:3], off
	v_mov_b32_e32 v0, s6
	v_mov_b32_e32 v1, s7
	s_waitcnt vmcnt(0)
	global_atomic_cmpswap_x2 v[0:1], v10, v[0:3], s[26:27] offset:32 glc
	s_waitcnt vmcnt(0)
	v_cmp_eq_u64_e32 vcc, v[0:1], v[2:3]
	v_mov_b32_e32 v3, v1
	s_or_b64 s[14:15], vcc, s[14:15]
	v_mov_b32_e32 v2, v0
	s_andn2_b64 exec, exec, s[14:15]
	s_cbranch_execnz .LBB9_122
.LBB9_123:
	s_or_b64 exec, exec, s[12:13]
	v_mov_b32_e32 v3, 0
	global_load_dwordx2 v[0:1], v3, s[26:27] offset:16
	s_mov_b64 s[12:13], exec
	v_mbcnt_lo_u32_b32 v2, s12, 0
	v_mbcnt_hi_u32_b32 v2, s13, v2
	v_cmp_eq_u32_e32 vcc, 0, v2
	s_and_saveexec_b64 s[14:15], vcc
	s_cbranch_execz .LBB9_125
; %bb.124:
	s_bcnt1_i32_b64 s12, s[12:13]
	v_mov_b32_e32 v2, s12
	s_waitcnt vmcnt(0)
	global_atomic_add_x2 v[0:1], v[2:3], off offset:8
.LBB9_125:
	s_or_b64 exec, exec, s[14:15]
	s_waitcnt vmcnt(0)
	global_load_dwordx2 v[2:3], v[0:1], off offset:16
	s_waitcnt vmcnt(0)
	v_cmp_eq_u64_e32 vcc, 0, v[2:3]
	s_cbranch_vccnz .LBB9_127
; %bb.126:
	global_load_dword v0, v[0:1], off offset:24
	v_mov_b32_e32 v1, 0
	s_waitcnt vmcnt(0)
	global_store_dwordx2 v[2:3], v[0:1], off
	v_and_b32_e32 v0, 0xffffff, v0
	v_readfirstlane_b32 m0, v0
	s_sendmsg sendmsg(MSG_INTERRUPT)
.LBB9_127:
	s_or_b64 exec, exec, s[10:11]
	s_branch .LBB9_131
.LBB9_128:                              ;   in Loop: Header=BB9_131 Depth=1
	s_or_b64 exec, exec, s[10:11]
	v_readfirstlane_b32 s10, v0
	s_cmp_eq_u32 s10, 0
	s_cbranch_scc1 .LBB9_130
; %bb.129:                              ;   in Loop: Header=BB9_131 Depth=1
	s_sleep 1
	s_cbranch_execnz .LBB9_131
	s_branch .LBB9_133
.LBB9_130:
	s_branch .LBB9_133
.LBB9_131:                              ; =>This Inner Loop Header: Depth=1
	v_mov_b32_e32 v0, 1
	s_and_saveexec_b64 s[10:11], s[4:5]
	s_cbranch_execz .LBB9_128
; %bb.132:                              ;   in Loop: Header=BB9_131 Depth=1
	global_load_dword v0, v[8:9], off offset:20 glc
	s_waitcnt vmcnt(0)
	buffer_wbinvl1_vol
	v_and_b32_e32 v0, 1, v0
	s_branch .LBB9_128
.LBB9_133:
	global_load_dwordx2 v[2:3], v[6:7], off
	s_and_saveexec_b64 s[10:11], s[4:5]
	s_cbranch_execz .LBB9_136
; %bb.134:
	v_mov_b32_e32 v8, 0
	global_load_dwordx2 v[0:1], v8, s[26:27] offset:40
	global_load_dwordx2 v[9:10], v8, s[26:27] offset:24 glc
	global_load_dwordx2 v[11:12], v8, s[26:27]
	v_mov_b32_e32 v5, s7
	s_mov_b64 s[4:5], 0
	s_waitcnt vmcnt(2)
	v_add_co_u32_e32 v6, vcc, 1, v0
	v_addc_co_u32_e32 v7, vcc, 0, v1, vcc
	v_add_co_u32_e32 v4, vcc, s6, v6
	v_addc_co_u32_e32 v5, vcc, v7, v5, vcc
	v_cmp_eq_u64_e32 vcc, 0, v[4:5]
	v_cndmask_b32_e32 v5, v5, v7, vcc
	v_cndmask_b32_e32 v4, v4, v6, vcc
	v_and_b32_e32 v1, v5, v1
	v_and_b32_e32 v0, v4, v0
	v_mul_lo_u32 v1, v1, 24
	v_mul_hi_u32 v7, v0, 24
	v_mul_lo_u32 v0, v0, 24
	s_waitcnt vmcnt(1)
	v_mov_b32_e32 v6, v9
	v_add_u32_e32 v1, v7, v1
	s_waitcnt vmcnt(0)
	v_add_co_u32_e32 v0, vcc, v11, v0
	v_addc_co_u32_e32 v1, vcc, v12, v1, vcc
	global_store_dwordx2 v[0:1], v[9:10], off
	v_mov_b32_e32 v7, v10
	s_waitcnt vmcnt(0)
	global_atomic_cmpswap_x2 v[6:7], v8, v[4:7], s[26:27] offset:24 glc
	s_waitcnt vmcnt(0)
	v_cmp_ne_u64_e32 vcc, v[6:7], v[9:10]
	s_and_b64 exec, exec, vcc
	s_cbranch_execz .LBB9_136
.LBB9_135:                              ; =>This Inner Loop Header: Depth=1
	s_sleep 1
	global_store_dwordx2 v[0:1], v[6:7], off
	s_waitcnt vmcnt(0)
	global_atomic_cmpswap_x2 v[9:10], v8, v[4:7], s[26:27] offset:24 glc
	s_waitcnt vmcnt(0)
	v_cmp_eq_u64_e32 vcc, v[9:10], v[6:7]
	v_mov_b32_e32 v6, v9
	s_or_b64 s[4:5], vcc, s[4:5]
	v_mov_b32_e32 v7, v10
	s_andn2_b64 exec, exec, s[4:5]
	s_cbranch_execnz .LBB9_135
.LBB9_136:
	s_or_b64 exec, exec, s[10:11]
.LBB9_137:
	v_readfirstlane_b32 s4, v39
	s_waitcnt vmcnt(0)
	v_mov_b32_e32 v0, 0
	v_mov_b32_e32 v1, 0
	v_cmp_eq_u32_e64 s[4:5], s4, v39
	s_and_saveexec_b64 s[6:7], s[4:5]
	s_cbranch_execz .LBB9_143
; %bb.138:
	v_mov_b32_e32 v4, 0
	global_load_dwordx2 v[7:8], v4, s[26:27] offset:24 glc
	s_waitcnt vmcnt(0)
	buffer_wbinvl1_vol
	global_load_dwordx2 v[0:1], v4, s[26:27] offset:40
	global_load_dwordx2 v[5:6], v4, s[26:27]
	s_waitcnt vmcnt(1)
	v_and_b32_e32 v0, v0, v7
	v_and_b32_e32 v1, v1, v8
	v_mul_lo_u32 v1, v1, 24
	v_mul_hi_u32 v9, v0, 24
	v_mul_lo_u32 v0, v0, 24
	v_add_u32_e32 v1, v9, v1
	s_waitcnt vmcnt(0)
	v_add_co_u32_e32 v0, vcc, v5, v0
	v_addc_co_u32_e32 v1, vcc, v6, v1, vcc
	global_load_dwordx2 v[5:6], v[0:1], off glc
	s_waitcnt vmcnt(0)
	global_atomic_cmpswap_x2 v[0:1], v4, v[5:8], s[26:27] offset:24 glc
	s_waitcnt vmcnt(0)
	buffer_wbinvl1_vol
	v_cmp_ne_u64_e32 vcc, v[0:1], v[7:8]
	s_and_saveexec_b64 s[10:11], vcc
	s_cbranch_execz .LBB9_142
; %bb.139:
	s_mov_b64 s[12:13], 0
.LBB9_140:                              ; =>This Inner Loop Header: Depth=1
	s_sleep 1
	global_load_dwordx2 v[5:6], v4, s[26:27] offset:40
	global_load_dwordx2 v[9:10], v4, s[26:27]
	v_mov_b32_e32 v8, v1
	v_mov_b32_e32 v7, v0
	s_waitcnt vmcnt(1)
	v_and_b32_e32 v0, v5, v7
	s_waitcnt vmcnt(0)
	v_mad_u64_u32 v[0:1], s[14:15], v0, 24, v[9:10]
	v_and_b32_e32 v5, v6, v8
	v_mad_u64_u32 v[5:6], s[14:15], v5, 24, v[1:2]
	v_mov_b32_e32 v1, v5
	global_load_dwordx2 v[5:6], v[0:1], off glc
	s_waitcnt vmcnt(0)
	global_atomic_cmpswap_x2 v[0:1], v4, v[5:8], s[26:27] offset:24 glc
	s_waitcnt vmcnt(0)
	buffer_wbinvl1_vol
	v_cmp_eq_u64_e32 vcc, v[0:1], v[7:8]
	s_or_b64 s[12:13], vcc, s[12:13]
	s_andn2_b64 exec, exec, s[12:13]
	s_cbranch_execnz .LBB9_140
; %bb.141:
	s_or_b64 exec, exec, s[12:13]
.LBB9_142:
	s_or_b64 exec, exec, s[10:11]
.LBB9_143:
	s_or_b64 exec, exec, s[6:7]
	v_mov_b32_e32 v10, 0
	global_load_dwordx2 v[4:5], v10, s[26:27] offset:40
	global_load_dwordx4 v[6:9], v10, s[26:27]
	v_readfirstlane_b32 s6, v0
	v_readfirstlane_b32 s7, v1
	s_mov_b64 s[10:11], exec
	s_waitcnt vmcnt(1)
	v_readfirstlane_b32 s12, v4
	v_readfirstlane_b32 s13, v5
	s_and_b64 s[12:13], s[6:7], s[12:13]
	s_mul_i32 s14, s13, 24
	s_mul_hi_u32 s15, s12, 24
	s_mul_i32 s16, s12, 24
	s_add_i32 s14, s15, s14
	v_mov_b32_e32 v0, s14
	s_waitcnt vmcnt(0)
	v_add_co_u32_e32 v10, vcc, s16, v6
	v_addc_co_u32_e32 v11, vcc, v7, v0, vcc
	s_and_saveexec_b64 s[14:15], s[4:5]
	s_cbranch_execz .LBB9_145
; %bb.144:
	v_mov_b32_e32 v13, s11
	v_mov_b32_e32 v12, s10
	;; [unrolled: 1-line block ×4, first 2 shown]
	global_store_dwordx4 v[10:11], v[12:15], off offset:8
.LBB9_145:
	s_or_b64 exec, exec, s[14:15]
	s_lshl_b64 s[10:11], s[12:13], 12
	v_mov_b32_e32 v0, s11
	v_add_co_u32_e32 v1, vcc, s10, v8
	v_addc_co_u32_e32 v0, vcc, v9, v0, vcc
	s_movk_i32 s10, 0xff1d
	v_and_or_b32 v2, v2, s10, 34
	v_ashrrev_i32_e32 v5, 31, v31
	v_mov_b32_e32 v4, v31
	v_readfirstlane_b32 s10, v1
	v_readfirstlane_b32 s11, v0
	s_mov_b32 s12, 0
	s_mov_b32 s13, s12
	;; [unrolled: 1-line block ×4, first 2 shown]
	s_nop 0
	global_store_dwordx4 v38, v[2:5], s[10:11]
	v_mov_b32_e32 v0, s12
	v_mov_b32_e32 v1, s13
	v_mov_b32_e32 v2, s14
	v_mov_b32_e32 v3, s15
	global_store_dwordx4 v38, v[0:3], s[10:11] offset:16
	global_store_dwordx4 v38, v[0:3], s[10:11] offset:32
	;; [unrolled: 1-line block ×3, first 2 shown]
	s_and_saveexec_b64 s[10:11], s[4:5]
	s_cbranch_execz .LBB9_153
; %bb.146:
	v_mov_b32_e32 v8, 0
	global_load_dwordx2 v[14:15], v8, s[26:27] offset:32 glc
	global_load_dwordx2 v[0:1], v8, s[26:27] offset:40
	v_mov_b32_e32 v12, s6
	v_mov_b32_e32 v13, s7
	s_waitcnt vmcnt(0)
	v_readfirstlane_b32 s12, v0
	v_readfirstlane_b32 s13, v1
	s_and_b64 s[12:13], s[12:13], s[6:7]
	s_mul_i32 s13, s13, 24
	s_mul_hi_u32 s14, s12, 24
	s_mul_i32 s12, s12, 24
	s_add_i32 s13, s14, s13
	v_mov_b32_e32 v0, s13
	v_add_co_u32_e32 v4, vcc, s12, v6
	v_addc_co_u32_e32 v5, vcc, v7, v0, vcc
	global_store_dwordx2 v[4:5], v[14:15], off
	s_waitcnt vmcnt(0)
	global_atomic_cmpswap_x2 v[2:3], v8, v[12:15], s[26:27] offset:32 glc
	s_waitcnt vmcnt(0)
	v_cmp_ne_u64_e32 vcc, v[2:3], v[14:15]
	s_and_saveexec_b64 s[12:13], vcc
	s_cbranch_execz .LBB9_149
; %bb.147:
	s_mov_b64 s[14:15], 0
.LBB9_148:                              ; =>This Inner Loop Header: Depth=1
	s_sleep 1
	global_store_dwordx2 v[4:5], v[2:3], off
	v_mov_b32_e32 v0, s6
	v_mov_b32_e32 v1, s7
	s_waitcnt vmcnt(0)
	global_atomic_cmpswap_x2 v[0:1], v8, v[0:3], s[26:27] offset:32 glc
	s_waitcnt vmcnt(0)
	v_cmp_eq_u64_e32 vcc, v[0:1], v[2:3]
	v_mov_b32_e32 v3, v1
	s_or_b64 s[14:15], vcc, s[14:15]
	v_mov_b32_e32 v2, v0
	s_andn2_b64 exec, exec, s[14:15]
	s_cbranch_execnz .LBB9_148
.LBB9_149:
	s_or_b64 exec, exec, s[12:13]
	v_mov_b32_e32 v3, 0
	global_load_dwordx2 v[0:1], v3, s[26:27] offset:16
	s_mov_b64 s[12:13], exec
	v_mbcnt_lo_u32_b32 v2, s12, 0
	v_mbcnt_hi_u32_b32 v2, s13, v2
	v_cmp_eq_u32_e32 vcc, 0, v2
	s_and_saveexec_b64 s[14:15], vcc
	s_cbranch_execz .LBB9_151
; %bb.150:
	s_bcnt1_i32_b64 s12, s[12:13]
	v_mov_b32_e32 v2, s12
	s_waitcnt vmcnt(0)
	global_atomic_add_x2 v[0:1], v[2:3], off offset:8
.LBB9_151:
	s_or_b64 exec, exec, s[14:15]
	s_waitcnt vmcnt(0)
	global_load_dwordx2 v[2:3], v[0:1], off offset:16
	s_waitcnt vmcnt(0)
	v_cmp_eq_u64_e32 vcc, 0, v[2:3]
	s_cbranch_vccnz .LBB9_153
; %bb.152:
	global_load_dword v0, v[0:1], off offset:24
	v_mov_b32_e32 v1, 0
	s_waitcnt vmcnt(0)
	global_store_dwordx2 v[2:3], v[0:1], off
	v_and_b32_e32 v0, 0xffffff, v0
	v_readfirstlane_b32 m0, v0
	s_sendmsg sendmsg(MSG_INTERRUPT)
.LBB9_153:
	s_or_b64 exec, exec, s[10:11]
	s_branch .LBB9_157
.LBB9_154:                              ;   in Loop: Header=BB9_157 Depth=1
	s_or_b64 exec, exec, s[10:11]
	v_readfirstlane_b32 s10, v0
	s_cmp_eq_u32 s10, 0
	s_cbranch_scc1 .LBB9_156
; %bb.155:                              ;   in Loop: Header=BB9_157 Depth=1
	s_sleep 1
	s_cbranch_execnz .LBB9_157
	s_branch .LBB9_159
.LBB9_156:
	s_branch .LBB9_159
.LBB9_157:                              ; =>This Inner Loop Header: Depth=1
	v_mov_b32_e32 v0, 1
	s_and_saveexec_b64 s[10:11], s[4:5]
	s_cbranch_execz .LBB9_154
; %bb.158:                              ;   in Loop: Header=BB9_157 Depth=1
	global_load_dword v0, v[10:11], off offset:20 glc
	s_waitcnt vmcnt(0)
	buffer_wbinvl1_vol
	v_and_b32_e32 v0, 1, v0
	s_branch .LBB9_154
.LBB9_159:
	s_and_saveexec_b64 s[10:11], s[4:5]
	s_cbranch_execz .LBB9_162
; %bb.160:
	v_mov_b32_e32 v6, 0
	global_load_dwordx2 v[2:3], v6, s[26:27] offset:40
	global_load_dwordx2 v[7:8], v6, s[26:27] offset:24 glc
	global_load_dwordx2 v[4:5], v6, s[26:27]
	v_mov_b32_e32 v1, s7
	s_mov_b64 s[4:5], 0
	s_waitcnt vmcnt(2)
	v_add_co_u32_e32 v9, vcc, 1, v2
	v_addc_co_u32_e32 v10, vcc, 0, v3, vcc
	v_add_co_u32_e32 v0, vcc, s6, v9
	v_addc_co_u32_e32 v1, vcc, v10, v1, vcc
	v_cmp_eq_u64_e32 vcc, 0, v[0:1]
	v_cndmask_b32_e32 v1, v1, v10, vcc
	v_cndmask_b32_e32 v0, v0, v9, vcc
	v_and_b32_e32 v3, v1, v3
	v_and_b32_e32 v2, v0, v2
	v_mul_lo_u32 v3, v3, 24
	v_mul_hi_u32 v9, v2, 24
	v_mul_lo_u32 v10, v2, 24
	s_waitcnt vmcnt(1)
	v_mov_b32_e32 v2, v7
	v_add_u32_e32 v3, v9, v3
	s_waitcnt vmcnt(0)
	v_add_co_u32_e32 v4, vcc, v4, v10
	v_addc_co_u32_e32 v5, vcc, v5, v3, vcc
	global_store_dwordx2 v[4:5], v[7:8], off
	v_mov_b32_e32 v3, v8
	s_waitcnt vmcnt(0)
	global_atomic_cmpswap_x2 v[2:3], v6, v[0:3], s[26:27] offset:24 glc
	s_waitcnt vmcnt(0)
	v_cmp_ne_u64_e32 vcc, v[2:3], v[7:8]
	s_and_b64 exec, exec, vcc
	s_cbranch_execz .LBB9_162
.LBB9_161:                              ; =>This Inner Loop Header: Depth=1
	s_sleep 1
	global_store_dwordx2 v[4:5], v[2:3], off
	s_waitcnt vmcnt(0)
	global_atomic_cmpswap_x2 v[7:8], v6, v[0:3], s[26:27] offset:24 glc
	s_waitcnt vmcnt(0)
	v_cmp_eq_u64_e32 vcc, v[7:8], v[2:3]
	v_mov_b32_e32 v2, v7
	s_or_b64 s[4:5], vcc, s[4:5]
	v_mov_b32_e32 v3, v8
	s_andn2_b64 exec, exec, s[4:5]
	s_cbranch_execnz .LBB9_161
.LBB9_162:
	s_or_b64 exec, exec, s[10:11]
	s_getpc_b64 s[34:35]
	s_add_u32 s34, s34, .str.10@rel32@lo+4
	s_addc_u32 s35, s35, .str.10@rel32@hi+12
	s_mov_b64 s[8:9], s[24:25]
	v_mov_b32_e32 v0, s34
	v_mov_b32_e32 v1, s35
	s_getpc_b64 s[36:37]
	s_add_u32 s36, s36, _ZNK8migraphx13basic_printerIZNS_4coutEvEUlT_E_ElsEPKc@rel32@lo+4
	s_addc_u32 s37, s37, _ZNK8migraphx13basic_printerIZNS_4coutEvEUlT_E_ElsEPKc@rel32@hi+12
	s_swappc_b64 s[30:31], s[36:37]
	s_getpc_b64 s[4:5]
	s_add_u32 s4, s4, .str.14@rel32@lo+4
	s_addc_u32 s5, s5, .str.14@rel32@hi+12
	s_mov_b64 s[8:9], s[24:25]
	v_mov_b32_e32 v0, s4
	v_mov_b32_e32 v1, s5
	s_swappc_b64 s[30:31], s[36:37]
	s_mov_b64 s[8:9], s[24:25]
	v_mov_b32_e32 v0, s34
	v_mov_b32_e32 v1, s35
	s_swappc_b64 s[30:31], s[36:37]
	flat_load_dword v31, v[36:37] offset:4
	v_readfirstlane_b32 s4, v39
	v_mov_b32_e32 v5, 0
	v_mov_b32_e32 v6, 0
	v_cmp_eq_u32_e64 s[4:5], s4, v39
	s_and_saveexec_b64 s[6:7], s[4:5]
	s_cbranch_execz .LBB9_168
; %bb.163:
	v_mov_b32_e32 v0, 0
	global_load_dwordx2 v[3:4], v0, s[26:27] offset:24 glc
	s_waitcnt vmcnt(0)
	buffer_wbinvl1_vol
	global_load_dwordx2 v[1:2], v0, s[26:27] offset:40
	global_load_dwordx2 v[5:6], v0, s[26:27]
	s_waitcnt vmcnt(0)
	v_and_b32_e32 v1, v1, v3
	v_and_b32_e32 v2, v2, v4
	v_mul_lo_u32 v2, v2, 24
	v_mul_hi_u32 v7, v1, 24
	v_mul_lo_u32 v1, v1, 24
	v_add_u32_e32 v2, v7, v2
	v_add_co_u32_e32 v1, vcc, v5, v1
	v_addc_co_u32_e32 v2, vcc, v6, v2, vcc
	global_load_dwordx2 v[1:2], v[1:2], off glc
	s_waitcnt vmcnt(0)
	global_atomic_cmpswap_x2 v[5:6], v0, v[1:4], s[26:27] offset:24 glc
	s_waitcnt vmcnt(0)
	buffer_wbinvl1_vol
	v_cmp_ne_u64_e32 vcc, v[5:6], v[3:4]
	s_and_saveexec_b64 s[8:9], vcc
	s_cbranch_execz .LBB9_167
; %bb.164:
	s_mov_b64 s[10:11], 0
.LBB9_165:                              ; =>This Inner Loop Header: Depth=1
	s_sleep 1
	global_load_dwordx2 v[1:2], v0, s[26:27] offset:40
	global_load_dwordx2 v[7:8], v0, s[26:27]
	v_mov_b32_e32 v3, v5
	v_mov_b32_e32 v4, v6
	s_waitcnt vmcnt(0)
	v_and_b32_e32 v1, v1, v3
	v_mad_u64_u32 v[5:6], s[12:13], v1, 24, v[7:8]
	v_and_b32_e32 v2, v2, v4
	v_mov_b32_e32 v1, v6
	v_mad_u64_u32 v[1:2], s[12:13], v2, 24, v[1:2]
	v_mov_b32_e32 v6, v1
	global_load_dwordx2 v[1:2], v[5:6], off glc
	s_waitcnt vmcnt(0)
	global_atomic_cmpswap_x2 v[5:6], v0, v[1:4], s[26:27] offset:24 glc
	s_waitcnt vmcnt(0)
	buffer_wbinvl1_vol
	v_cmp_eq_u64_e32 vcc, v[5:6], v[3:4]
	s_or_b64 s[10:11], vcc, s[10:11]
	s_andn2_b64 exec, exec, s[10:11]
	s_cbranch_execnz .LBB9_165
; %bb.166:
	s_or_b64 exec, exec, s[10:11]
.LBB9_167:
	s_or_b64 exec, exec, s[8:9]
.LBB9_168:
	s_or_b64 exec, exec, s[6:7]
	v_mov_b32_e32 v4, 0
	global_load_dwordx2 v[7:8], v4, s[26:27] offset:40
	global_load_dwordx4 v[0:3], v4, s[26:27]
	v_readfirstlane_b32 s6, v5
	v_readfirstlane_b32 s7, v6
	s_mov_b64 s[8:9], exec
	s_waitcnt vmcnt(0)
	v_readfirstlane_b32 s10, v7
	v_readfirstlane_b32 s11, v8
	s_and_b64 s[10:11], s[6:7], s[10:11]
	s_mul_i32 s12, s11, 24
	s_mul_hi_u32 s13, s10, 24
	s_mul_i32 s14, s10, 24
	s_add_i32 s12, s13, s12
	v_mov_b32_e32 v5, s12
	v_add_co_u32_e32 v7, vcc, s14, v0
	v_addc_co_u32_e32 v8, vcc, v1, v5, vcc
	s_and_saveexec_b64 s[12:13], s[4:5]
	s_cbranch_execz .LBB9_170
; %bb.169:
	v_mov_b32_e32 v10, s9
	v_mov_b32_e32 v9, s8
	;; [unrolled: 1-line block ×4, first 2 shown]
	global_store_dwordx4 v[7:8], v[9:12], off offset:8
.LBB9_170:
	s_or_b64 exec, exec, s[12:13]
	s_lshl_b64 s[8:9], s[10:11], 12
	v_mov_b32_e32 v5, s9
	v_add_co_u32_e32 v2, vcc, s8, v2
	v_addc_co_u32_e32 v11, vcc, v3, v5, vcc
	s_mov_b32 s8, 0
	v_mov_b32_e32 v3, 33
	v_mov_b32_e32 v5, v4
	;; [unrolled: 1-line block ×3, first 2 shown]
	v_readfirstlane_b32 s12, v2
	v_readfirstlane_b32 s13, v11
	v_add_co_u32_e32 v9, vcc, v2, v38
	s_mov_b32 s9, s8
	s_mov_b32 s10, s8
	;; [unrolled: 1-line block ×3, first 2 shown]
	s_nop 0
	global_store_dwordx4 v38, v[3:6], s[12:13]
	v_mov_b32_e32 v2, s8
	v_addc_co_u32_e32 v10, vcc, 0, v11, vcc
	v_mov_b32_e32 v3, s9
	v_mov_b32_e32 v4, s10
	;; [unrolled: 1-line block ×3, first 2 shown]
	global_store_dwordx4 v38, v[2:5], s[12:13] offset:16
	global_store_dwordx4 v38, v[2:5], s[12:13] offset:32
	;; [unrolled: 1-line block ×3, first 2 shown]
	s_and_saveexec_b64 s[8:9], s[4:5]
	s_cbranch_execz .LBB9_178
; %bb.171:
	v_mov_b32_e32 v6, 0
	global_load_dwordx2 v[13:14], v6, s[26:27] offset:32 glc
	global_load_dwordx2 v[2:3], v6, s[26:27] offset:40
	v_mov_b32_e32 v11, s6
	v_mov_b32_e32 v12, s7
	s_waitcnt vmcnt(0)
	v_readfirstlane_b32 s10, v2
	v_readfirstlane_b32 s11, v3
	s_and_b64 s[10:11], s[10:11], s[6:7]
	s_mul_i32 s11, s11, 24
	s_mul_hi_u32 s12, s10, 24
	s_mul_i32 s10, s10, 24
	s_add_i32 s11, s12, s11
	v_mov_b32_e32 v2, s11
	v_add_co_u32_e32 v4, vcc, s10, v0
	v_addc_co_u32_e32 v5, vcc, v1, v2, vcc
	global_store_dwordx2 v[4:5], v[13:14], off
	s_waitcnt vmcnt(0)
	global_atomic_cmpswap_x2 v[2:3], v6, v[11:14], s[26:27] offset:32 glc
	s_waitcnt vmcnt(0)
	v_cmp_ne_u64_e32 vcc, v[2:3], v[13:14]
	s_and_saveexec_b64 s[10:11], vcc
	s_cbranch_execz .LBB9_174
; %bb.172:
	s_mov_b64 s[12:13], 0
.LBB9_173:                              ; =>This Inner Loop Header: Depth=1
	s_sleep 1
	global_store_dwordx2 v[4:5], v[2:3], off
	v_mov_b32_e32 v0, s6
	v_mov_b32_e32 v1, s7
	s_waitcnt vmcnt(0)
	global_atomic_cmpswap_x2 v[0:1], v6, v[0:3], s[26:27] offset:32 glc
	s_waitcnt vmcnt(0)
	v_cmp_eq_u64_e32 vcc, v[0:1], v[2:3]
	v_mov_b32_e32 v3, v1
	s_or_b64 s[12:13], vcc, s[12:13]
	v_mov_b32_e32 v2, v0
	s_andn2_b64 exec, exec, s[12:13]
	s_cbranch_execnz .LBB9_173
.LBB9_174:
	s_or_b64 exec, exec, s[10:11]
	v_mov_b32_e32 v3, 0
	global_load_dwordx2 v[0:1], v3, s[26:27] offset:16
	s_mov_b64 s[10:11], exec
	v_mbcnt_lo_u32_b32 v2, s10, 0
	v_mbcnt_hi_u32_b32 v2, s11, v2
	v_cmp_eq_u32_e32 vcc, 0, v2
	s_and_saveexec_b64 s[12:13], vcc
	s_cbranch_execz .LBB9_176
; %bb.175:
	s_bcnt1_i32_b64 s10, s[10:11]
	v_mov_b32_e32 v2, s10
	s_waitcnt vmcnt(0)
	global_atomic_add_x2 v[0:1], v[2:3], off offset:8
.LBB9_176:
	s_or_b64 exec, exec, s[12:13]
	s_waitcnt vmcnt(0)
	global_load_dwordx2 v[2:3], v[0:1], off offset:16
	s_waitcnt vmcnt(0)
	v_cmp_eq_u64_e32 vcc, 0, v[2:3]
	s_cbranch_vccnz .LBB9_178
; %bb.177:
	global_load_dword v0, v[0:1], off offset:24
	v_mov_b32_e32 v1, 0
	s_waitcnt vmcnt(0)
	global_store_dwordx2 v[2:3], v[0:1], off
	v_and_b32_e32 v0, 0xffffff, v0
	v_readfirstlane_b32 m0, v0
	s_sendmsg sendmsg(MSG_INTERRUPT)
.LBB9_178:
	s_or_b64 exec, exec, s[8:9]
	s_branch .LBB9_182
.LBB9_179:                              ;   in Loop: Header=BB9_182 Depth=1
	s_or_b64 exec, exec, s[8:9]
	v_readfirstlane_b32 s8, v0
	s_cmp_eq_u32 s8, 0
	s_cbranch_scc1 .LBB9_181
; %bb.180:                              ;   in Loop: Header=BB9_182 Depth=1
	s_sleep 1
	s_cbranch_execnz .LBB9_182
	s_branch .LBB9_184
.LBB9_181:
	s_branch .LBB9_184
.LBB9_182:                              ; =>This Inner Loop Header: Depth=1
	v_mov_b32_e32 v0, 1
	s_and_saveexec_b64 s[8:9], s[4:5]
	s_cbranch_execz .LBB9_179
; %bb.183:                              ;   in Loop: Header=BB9_182 Depth=1
	global_load_dword v0, v[7:8], off offset:20 glc
	s_waitcnt vmcnt(0)
	buffer_wbinvl1_vol
	v_and_b32_e32 v0, 1, v0
	s_branch .LBB9_179
.LBB9_184:
	global_load_dwordx2 v[0:1], v[9:10], off
	s_and_saveexec_b64 s[8:9], s[4:5]
	s_cbranch_execz .LBB9_187
; %bb.185:
	v_mov_b32_e32 v8, 0
	global_load_dwordx2 v[4:5], v8, s[26:27] offset:40
	global_load_dwordx2 v[9:10], v8, s[26:27] offset:24 glc
	global_load_dwordx2 v[6:7], v8, s[26:27]
	v_mov_b32_e32 v3, s7
	s_mov_b64 s[4:5], 0
	s_waitcnt vmcnt(0)
	v_add_co_u32_e32 v11, vcc, 1, v4
	v_addc_co_u32_e32 v12, vcc, 0, v5, vcc
	v_add_co_u32_e32 v2, vcc, s6, v11
	v_addc_co_u32_e32 v3, vcc, v12, v3, vcc
	v_cmp_eq_u64_e32 vcc, 0, v[2:3]
	v_cndmask_b32_e32 v3, v3, v12, vcc
	v_cndmask_b32_e32 v2, v2, v11, vcc
	v_and_b32_e32 v5, v3, v5
	v_and_b32_e32 v4, v2, v4
	v_mul_lo_u32 v5, v5, 24
	v_mul_hi_u32 v11, v4, 24
	v_mul_lo_u32 v12, v4, 24
	v_mov_b32_e32 v4, v9
	v_add_u32_e32 v5, v11, v5
	v_add_co_u32_e32 v6, vcc, v6, v12
	v_addc_co_u32_e32 v7, vcc, v7, v5, vcc
	global_store_dwordx2 v[6:7], v[9:10], off
	v_mov_b32_e32 v5, v10
	s_waitcnt vmcnt(0)
	global_atomic_cmpswap_x2 v[4:5], v8, v[2:5], s[26:27] offset:24 glc
	s_waitcnt vmcnt(0)
	v_cmp_ne_u64_e32 vcc, v[4:5], v[9:10]
	s_and_b64 exec, exec, vcc
	s_cbranch_execz .LBB9_187
.LBB9_186:                              ; =>This Inner Loop Header: Depth=1
	s_sleep 1
	global_store_dwordx2 v[6:7], v[4:5], off
	s_waitcnt vmcnt(0)
	global_atomic_cmpswap_x2 v[9:10], v8, v[2:5], s[26:27] offset:24 glc
	s_waitcnt vmcnt(0)
	v_cmp_eq_u64_e32 vcc, v[9:10], v[4:5]
	v_mov_b32_e32 v4, v9
	s_or_b64 s[4:5], vcc, s[4:5]
	v_mov_b32_e32 v5, v10
	s_andn2_b64 exec, exec, s[4:5]
	s_cbranch_execnz .LBB9_186
.LBB9_187:
	s_or_b64 exec, exec, s[8:9]
	s_and_b64 vcc, exec, s[28:29]
	s_cbranch_vccz .LBB9_272
; %bb.188:
	s_waitcnt vmcnt(0)
	v_and_b32_e32 v32, 2, v0
	v_mov_b32_e32 v28, 0
	v_and_b32_e32 v2, -3, v0
	v_mov_b32_e32 v3, v1
	s_mov_b64 s[8:9], 4
	v_mov_b32_e32 v6, 2
	v_mov_b32_e32 v7, 1
	s_getpc_b64 s[6:7]
	s_add_u32 s6, s6, .str.9@rel32@lo+4
	s_addc_u32 s7, s7, .str.9@rel32@hi+12
	s_branch .LBB9_190
.LBB9_189:                              ;   in Loop: Header=BB9_190 Depth=1
	s_or_b64 exec, exec, s[14:15]
	s_sub_u32 s8, s8, s10
	s_subb_u32 s9, s9, s11
	s_add_u32 s6, s6, s10
	s_addc_u32 s7, s7, s11
	s_cmp_lg_u64 s[8:9], 0
	s_cbranch_scc0 .LBB9_271
.LBB9_190:                              ; =>This Loop Header: Depth=1
                                        ;     Child Loop BB9_193 Depth 2
                                        ;     Child Loop BB9_200 Depth 2
	;; [unrolled: 1-line block ×11, first 2 shown]
	v_cmp_lt_u64_e64 s[4:5], s[8:9], 56
	v_cmp_gt_u64_e64 s[12:13], s[8:9], 7
	s_and_b64 s[4:5], s[4:5], exec
	s_cselect_b32 s11, s9, 0
	s_cselect_b32 s10, s8, 56
	s_and_b64 vcc, exec, s[12:13]
	s_cbranch_vccnz .LBB9_195
; %bb.191:                              ;   in Loop: Header=BB9_190 Depth=1
	v_mov_b32_e32 v10, 0
	s_cmp_eq_u64 s[8:9], 0
	v_mov_b32_e32 v11, 0
	s_mov_b64 s[4:5], 0
	s_cbranch_scc1 .LBB9_194
; %bb.192:                              ;   in Loop: Header=BB9_190 Depth=1
	v_mov_b32_e32 v10, 0
	s_lshl_b64 s[12:13], s[10:11], 3
	s_mov_b64 s[14:15], 0
	v_mov_b32_e32 v11, 0
	s_mov_b64 s[16:17], s[6:7]
.LBB9_193:                              ;   Parent Loop BB9_190 Depth=1
                                        ; =>  This Inner Loop Header: Depth=2
	global_load_ubyte v4, v28, s[16:17]
	s_waitcnt vmcnt(0)
	v_and_b32_e32 v27, 0xffff, v4
	v_lshlrev_b64 v[4:5], s14, v[27:28]
	s_add_u32 s14, s14, 8
	s_addc_u32 s15, s15, 0
	s_add_u32 s16, s16, 1
	s_addc_u32 s17, s17, 0
	v_or_b32_e32 v10, v4, v10
	s_cmp_lg_u32 s12, s14
	v_or_b32_e32 v11, v5, v11
	s_cbranch_scc1 .LBB9_193
.LBB9_194:                              ;   in Loop: Header=BB9_190 Depth=1
	s_mov_b32 s16, 0
	s_andn2_b64 vcc, exec, s[4:5]
	s_mov_b64 s[4:5], s[6:7]
	s_cbranch_vccz .LBB9_196
	s_branch .LBB9_197
.LBB9_195:                              ;   in Loop: Header=BB9_190 Depth=1
                                        ; implicit-def: $vgpr10_vgpr11
                                        ; implicit-def: $sgpr16
	s_mov_b64 s[4:5], s[6:7]
.LBB9_196:                              ;   in Loop: Header=BB9_190 Depth=1
	global_load_dwordx2 v[10:11], v28, s[6:7]
	s_add_i32 s16, s10, -8
	s_add_u32 s4, s6, 8
	s_addc_u32 s5, s7, 0
.LBB9_197:                              ;   in Loop: Header=BB9_190 Depth=1
	s_cmp_gt_u32 s16, 7
	s_cbranch_scc1 .LBB9_201
; %bb.198:                              ;   in Loop: Header=BB9_190 Depth=1
	s_cmp_eq_u32 s16, 0
	s_cbranch_scc1 .LBB9_202
; %bb.199:                              ;   in Loop: Header=BB9_190 Depth=1
	v_mov_b32_e32 v12, 0
	s_mov_b64 s[12:13], 0
	v_mov_b32_e32 v13, 0
	s_mov_b64 s[14:15], 0
.LBB9_200:                              ;   Parent Loop BB9_190 Depth=1
                                        ; =>  This Inner Loop Header: Depth=2
	s_add_u32 s18, s4, s14
	s_addc_u32 s19, s5, s15
	global_load_ubyte v4, v28, s[18:19]
	s_add_u32 s14, s14, 1
	s_addc_u32 s15, s15, 0
	s_waitcnt vmcnt(0)
	v_and_b32_e32 v27, 0xffff, v4
	v_lshlrev_b64 v[4:5], s12, v[27:28]
	s_add_u32 s12, s12, 8
	s_addc_u32 s13, s13, 0
	v_or_b32_e32 v12, v4, v12
	s_cmp_lg_u32 s16, s14
	v_or_b32_e32 v13, v5, v13
	s_cbranch_scc1 .LBB9_200
	s_branch .LBB9_203
.LBB9_201:                              ;   in Loop: Header=BB9_190 Depth=1
                                        ; implicit-def: $vgpr12_vgpr13
                                        ; implicit-def: $sgpr17
	s_branch .LBB9_204
.LBB9_202:                              ;   in Loop: Header=BB9_190 Depth=1
	v_mov_b32_e32 v12, 0
	v_mov_b32_e32 v13, 0
.LBB9_203:                              ;   in Loop: Header=BB9_190 Depth=1
	s_mov_b32 s17, 0
	s_cbranch_execnz .LBB9_205
.LBB9_204:                              ;   in Loop: Header=BB9_190 Depth=1
	global_load_dwordx2 v[12:13], v28, s[4:5]
	s_add_i32 s17, s16, -8
	s_add_u32 s4, s4, 8
	s_addc_u32 s5, s5, 0
.LBB9_205:                              ;   in Loop: Header=BB9_190 Depth=1
	s_cmp_gt_u32 s17, 7
	s_cbranch_scc1 .LBB9_209
; %bb.206:                              ;   in Loop: Header=BB9_190 Depth=1
	s_cmp_eq_u32 s17, 0
	s_cbranch_scc1 .LBB9_210
; %bb.207:                              ;   in Loop: Header=BB9_190 Depth=1
	v_mov_b32_e32 v14, 0
	s_mov_b64 s[12:13], 0
	v_mov_b32_e32 v15, 0
	s_mov_b64 s[14:15], 0
.LBB9_208:                              ;   Parent Loop BB9_190 Depth=1
                                        ; =>  This Inner Loop Header: Depth=2
	s_add_u32 s18, s4, s14
	s_addc_u32 s19, s5, s15
	global_load_ubyte v4, v28, s[18:19]
	s_add_u32 s14, s14, 1
	s_addc_u32 s15, s15, 0
	s_waitcnt vmcnt(0)
	v_and_b32_e32 v27, 0xffff, v4
	v_lshlrev_b64 v[4:5], s12, v[27:28]
	s_add_u32 s12, s12, 8
	s_addc_u32 s13, s13, 0
	v_or_b32_e32 v14, v4, v14
	s_cmp_lg_u32 s17, s14
	v_or_b32_e32 v15, v5, v15
	s_cbranch_scc1 .LBB9_208
	s_branch .LBB9_211
.LBB9_209:                              ;   in Loop: Header=BB9_190 Depth=1
                                        ; implicit-def: $sgpr16
	s_branch .LBB9_212
.LBB9_210:                              ;   in Loop: Header=BB9_190 Depth=1
	v_mov_b32_e32 v14, 0
	v_mov_b32_e32 v15, 0
.LBB9_211:                              ;   in Loop: Header=BB9_190 Depth=1
	s_mov_b32 s16, 0
	s_cbranch_execnz .LBB9_213
.LBB9_212:                              ;   in Loop: Header=BB9_190 Depth=1
	global_load_dwordx2 v[14:15], v28, s[4:5]
	s_add_i32 s16, s17, -8
	s_add_u32 s4, s4, 8
	s_addc_u32 s5, s5, 0
.LBB9_213:                              ;   in Loop: Header=BB9_190 Depth=1
	s_cmp_gt_u32 s16, 7
	s_cbranch_scc1 .LBB9_217
; %bb.214:                              ;   in Loop: Header=BB9_190 Depth=1
	s_cmp_eq_u32 s16, 0
	s_cbranch_scc1 .LBB9_218
; %bb.215:                              ;   in Loop: Header=BB9_190 Depth=1
	v_mov_b32_e32 v16, 0
	s_mov_b64 s[12:13], 0
	v_mov_b32_e32 v17, 0
	s_mov_b64 s[14:15], 0
.LBB9_216:                              ;   Parent Loop BB9_190 Depth=1
                                        ; =>  This Inner Loop Header: Depth=2
	s_add_u32 s18, s4, s14
	s_addc_u32 s19, s5, s15
	global_load_ubyte v4, v28, s[18:19]
	s_add_u32 s14, s14, 1
	s_addc_u32 s15, s15, 0
	s_waitcnt vmcnt(0)
	v_and_b32_e32 v27, 0xffff, v4
	v_lshlrev_b64 v[4:5], s12, v[27:28]
	s_add_u32 s12, s12, 8
	s_addc_u32 s13, s13, 0
	v_or_b32_e32 v16, v4, v16
	s_cmp_lg_u32 s16, s14
	v_or_b32_e32 v17, v5, v17
	s_cbranch_scc1 .LBB9_216
	s_branch .LBB9_219
.LBB9_217:                              ;   in Loop: Header=BB9_190 Depth=1
                                        ; implicit-def: $vgpr16_vgpr17
                                        ; implicit-def: $sgpr17
	s_branch .LBB9_220
.LBB9_218:                              ;   in Loop: Header=BB9_190 Depth=1
	v_mov_b32_e32 v16, 0
	v_mov_b32_e32 v17, 0
.LBB9_219:                              ;   in Loop: Header=BB9_190 Depth=1
	s_mov_b32 s17, 0
	s_cbranch_execnz .LBB9_221
.LBB9_220:                              ;   in Loop: Header=BB9_190 Depth=1
	global_load_dwordx2 v[16:17], v28, s[4:5]
	s_add_i32 s17, s16, -8
	s_add_u32 s4, s4, 8
	s_addc_u32 s5, s5, 0
.LBB9_221:                              ;   in Loop: Header=BB9_190 Depth=1
	s_cmp_gt_u32 s17, 7
	s_cbranch_scc1 .LBB9_225
; %bb.222:                              ;   in Loop: Header=BB9_190 Depth=1
	s_cmp_eq_u32 s17, 0
	s_cbranch_scc1 .LBB9_226
; %bb.223:                              ;   in Loop: Header=BB9_190 Depth=1
	v_mov_b32_e32 v18, 0
	s_mov_b64 s[12:13], 0
	v_mov_b32_e32 v19, 0
	s_mov_b64 s[14:15], 0
.LBB9_224:                              ;   Parent Loop BB9_190 Depth=1
                                        ; =>  This Inner Loop Header: Depth=2
	s_add_u32 s18, s4, s14
	s_addc_u32 s19, s5, s15
	global_load_ubyte v4, v28, s[18:19]
	s_add_u32 s14, s14, 1
	s_addc_u32 s15, s15, 0
	s_waitcnt vmcnt(0)
	v_and_b32_e32 v27, 0xffff, v4
	v_lshlrev_b64 v[4:5], s12, v[27:28]
	s_add_u32 s12, s12, 8
	s_addc_u32 s13, s13, 0
	v_or_b32_e32 v18, v4, v18
	s_cmp_lg_u32 s17, s14
	v_or_b32_e32 v19, v5, v19
	s_cbranch_scc1 .LBB9_224
	s_branch .LBB9_227
.LBB9_225:                              ;   in Loop: Header=BB9_190 Depth=1
                                        ; implicit-def: $sgpr16
	s_branch .LBB9_228
.LBB9_226:                              ;   in Loop: Header=BB9_190 Depth=1
	v_mov_b32_e32 v18, 0
	v_mov_b32_e32 v19, 0
.LBB9_227:                              ;   in Loop: Header=BB9_190 Depth=1
	s_mov_b32 s16, 0
	s_cbranch_execnz .LBB9_229
.LBB9_228:                              ;   in Loop: Header=BB9_190 Depth=1
	global_load_dwordx2 v[18:19], v28, s[4:5]
	s_add_i32 s16, s17, -8
	s_add_u32 s4, s4, 8
	s_addc_u32 s5, s5, 0
.LBB9_229:                              ;   in Loop: Header=BB9_190 Depth=1
	s_cmp_gt_u32 s16, 7
	s_cbranch_scc1 .LBB9_233
; %bb.230:                              ;   in Loop: Header=BB9_190 Depth=1
	s_cmp_eq_u32 s16, 0
	s_cbranch_scc1 .LBB9_234
; %bb.231:                              ;   in Loop: Header=BB9_190 Depth=1
	v_mov_b32_e32 v20, 0
	s_mov_b64 s[12:13], 0
	v_mov_b32_e32 v21, 0
	s_mov_b64 s[14:15], 0
.LBB9_232:                              ;   Parent Loop BB9_190 Depth=1
                                        ; =>  This Inner Loop Header: Depth=2
	s_add_u32 s18, s4, s14
	s_addc_u32 s19, s5, s15
	global_load_ubyte v4, v28, s[18:19]
	s_add_u32 s14, s14, 1
	s_addc_u32 s15, s15, 0
	s_waitcnt vmcnt(0)
	v_and_b32_e32 v27, 0xffff, v4
	v_lshlrev_b64 v[4:5], s12, v[27:28]
	s_add_u32 s12, s12, 8
	s_addc_u32 s13, s13, 0
	v_or_b32_e32 v20, v4, v20
	s_cmp_lg_u32 s16, s14
	v_or_b32_e32 v21, v5, v21
	s_cbranch_scc1 .LBB9_232
	s_branch .LBB9_235
.LBB9_233:                              ;   in Loop: Header=BB9_190 Depth=1
                                        ; implicit-def: $vgpr20_vgpr21
                                        ; implicit-def: $sgpr17
	s_branch .LBB9_236
.LBB9_234:                              ;   in Loop: Header=BB9_190 Depth=1
	v_mov_b32_e32 v20, 0
	v_mov_b32_e32 v21, 0
.LBB9_235:                              ;   in Loop: Header=BB9_190 Depth=1
	s_mov_b32 s17, 0
	s_cbranch_execnz .LBB9_237
.LBB9_236:                              ;   in Loop: Header=BB9_190 Depth=1
	global_load_dwordx2 v[20:21], v28, s[4:5]
	s_add_i32 s17, s16, -8
	s_add_u32 s4, s4, 8
	s_addc_u32 s5, s5, 0
.LBB9_237:                              ;   in Loop: Header=BB9_190 Depth=1
	s_cmp_gt_u32 s17, 7
	s_cbranch_scc1 .LBB9_241
; %bb.238:                              ;   in Loop: Header=BB9_190 Depth=1
	s_cmp_eq_u32 s17, 0
	s_cbranch_scc1 .LBB9_242
; %bb.239:                              ;   in Loop: Header=BB9_190 Depth=1
	v_mov_b32_e32 v22, 0
	s_mov_b64 s[12:13], 0
	v_mov_b32_e32 v23, 0
	s_mov_b64 s[14:15], s[4:5]
.LBB9_240:                              ;   Parent Loop BB9_190 Depth=1
                                        ; =>  This Inner Loop Header: Depth=2
	global_load_ubyte v4, v28, s[14:15]
	s_add_i32 s17, s17, -1
	s_waitcnt vmcnt(0)
	v_and_b32_e32 v27, 0xffff, v4
	v_lshlrev_b64 v[4:5], s12, v[27:28]
	s_add_u32 s12, s12, 8
	s_addc_u32 s13, s13, 0
	s_add_u32 s14, s14, 1
	s_addc_u32 s15, s15, 0
	v_or_b32_e32 v22, v4, v22
	s_cmp_lg_u32 s17, 0
	v_or_b32_e32 v23, v5, v23
	s_cbranch_scc1 .LBB9_240
	s_branch .LBB9_243
.LBB9_241:                              ;   in Loop: Header=BB9_190 Depth=1
	s_branch .LBB9_244
.LBB9_242:                              ;   in Loop: Header=BB9_190 Depth=1
	v_mov_b32_e32 v22, 0
	v_mov_b32_e32 v23, 0
.LBB9_243:                              ;   in Loop: Header=BB9_190 Depth=1
	s_cbranch_execnz .LBB9_245
.LBB9_244:                              ;   in Loop: Header=BB9_190 Depth=1
	global_load_dwordx2 v[22:23], v28, s[4:5]
.LBB9_245:                              ;   in Loop: Header=BB9_190 Depth=1
	v_readfirstlane_b32 s4, v39
	s_waitcnt vmcnt(0)
	v_mov_b32_e32 v4, 0
	v_mov_b32_e32 v5, 0
	v_cmp_eq_u32_e64 s[4:5], s4, v39
	s_and_saveexec_b64 s[12:13], s[4:5]
	s_cbranch_execz .LBB9_251
; %bb.246:                              ;   in Loop: Header=BB9_190 Depth=1
	global_load_dwordx2 v[26:27], v28, s[26:27] offset:24 glc
	s_waitcnt vmcnt(0)
	buffer_wbinvl1_vol
	global_load_dwordx2 v[4:5], v28, s[26:27] offset:40
	global_load_dwordx2 v[8:9], v28, s[26:27]
	s_waitcnt vmcnt(0)
	v_and_b32_e32 v4, v4, v26
	v_and_b32_e32 v5, v5, v27
	v_mul_lo_u32 v5, v5, 24
	v_mul_hi_u32 v24, v4, 24
	v_mul_lo_u32 v4, v4, 24
	v_add_u32_e32 v5, v24, v5
	v_add_co_u32_e32 v4, vcc, v8, v4
	v_addc_co_u32_e32 v5, vcc, v9, v5, vcc
	global_load_dwordx2 v[24:25], v[4:5], off glc
	s_waitcnt vmcnt(0)
	global_atomic_cmpswap_x2 v[4:5], v28, v[24:27], s[26:27] offset:24 glc
	s_waitcnt vmcnt(0)
	buffer_wbinvl1_vol
	v_cmp_ne_u64_e32 vcc, v[4:5], v[26:27]
	s_and_saveexec_b64 s[14:15], vcc
	s_cbranch_execz .LBB9_250
; %bb.247:                              ;   in Loop: Header=BB9_190 Depth=1
	s_mov_b64 s[16:17], 0
.LBB9_248:                              ;   Parent Loop BB9_190 Depth=1
                                        ; =>  This Inner Loop Header: Depth=2
	s_sleep 1
	global_load_dwordx2 v[8:9], v28, s[26:27] offset:40
	global_load_dwordx2 v[24:25], v28, s[26:27]
	v_mov_b32_e32 v27, v5
	v_mov_b32_e32 v26, v4
	s_waitcnt vmcnt(0)
	v_and_b32_e32 v4, v8, v26
	v_mad_u64_u32 v[4:5], s[18:19], v4, 24, v[24:25]
	v_and_b32_e32 v8, v9, v27
	v_mad_u64_u32 v[8:9], s[18:19], v8, 24, v[5:6]
	v_mov_b32_e32 v5, v8
	global_load_dwordx2 v[24:25], v[4:5], off glc
	s_waitcnt vmcnt(0)
	global_atomic_cmpswap_x2 v[4:5], v28, v[24:27], s[26:27] offset:24 glc
	s_waitcnt vmcnt(0)
	buffer_wbinvl1_vol
	v_cmp_eq_u64_e32 vcc, v[4:5], v[26:27]
	s_or_b64 s[16:17], vcc, s[16:17]
	s_andn2_b64 exec, exec, s[16:17]
	s_cbranch_execnz .LBB9_248
; %bb.249:                              ;   in Loop: Header=BB9_190 Depth=1
	s_or_b64 exec, exec, s[16:17]
.LBB9_250:                              ;   in Loop: Header=BB9_190 Depth=1
	s_or_b64 exec, exec, s[14:15]
.LBB9_251:                              ;   in Loop: Header=BB9_190 Depth=1
	s_or_b64 exec, exec, s[12:13]
	global_load_dwordx2 v[8:9], v28, s[26:27] offset:40
	global_load_dwordx4 v[24:27], v28, s[26:27]
	v_readfirstlane_b32 s12, v4
	v_readfirstlane_b32 s13, v5
	s_mov_b64 s[14:15], exec
	s_waitcnt vmcnt(0)
	v_readfirstlane_b32 s16, v8
	v_readfirstlane_b32 s17, v9
	s_and_b64 s[16:17], s[12:13], s[16:17]
	s_mul_i32 s18, s17, 24
	s_mul_hi_u32 s19, s16, 24
	s_mul_i32 s20, s16, 24
	s_add_i32 s18, s19, s18
	v_mov_b32_e32 v4, s18
	v_add_co_u32_e32 v29, vcc, s20, v24
	v_addc_co_u32_e32 v30, vcc, v25, v4, vcc
	s_and_saveexec_b64 s[18:19], s[4:5]
	s_cbranch_execz .LBB9_253
; %bb.252:                              ;   in Loop: Header=BB9_190 Depth=1
	v_mov_b32_e32 v4, s14
	v_mov_b32_e32 v5, s15
	global_store_dwordx4 v[29:30], v[4:7], off offset:8
.LBB9_253:                              ;   in Loop: Header=BB9_190 Depth=1
	s_or_b64 exec, exec, s[18:19]
	s_lshl_b64 s[14:15], s[16:17], 12
	v_mov_b32_e32 v4, s15
	v_add_co_u32_e32 v26, vcc, s14, v26
	v_addc_co_u32_e32 v33, vcc, v27, v4, vcc
	v_cmp_gt_u64_e64 vcc, s[8:9], 56
	v_or_b32_e32 v5, v2, v32
	s_lshl_b32 s14, s10, 2
	v_cndmask_b32_e32 v2, v5, v2, vcc
	s_add_i32 s14, s14, 28
	v_or_b32_e32 v4, 0, v3
	s_and_b32 s14, s14, 0x1e0
	v_and_b32_e32 v2, 0xffffff1f, v2
	v_cndmask_b32_e32 v9, v4, v3, vcc
	v_or_b32_e32 v8, s14, v2
	v_readfirstlane_b32 s14, v26
	v_readfirstlane_b32 s15, v33
	s_nop 4
	global_store_dwordx4 v38, v[8:11], s[14:15]
	global_store_dwordx4 v38, v[12:15], s[14:15] offset:16
	global_store_dwordx4 v38, v[16:19], s[14:15] offset:32
	;; [unrolled: 1-line block ×3, first 2 shown]
	s_and_saveexec_b64 s[14:15], s[4:5]
	s_cbranch_execz .LBB9_261
; %bb.254:                              ;   in Loop: Header=BB9_190 Depth=1
	global_load_dwordx2 v[12:13], v28, s[26:27] offset:32 glc
	global_load_dwordx2 v[2:3], v28, s[26:27] offset:40
	v_mov_b32_e32 v10, s12
	v_mov_b32_e32 v11, s13
	s_waitcnt vmcnt(0)
	v_readfirstlane_b32 s16, v2
	v_readfirstlane_b32 s17, v3
	s_and_b64 s[16:17], s[16:17], s[12:13]
	s_mul_i32 s17, s17, 24
	s_mul_hi_u32 s18, s16, 24
	s_mul_i32 s16, s16, 24
	s_add_i32 s17, s18, s17
	v_mov_b32_e32 v2, s17
	v_add_co_u32_e32 v8, vcc, s16, v24
	v_addc_co_u32_e32 v9, vcc, v25, v2, vcc
	global_store_dwordx2 v[8:9], v[12:13], off
	s_waitcnt vmcnt(0)
	global_atomic_cmpswap_x2 v[4:5], v28, v[10:13], s[26:27] offset:32 glc
	s_waitcnt vmcnt(0)
	v_cmp_ne_u64_e32 vcc, v[4:5], v[12:13]
	s_and_saveexec_b64 s[16:17], vcc
	s_cbranch_execz .LBB9_257
; %bb.255:                              ;   in Loop: Header=BB9_190 Depth=1
	s_mov_b64 s[18:19], 0
.LBB9_256:                              ;   Parent Loop BB9_190 Depth=1
                                        ; =>  This Inner Loop Header: Depth=2
	s_sleep 1
	global_store_dwordx2 v[8:9], v[4:5], off
	v_mov_b32_e32 v2, s12
	v_mov_b32_e32 v3, s13
	s_waitcnt vmcnt(0)
	global_atomic_cmpswap_x2 v[2:3], v28, v[2:5], s[26:27] offset:32 glc
	s_waitcnt vmcnt(0)
	v_cmp_eq_u64_e32 vcc, v[2:3], v[4:5]
	v_mov_b32_e32 v5, v3
	s_or_b64 s[18:19], vcc, s[18:19]
	v_mov_b32_e32 v4, v2
	s_andn2_b64 exec, exec, s[18:19]
	s_cbranch_execnz .LBB9_256
.LBB9_257:                              ;   in Loop: Header=BB9_190 Depth=1
	s_or_b64 exec, exec, s[16:17]
	global_load_dwordx2 v[2:3], v28, s[26:27] offset:16
	s_mov_b64 s[18:19], exec
	v_mbcnt_lo_u32_b32 v4, s18, 0
	v_mbcnt_hi_u32_b32 v4, s19, v4
	v_cmp_eq_u32_e32 vcc, 0, v4
	s_and_saveexec_b64 s[16:17], vcc
	s_cbranch_execz .LBB9_259
; %bb.258:                              ;   in Loop: Header=BB9_190 Depth=1
	s_bcnt1_i32_b64 s18, s[18:19]
	v_mov_b32_e32 v27, s18
	s_waitcnt vmcnt(0)
	global_atomic_add_x2 v[2:3], v[27:28], off offset:8
.LBB9_259:                              ;   in Loop: Header=BB9_190 Depth=1
	s_or_b64 exec, exec, s[16:17]
	s_waitcnt vmcnt(0)
	global_load_dwordx2 v[4:5], v[2:3], off offset:16
	s_waitcnt vmcnt(0)
	v_cmp_eq_u64_e32 vcc, 0, v[4:5]
	s_cbranch_vccnz .LBB9_261
; %bb.260:                              ;   in Loop: Header=BB9_190 Depth=1
	global_load_dword v27, v[2:3], off offset:24
	s_waitcnt vmcnt(0)
	v_and_b32_e32 v2, 0xffffff, v27
	v_readfirstlane_b32 m0, v2
	global_store_dwordx2 v[4:5], v[27:28], off
	s_sendmsg sendmsg(MSG_INTERRUPT)
.LBB9_261:                              ;   in Loop: Header=BB9_190 Depth=1
	s_or_b64 exec, exec, s[14:15]
	v_add_co_u32_e32 v2, vcc, v26, v38
	v_addc_co_u32_e32 v3, vcc, 0, v33, vcc
	s_branch .LBB9_265
.LBB9_262:                              ;   in Loop: Header=BB9_265 Depth=2
	s_or_b64 exec, exec, s[14:15]
	v_readfirstlane_b32 s14, v4
	s_cmp_eq_u32 s14, 0
	s_cbranch_scc1 .LBB9_264
; %bb.263:                              ;   in Loop: Header=BB9_265 Depth=2
	s_sleep 1
	s_cbranch_execnz .LBB9_265
	s_branch .LBB9_267
.LBB9_264:                              ;   in Loop: Header=BB9_190 Depth=1
	s_branch .LBB9_267
.LBB9_265:                              ;   Parent Loop BB9_190 Depth=1
                                        ; =>  This Inner Loop Header: Depth=2
	v_mov_b32_e32 v4, 1
	s_and_saveexec_b64 s[14:15], s[4:5]
	s_cbranch_execz .LBB9_262
; %bb.266:                              ;   in Loop: Header=BB9_265 Depth=2
	global_load_dword v4, v[29:30], off offset:20 glc
	s_waitcnt vmcnt(0)
	buffer_wbinvl1_vol
	v_and_b32_e32 v4, 1, v4
	s_branch .LBB9_262
.LBB9_267:                              ;   in Loop: Header=BB9_190 Depth=1
	global_load_dwordx4 v[2:5], v[2:3], off
	s_and_saveexec_b64 s[14:15], s[4:5]
	s_cbranch_execz .LBB9_189
; %bb.268:                              ;   in Loop: Header=BB9_190 Depth=1
	global_load_dwordx2 v[4:5], v28, s[26:27] offset:40
	global_load_dwordx2 v[12:13], v28, s[26:27] offset:24 glc
	global_load_dwordx2 v[14:15], v28, s[26:27]
	v_mov_b32_e32 v9, s13
	s_waitcnt vmcnt(0)
	v_add_co_u32_e32 v10, vcc, 1, v4
	v_addc_co_u32_e32 v11, vcc, 0, v5, vcc
	v_add_co_u32_e32 v8, vcc, s12, v10
	v_addc_co_u32_e32 v9, vcc, v11, v9, vcc
	v_cmp_eq_u64_e32 vcc, 0, v[8:9]
	v_cndmask_b32_e32 v9, v9, v11, vcc
	v_cndmask_b32_e32 v8, v8, v10, vcc
	v_and_b32_e32 v5, v9, v5
	v_and_b32_e32 v4, v8, v4
	v_mul_lo_u32 v5, v5, 24
	v_mul_hi_u32 v11, v4, 24
	v_mul_lo_u32 v4, v4, 24
	v_mov_b32_e32 v10, v12
	v_add_u32_e32 v5, v11, v5
	v_add_co_u32_e32 v4, vcc, v14, v4
	v_addc_co_u32_e32 v5, vcc, v15, v5, vcc
	global_store_dwordx2 v[4:5], v[12:13], off
	v_mov_b32_e32 v11, v13
	s_waitcnt vmcnt(0)
	global_atomic_cmpswap_x2 v[10:11], v28, v[8:11], s[26:27] offset:24 glc
	s_waitcnt vmcnt(0)
	v_cmp_ne_u64_e32 vcc, v[10:11], v[12:13]
	s_and_b64 exec, exec, vcc
	s_cbranch_execz .LBB9_189
; %bb.269:                              ;   in Loop: Header=BB9_190 Depth=1
	s_mov_b64 s[4:5], 0
.LBB9_270:                              ;   Parent Loop BB9_190 Depth=1
                                        ; =>  This Inner Loop Header: Depth=2
	s_sleep 1
	global_store_dwordx2 v[4:5], v[10:11], off
	s_waitcnt vmcnt(0)
	global_atomic_cmpswap_x2 v[12:13], v28, v[8:11], s[26:27] offset:24 glc
	s_waitcnt vmcnt(0)
	v_cmp_eq_u64_e32 vcc, v[12:13], v[10:11]
	v_mov_b32_e32 v10, v12
	s_or_b64 s[4:5], vcc, s[4:5]
	v_mov_b32_e32 v11, v13
	s_andn2_b64 exec, exec, s[4:5]
	s_cbranch_execnz .LBB9_270
	s_branch .LBB9_189
.LBB9_271:
	s_branch .LBB9_299
.LBB9_272:
                                        ; implicit-def: $vgpr2_vgpr3
	s_cbranch_execz .LBB9_299
; %bb.273:
	v_readfirstlane_b32 s4, v39
	v_mov_b32_e32 v8, 0
	v_mov_b32_e32 v9, 0
	v_cmp_eq_u32_e64 s[4:5], s4, v39
	s_and_saveexec_b64 s[6:7], s[4:5]
	s_cbranch_execz .LBB9_279
; %bb.274:
	s_waitcnt vmcnt(0)
	v_mov_b32_e32 v2, 0
	global_load_dwordx2 v[5:6], v2, s[26:27] offset:24 glc
	s_waitcnt vmcnt(0)
	buffer_wbinvl1_vol
	global_load_dwordx2 v[3:4], v2, s[26:27] offset:40
	global_load_dwordx2 v[7:8], v2, s[26:27]
	s_waitcnt vmcnt(0)
	v_and_b32_e32 v3, v3, v5
	v_and_b32_e32 v4, v4, v6
	v_mul_lo_u32 v4, v4, 24
	v_mul_hi_u32 v9, v3, 24
	v_mul_lo_u32 v3, v3, 24
	v_add_u32_e32 v4, v9, v4
	v_add_co_u32_e32 v3, vcc, v7, v3
	v_addc_co_u32_e32 v4, vcc, v8, v4, vcc
	global_load_dwordx2 v[3:4], v[3:4], off glc
	s_waitcnt vmcnt(0)
	global_atomic_cmpswap_x2 v[8:9], v2, v[3:6], s[26:27] offset:24 glc
	s_waitcnt vmcnt(0)
	buffer_wbinvl1_vol
	v_cmp_ne_u64_e32 vcc, v[8:9], v[5:6]
	s_and_saveexec_b64 s[8:9], vcc
	s_cbranch_execz .LBB9_278
; %bb.275:
	s_mov_b64 s[10:11], 0
.LBB9_276:                              ; =>This Inner Loop Header: Depth=1
	s_sleep 1
	global_load_dwordx2 v[3:4], v2, s[26:27] offset:40
	global_load_dwordx2 v[10:11], v2, s[26:27]
	v_mov_b32_e32 v5, v8
	v_mov_b32_e32 v6, v9
	s_waitcnt vmcnt(0)
	v_and_b32_e32 v3, v3, v5
	v_mad_u64_u32 v[7:8], s[12:13], v3, 24, v[10:11]
	v_and_b32_e32 v4, v4, v6
	v_mov_b32_e32 v3, v8
	v_mad_u64_u32 v[3:4], s[12:13], v4, 24, v[3:4]
	v_mov_b32_e32 v8, v3
	global_load_dwordx2 v[3:4], v[7:8], off glc
	s_waitcnt vmcnt(0)
	global_atomic_cmpswap_x2 v[8:9], v2, v[3:6], s[26:27] offset:24 glc
	s_waitcnt vmcnt(0)
	buffer_wbinvl1_vol
	v_cmp_eq_u64_e32 vcc, v[8:9], v[5:6]
	s_or_b64 s[10:11], vcc, s[10:11]
	s_andn2_b64 exec, exec, s[10:11]
	s_cbranch_execnz .LBB9_276
; %bb.277:
	s_or_b64 exec, exec, s[10:11]
.LBB9_278:
	s_or_b64 exec, exec, s[8:9]
.LBB9_279:
	s_or_b64 exec, exec, s[6:7]
	s_waitcnt vmcnt(0)
	v_mov_b32_e32 v2, 0
	global_load_dwordx2 v[10:11], v2, s[26:27] offset:40
	global_load_dwordx4 v[4:7], v2, s[26:27]
	v_readfirstlane_b32 s6, v8
	v_readfirstlane_b32 s7, v9
	s_mov_b64 s[8:9], exec
	s_waitcnt vmcnt(0)
	v_readfirstlane_b32 s10, v10
	v_readfirstlane_b32 s11, v11
	s_and_b64 s[10:11], s[6:7], s[10:11]
	s_mul_i32 s12, s11, 24
	s_mul_hi_u32 s13, s10, 24
	s_mul_i32 s14, s10, 24
	s_add_i32 s12, s13, s12
	v_mov_b32_e32 v3, s12
	v_add_co_u32_e32 v8, vcc, s14, v4
	v_addc_co_u32_e32 v9, vcc, v5, v3, vcc
	s_and_saveexec_b64 s[12:13], s[4:5]
	s_cbranch_execz .LBB9_281
; %bb.280:
	v_mov_b32_e32 v11, s9
	v_mov_b32_e32 v10, s8
	;; [unrolled: 1-line block ×4, first 2 shown]
	global_store_dwordx4 v[8:9], v[10:13], off offset:8
.LBB9_281:
	s_or_b64 exec, exec, s[12:13]
	s_lshl_b64 s[8:9], s[10:11], 12
	v_mov_b32_e32 v3, s9
	v_add_co_u32_e32 v10, vcc, s8, v6
	v_addc_co_u32_e32 v11, vcc, v7, v3, vcc
	s_movk_i32 s8, 0xff1f
	v_and_or_b32 v0, v0, s8, 32
	s_mov_b32 s8, 0
	v_mov_b32_e32 v3, v2
	v_readfirstlane_b32 s12, v10
	v_readfirstlane_b32 s13, v11
	v_add_co_u32_e32 v6, vcc, v10, v38
	s_mov_b32 s9, s8
	s_mov_b32 s10, s8
	;; [unrolled: 1-line block ×3, first 2 shown]
	s_nop 0
	global_store_dwordx4 v38, v[0:3], s[12:13]
	v_addc_co_u32_e32 v7, vcc, 0, v11, vcc
	v_mov_b32_e32 v0, s8
	v_mov_b32_e32 v1, s9
	;; [unrolled: 1-line block ×4, first 2 shown]
	global_store_dwordx4 v38, v[0:3], s[12:13] offset:16
	global_store_dwordx4 v38, v[0:3], s[12:13] offset:32
	;; [unrolled: 1-line block ×3, first 2 shown]
	s_and_saveexec_b64 s[8:9], s[4:5]
	s_cbranch_execz .LBB9_289
; %bb.282:
	v_mov_b32_e32 v10, 0
	global_load_dwordx2 v[13:14], v10, s[26:27] offset:32 glc
	global_load_dwordx2 v[0:1], v10, s[26:27] offset:40
	v_mov_b32_e32 v11, s6
	v_mov_b32_e32 v12, s7
	s_waitcnt vmcnt(0)
	v_readfirstlane_b32 s10, v0
	v_readfirstlane_b32 s11, v1
	s_and_b64 s[10:11], s[10:11], s[6:7]
	s_mul_i32 s11, s11, 24
	s_mul_hi_u32 s12, s10, 24
	s_mul_i32 s10, s10, 24
	s_add_i32 s11, s12, s11
	v_mov_b32_e32 v0, s11
	v_add_co_u32_e32 v4, vcc, s10, v4
	v_addc_co_u32_e32 v5, vcc, v5, v0, vcc
	global_store_dwordx2 v[4:5], v[13:14], off
	s_waitcnt vmcnt(0)
	global_atomic_cmpswap_x2 v[2:3], v10, v[11:14], s[26:27] offset:32 glc
	s_waitcnt vmcnt(0)
	v_cmp_ne_u64_e32 vcc, v[2:3], v[13:14]
	s_and_saveexec_b64 s[10:11], vcc
	s_cbranch_execz .LBB9_285
; %bb.283:
	s_mov_b64 s[12:13], 0
.LBB9_284:                              ; =>This Inner Loop Header: Depth=1
	s_sleep 1
	global_store_dwordx2 v[4:5], v[2:3], off
	v_mov_b32_e32 v0, s6
	v_mov_b32_e32 v1, s7
	s_waitcnt vmcnt(0)
	global_atomic_cmpswap_x2 v[0:1], v10, v[0:3], s[26:27] offset:32 glc
	s_waitcnt vmcnt(0)
	v_cmp_eq_u64_e32 vcc, v[0:1], v[2:3]
	v_mov_b32_e32 v3, v1
	s_or_b64 s[12:13], vcc, s[12:13]
	v_mov_b32_e32 v2, v0
	s_andn2_b64 exec, exec, s[12:13]
	s_cbranch_execnz .LBB9_284
.LBB9_285:
	s_or_b64 exec, exec, s[10:11]
	v_mov_b32_e32 v3, 0
	global_load_dwordx2 v[0:1], v3, s[26:27] offset:16
	s_mov_b64 s[10:11], exec
	v_mbcnt_lo_u32_b32 v2, s10, 0
	v_mbcnt_hi_u32_b32 v2, s11, v2
	v_cmp_eq_u32_e32 vcc, 0, v2
	s_and_saveexec_b64 s[12:13], vcc
	s_cbranch_execz .LBB9_287
; %bb.286:
	s_bcnt1_i32_b64 s10, s[10:11]
	v_mov_b32_e32 v2, s10
	s_waitcnt vmcnt(0)
	global_atomic_add_x2 v[0:1], v[2:3], off offset:8
.LBB9_287:
	s_or_b64 exec, exec, s[12:13]
	s_waitcnt vmcnt(0)
	global_load_dwordx2 v[2:3], v[0:1], off offset:16
	s_waitcnt vmcnt(0)
	v_cmp_eq_u64_e32 vcc, 0, v[2:3]
	s_cbranch_vccnz .LBB9_289
; %bb.288:
	global_load_dword v0, v[0:1], off offset:24
	v_mov_b32_e32 v1, 0
	s_waitcnt vmcnt(0)
	global_store_dwordx2 v[2:3], v[0:1], off
	v_and_b32_e32 v0, 0xffffff, v0
	v_readfirstlane_b32 m0, v0
	s_sendmsg sendmsg(MSG_INTERRUPT)
.LBB9_289:
	s_or_b64 exec, exec, s[8:9]
	s_branch .LBB9_293
.LBB9_290:                              ;   in Loop: Header=BB9_293 Depth=1
	s_or_b64 exec, exec, s[8:9]
	v_readfirstlane_b32 s8, v0
	s_cmp_eq_u32 s8, 0
	s_cbranch_scc1 .LBB9_292
; %bb.291:                              ;   in Loop: Header=BB9_293 Depth=1
	s_sleep 1
	s_cbranch_execnz .LBB9_293
	s_branch .LBB9_295
.LBB9_292:
	s_branch .LBB9_295
.LBB9_293:                              ; =>This Inner Loop Header: Depth=1
	v_mov_b32_e32 v0, 1
	s_and_saveexec_b64 s[8:9], s[4:5]
	s_cbranch_execz .LBB9_290
; %bb.294:                              ;   in Loop: Header=BB9_293 Depth=1
	global_load_dword v0, v[8:9], off offset:20 glc
	s_waitcnt vmcnt(0)
	buffer_wbinvl1_vol
	v_and_b32_e32 v0, 1, v0
	s_branch .LBB9_290
.LBB9_295:
	global_load_dwordx2 v[2:3], v[6:7], off
	s_and_saveexec_b64 s[8:9], s[4:5]
	s_cbranch_execz .LBB9_298
; %bb.296:
	v_mov_b32_e32 v8, 0
	global_load_dwordx2 v[0:1], v8, s[26:27] offset:40
	global_load_dwordx2 v[9:10], v8, s[26:27] offset:24 glc
	global_load_dwordx2 v[11:12], v8, s[26:27]
	v_mov_b32_e32 v5, s7
	s_mov_b64 s[4:5], 0
	s_waitcnt vmcnt(0)
	v_add_co_u32_e32 v6, vcc, 1, v0
	v_addc_co_u32_e32 v7, vcc, 0, v1, vcc
	v_add_co_u32_e32 v4, vcc, s6, v6
	v_addc_co_u32_e32 v5, vcc, v7, v5, vcc
	v_cmp_eq_u64_e32 vcc, 0, v[4:5]
	v_cndmask_b32_e32 v5, v5, v7, vcc
	v_cndmask_b32_e32 v4, v4, v6, vcc
	v_and_b32_e32 v1, v5, v1
	v_and_b32_e32 v0, v4, v0
	v_mul_lo_u32 v1, v1, 24
	v_mul_hi_u32 v7, v0, 24
	v_mul_lo_u32 v0, v0, 24
	v_mov_b32_e32 v6, v9
	v_add_u32_e32 v1, v7, v1
	v_add_co_u32_e32 v0, vcc, v11, v0
	v_addc_co_u32_e32 v1, vcc, v12, v1, vcc
	global_store_dwordx2 v[0:1], v[9:10], off
	v_mov_b32_e32 v7, v10
	s_waitcnt vmcnt(0)
	global_atomic_cmpswap_x2 v[6:7], v8, v[4:7], s[26:27] offset:24 glc
	s_waitcnt vmcnt(0)
	v_cmp_ne_u64_e32 vcc, v[6:7], v[9:10]
	s_and_b64 exec, exec, vcc
	s_cbranch_execz .LBB9_298
.LBB9_297:                              ; =>This Inner Loop Header: Depth=1
	s_sleep 1
	global_store_dwordx2 v[0:1], v[6:7], off
	s_waitcnt vmcnt(0)
	global_atomic_cmpswap_x2 v[9:10], v8, v[4:7], s[26:27] offset:24 glc
	s_waitcnt vmcnt(0)
	v_cmp_eq_u64_e32 vcc, v[9:10], v[6:7]
	v_mov_b32_e32 v6, v9
	s_or_b64 s[4:5], vcc, s[4:5]
	v_mov_b32_e32 v7, v10
	s_andn2_b64 exec, exec, s[4:5]
	s_cbranch_execnz .LBB9_297
.LBB9_298:
	s_or_b64 exec, exec, s[8:9]
.LBB9_299:
	v_readfirstlane_b32 s4, v39
	s_waitcnt vmcnt(0)
	v_mov_b32_e32 v0, 0
	v_mov_b32_e32 v1, 0
	v_cmp_eq_u32_e64 s[4:5], s4, v39
	s_and_saveexec_b64 s[6:7], s[4:5]
	s_cbranch_execz .LBB9_305
; %bb.300:
	v_mov_b32_e32 v4, 0
	global_load_dwordx2 v[7:8], v4, s[26:27] offset:24 glc
	s_waitcnt vmcnt(0)
	buffer_wbinvl1_vol
	global_load_dwordx2 v[0:1], v4, s[26:27] offset:40
	global_load_dwordx2 v[5:6], v4, s[26:27]
	s_waitcnt vmcnt(0)
	v_and_b32_e32 v0, v0, v7
	v_and_b32_e32 v1, v1, v8
	v_mul_lo_u32 v1, v1, 24
	v_mul_hi_u32 v9, v0, 24
	v_mul_lo_u32 v0, v0, 24
	v_add_u32_e32 v1, v9, v1
	v_add_co_u32_e32 v0, vcc, v5, v0
	v_addc_co_u32_e32 v1, vcc, v6, v1, vcc
	global_load_dwordx2 v[5:6], v[0:1], off glc
	s_waitcnt vmcnt(0)
	global_atomic_cmpswap_x2 v[0:1], v4, v[5:8], s[26:27] offset:24 glc
	s_waitcnt vmcnt(0)
	buffer_wbinvl1_vol
	v_cmp_ne_u64_e32 vcc, v[0:1], v[7:8]
	s_and_saveexec_b64 s[8:9], vcc
	s_cbranch_execz .LBB9_304
; %bb.301:
	s_mov_b64 s[10:11], 0
.LBB9_302:                              ; =>This Inner Loop Header: Depth=1
	s_sleep 1
	global_load_dwordx2 v[5:6], v4, s[26:27] offset:40
	global_load_dwordx2 v[9:10], v4, s[26:27]
	v_mov_b32_e32 v8, v1
	v_mov_b32_e32 v7, v0
	s_waitcnt vmcnt(0)
	v_and_b32_e32 v0, v5, v7
	v_mad_u64_u32 v[0:1], s[12:13], v0, 24, v[9:10]
	v_and_b32_e32 v5, v6, v8
	v_mad_u64_u32 v[5:6], s[12:13], v5, 24, v[1:2]
	v_mov_b32_e32 v1, v5
	global_load_dwordx2 v[5:6], v[0:1], off glc
	s_waitcnt vmcnt(0)
	global_atomic_cmpswap_x2 v[0:1], v4, v[5:8], s[26:27] offset:24 glc
	s_waitcnt vmcnt(0)
	buffer_wbinvl1_vol
	v_cmp_eq_u64_e32 vcc, v[0:1], v[7:8]
	s_or_b64 s[10:11], vcc, s[10:11]
	s_andn2_b64 exec, exec, s[10:11]
	s_cbranch_execnz .LBB9_302
; %bb.303:
	s_or_b64 exec, exec, s[10:11]
.LBB9_304:
	s_or_b64 exec, exec, s[8:9]
.LBB9_305:
	s_or_b64 exec, exec, s[6:7]
	v_mov_b32_e32 v10, 0
	global_load_dwordx2 v[4:5], v10, s[26:27] offset:40
	global_load_dwordx4 v[6:9], v10, s[26:27]
	v_readfirstlane_b32 s6, v0
	v_readfirstlane_b32 s7, v1
	s_mov_b64 s[8:9], exec
	s_waitcnt vmcnt(0)
	v_readfirstlane_b32 s10, v4
	v_readfirstlane_b32 s11, v5
	s_and_b64 s[10:11], s[6:7], s[10:11]
	s_mul_i32 s12, s11, 24
	s_mul_hi_u32 s13, s10, 24
	s_mul_i32 s14, s10, 24
	s_add_i32 s12, s13, s12
	v_mov_b32_e32 v0, s12
	v_add_co_u32_e32 v10, vcc, s14, v6
	v_addc_co_u32_e32 v11, vcc, v7, v0, vcc
	s_and_saveexec_b64 s[12:13], s[4:5]
	s_cbranch_execz .LBB9_307
; %bb.306:
	v_mov_b32_e32 v13, s9
	v_mov_b32_e32 v12, s8
	;; [unrolled: 1-line block ×4, first 2 shown]
	global_store_dwordx4 v[10:11], v[12:15], off offset:8
.LBB9_307:
	s_or_b64 exec, exec, s[12:13]
	s_lshl_b64 s[8:9], s[10:11], 12
	v_mov_b32_e32 v0, s9
	v_add_co_u32_e32 v1, vcc, s8, v8
	v_addc_co_u32_e32 v0, vcc, v9, v0, vcc
	s_movk_i32 s8, 0xff1d
	v_and_or_b32 v2, v2, s8, 34
	s_waitcnt lgkmcnt(0)
	v_ashrrev_i32_e32 v5, 31, v31
	v_mov_b32_e32 v4, v31
	v_readfirstlane_b32 s12, v1
	v_readfirstlane_b32 s13, v0
	s_mov_b32 s8, 0
	s_mov_b32 s9, s8
	;; [unrolled: 1-line block ×4, first 2 shown]
	s_nop 0
	global_store_dwordx4 v38, v[2:5], s[12:13]
	v_mov_b32_e32 v0, s8
	v_mov_b32_e32 v1, s9
	;; [unrolled: 1-line block ×4, first 2 shown]
	global_store_dwordx4 v38, v[0:3], s[12:13] offset:16
	global_store_dwordx4 v38, v[0:3], s[12:13] offset:32
	;; [unrolled: 1-line block ×3, first 2 shown]
	s_and_saveexec_b64 s[8:9], s[4:5]
	s_cbranch_execz .LBB9_315
; %bb.308:
	v_mov_b32_e32 v8, 0
	global_load_dwordx2 v[14:15], v8, s[26:27] offset:32 glc
	global_load_dwordx2 v[0:1], v8, s[26:27] offset:40
	v_mov_b32_e32 v12, s6
	v_mov_b32_e32 v13, s7
	s_waitcnt vmcnt(0)
	v_readfirstlane_b32 s10, v0
	v_readfirstlane_b32 s11, v1
	s_and_b64 s[10:11], s[10:11], s[6:7]
	s_mul_i32 s11, s11, 24
	s_mul_hi_u32 s12, s10, 24
	s_mul_i32 s10, s10, 24
	s_add_i32 s11, s12, s11
	v_mov_b32_e32 v0, s11
	v_add_co_u32_e32 v4, vcc, s10, v6
	v_addc_co_u32_e32 v5, vcc, v7, v0, vcc
	global_store_dwordx2 v[4:5], v[14:15], off
	s_waitcnt vmcnt(0)
	global_atomic_cmpswap_x2 v[2:3], v8, v[12:15], s[26:27] offset:32 glc
	s_waitcnt vmcnt(0)
	v_cmp_ne_u64_e32 vcc, v[2:3], v[14:15]
	s_and_saveexec_b64 s[10:11], vcc
	s_cbranch_execz .LBB9_311
; %bb.309:
	s_mov_b64 s[12:13], 0
.LBB9_310:                              ; =>This Inner Loop Header: Depth=1
	s_sleep 1
	global_store_dwordx2 v[4:5], v[2:3], off
	v_mov_b32_e32 v0, s6
	v_mov_b32_e32 v1, s7
	s_waitcnt vmcnt(0)
	global_atomic_cmpswap_x2 v[0:1], v8, v[0:3], s[26:27] offset:32 glc
	s_waitcnt vmcnt(0)
	v_cmp_eq_u64_e32 vcc, v[0:1], v[2:3]
	v_mov_b32_e32 v3, v1
	s_or_b64 s[12:13], vcc, s[12:13]
	v_mov_b32_e32 v2, v0
	s_andn2_b64 exec, exec, s[12:13]
	s_cbranch_execnz .LBB9_310
.LBB9_311:
	s_or_b64 exec, exec, s[10:11]
	v_mov_b32_e32 v3, 0
	global_load_dwordx2 v[0:1], v3, s[26:27] offset:16
	s_mov_b64 s[10:11], exec
	v_mbcnt_lo_u32_b32 v2, s10, 0
	v_mbcnt_hi_u32_b32 v2, s11, v2
	v_cmp_eq_u32_e32 vcc, 0, v2
	s_and_saveexec_b64 s[12:13], vcc
	s_cbranch_execz .LBB9_313
; %bb.312:
	s_bcnt1_i32_b64 s10, s[10:11]
	v_mov_b32_e32 v2, s10
	s_waitcnt vmcnt(0)
	global_atomic_add_x2 v[0:1], v[2:3], off offset:8
.LBB9_313:
	s_or_b64 exec, exec, s[12:13]
	s_waitcnt vmcnt(0)
	global_load_dwordx2 v[2:3], v[0:1], off offset:16
	s_waitcnt vmcnt(0)
	v_cmp_eq_u64_e32 vcc, 0, v[2:3]
	s_cbranch_vccnz .LBB9_315
; %bb.314:
	global_load_dword v0, v[0:1], off offset:24
	v_mov_b32_e32 v1, 0
	s_waitcnt vmcnt(0)
	global_store_dwordx2 v[2:3], v[0:1], off
	v_and_b32_e32 v0, 0xffffff, v0
	v_readfirstlane_b32 m0, v0
	s_sendmsg sendmsg(MSG_INTERRUPT)
.LBB9_315:
	s_or_b64 exec, exec, s[8:9]
	s_branch .LBB9_319
.LBB9_316:                              ;   in Loop: Header=BB9_319 Depth=1
	s_or_b64 exec, exec, s[8:9]
	v_readfirstlane_b32 s8, v0
	s_cmp_eq_u32 s8, 0
	s_cbranch_scc1 .LBB9_318
; %bb.317:                              ;   in Loop: Header=BB9_319 Depth=1
	s_sleep 1
	s_cbranch_execnz .LBB9_319
	s_branch .LBB9_321
.LBB9_318:
	s_branch .LBB9_321
.LBB9_319:                              ; =>This Inner Loop Header: Depth=1
	v_mov_b32_e32 v0, 1
	s_and_saveexec_b64 s[8:9], s[4:5]
	s_cbranch_execz .LBB9_316
; %bb.320:                              ;   in Loop: Header=BB9_319 Depth=1
	global_load_dword v0, v[10:11], off offset:20 glc
	s_waitcnt vmcnt(0)
	buffer_wbinvl1_vol
	v_and_b32_e32 v0, 1, v0
	s_branch .LBB9_316
.LBB9_321:
	s_and_saveexec_b64 s[8:9], s[4:5]
	s_cbranch_execz .LBB9_324
; %bb.322:
	v_mov_b32_e32 v6, 0
	global_load_dwordx2 v[2:3], v6, s[26:27] offset:40
	global_load_dwordx2 v[7:8], v6, s[26:27] offset:24 glc
	global_load_dwordx2 v[4:5], v6, s[26:27]
	v_mov_b32_e32 v1, s7
	s_mov_b64 s[4:5], 0
	s_waitcnt vmcnt(2)
	v_add_co_u32_e32 v9, vcc, 1, v2
	v_addc_co_u32_e32 v10, vcc, 0, v3, vcc
	v_add_co_u32_e32 v0, vcc, s6, v9
	v_addc_co_u32_e32 v1, vcc, v10, v1, vcc
	v_cmp_eq_u64_e32 vcc, 0, v[0:1]
	v_cndmask_b32_e32 v1, v1, v10, vcc
	v_cndmask_b32_e32 v0, v0, v9, vcc
	v_and_b32_e32 v3, v1, v3
	v_and_b32_e32 v2, v0, v2
	v_mul_lo_u32 v3, v3, 24
	v_mul_hi_u32 v9, v2, 24
	v_mul_lo_u32 v10, v2, 24
	s_waitcnt vmcnt(1)
	v_mov_b32_e32 v2, v7
	v_add_u32_e32 v3, v9, v3
	s_waitcnt vmcnt(0)
	v_add_co_u32_e32 v4, vcc, v4, v10
	v_addc_co_u32_e32 v5, vcc, v5, v3, vcc
	global_store_dwordx2 v[4:5], v[7:8], off
	v_mov_b32_e32 v3, v8
	s_waitcnt vmcnt(0)
	global_atomic_cmpswap_x2 v[2:3], v6, v[0:3], s[26:27] offset:24 glc
	s_waitcnt vmcnt(0)
	v_cmp_ne_u64_e32 vcc, v[2:3], v[7:8]
	s_and_b64 exec, exec, vcc
	s_cbranch_execz .LBB9_324
.LBB9_323:                              ; =>This Inner Loop Header: Depth=1
	s_sleep 1
	global_store_dwordx2 v[4:5], v[2:3], off
	s_waitcnt vmcnt(0)
	global_atomic_cmpswap_x2 v[7:8], v6, v[0:3], s[26:27] offset:24 glc
	s_waitcnt vmcnt(0)
	v_cmp_eq_u64_e32 vcc, v[7:8], v[2:3]
	v_mov_b32_e32 v2, v7
	s_or_b64 s[4:5], vcc, s[4:5]
	v_mov_b32_e32 v3, v8
	s_andn2_b64 exec, exec, s[4:5]
	s_cbranch_execnz .LBB9_323
.LBB9_324:
	s_or_b64 exec, exec, s[8:9]
	v_readlane_b32 s30, v40, 4
	v_readlane_b32 s31, v40, 5
	;; [unrolled: 1-line block ×6, first 2 shown]
	s_or_saveexec_b64 s[4:5], -1
	buffer_load_dword v40, off, s[0:3], s33 ; 4-byte Folded Reload
	s_mov_b64 exec, s[4:5]
	s_addk_i32 s32, 0xfc00
	s_mov_b32 s33, s23
	s_waitcnt vmcnt(0) lgkmcnt(0)
	s_setpc_b64 s[30:31]
.Lfunc_end9:
	.size	_ZN8migraphx4testlsIKNS_13basic_printerIZNS_4coutEvEUlT_E_EEEERS3_S7_RKNS0_10expressionINS0_14lhs_expressionIiNS0_3nopEEEiNS0_5equalEEE, .Lfunc_end9-_ZN8migraphx4testlsIKNS_13basic_printerIZNS_4coutEvEUlT_E_EEEERS3_S7_RKNS0_10expressionINS0_14lhs_expressionIiNS0_3nopEEEiNS0_5equalEEE
                                        ; -- End function
	.section	.AMDGPU.csdata,"",@progbits
; Function info:
; codeLenInByte = 11728
; NumSgprs: 42
; NumVgprs: 41
; ScratchSize: 16
; MemoryBound: 0
	.text
	.p2align	2                               ; -- Begin function _ZN8migraphx4test12test_manager6failedINS0_10expressionINS0_14lhs_expressionIiNS0_3nopEEEiNS0_5equalEEEPFvvEEEvRKT_PKcSF_SF_iT0_
	.type	_ZN8migraphx4test12test_manager6failedINS0_10expressionINS0_14lhs_expressionIiNS0_3nopEEEiNS0_5equalEEEPFvvEEEvRKT_PKcSF_SF_iT0_,@function
_ZN8migraphx4test12test_manager6failedINS0_10expressionINS0_14lhs_expressionIiNS0_3nopEEEiNS0_5equalEEEPFvvEEEvRKT_PKcSF_SF_iT0_: ; @_ZN8migraphx4test12test_manager6failedINS0_10expressionINS0_14lhs_expressionIiNS0_3nopEEEiNS0_5equalEEEPFvvEEEvRKT_PKcSF_SF_iT0_
; %bb.0:
	s_waitcnt vmcnt(0) expcnt(0) lgkmcnt(0)
	s_mov_b32 s4, s33
	s_mov_b32 s33, s32
	s_or_saveexec_b64 s[6:7], -1
	buffer_store_dword v41, off, s[0:3], s33 ; 4-byte Folded Spill
	s_mov_b64 exec, s[6:7]
	v_writelane_b32 v41, s4, 2
	v_writelane_b32 v41, s30, 0
	s_addk_i32 s32, 0x400
	v_writelane_b32 v41, s31, 1
	v_mov_b32_e32 v37, v3
	v_mov_b32_e32 v36, v2
	;; [unrolled: 1-line block ×4, first 2 shown]
	flat_load_dwordx2 v[0:1], v[36:37]
	s_waitcnt vmcnt(0) lgkmcnt(0)
	v_cmp_ne_u32_e32 vcc, v0, v1
	s_and_saveexec_b64 s[40:41], vcc
	s_cbranch_execz .LBB10_1729
; %bb.1:
	v_and_b32_e32 v0, 0x3ff, v31
	v_cmp_eq_u32_e32 vcc, 0, v0
	s_and_saveexec_b64 s[42:43], vcc
	s_cbranch_execz .LBB10_1728
; %bb.2:
	s_load_dwordx2 s[44:45], s[8:9], 0x50
	v_mbcnt_lo_u32_b32 v0, -1, 0
	v_mbcnt_hi_u32_b32 v51, -1, v0
	v_readfirstlane_b32 s4, v51
	v_mov_b32_e32 v11, 0
	v_mov_b32_e32 v12, 0
	v_cmp_eq_u32_e64 s[4:5], s4, v51
	s_and_saveexec_b64 s[6:7], s[4:5]
	s_cbranch_execz .LBB10_8
; %bb.3:
	v_mov_b32_e32 v0, 0
	s_waitcnt lgkmcnt(0)
	global_load_dwordx2 v[13:14], v0, s[44:45] offset:24 glc
	s_waitcnt vmcnt(0)
	buffer_wbinvl1_vol
	global_load_dwordx2 v[1:2], v0, s[44:45] offset:40
	global_load_dwordx2 v[9:10], v0, s[44:45]
	s_waitcnt vmcnt(1)
	v_and_b32_e32 v1, v1, v13
	v_and_b32_e32 v2, v2, v14
	v_mul_lo_u32 v2, v2, 24
	v_mul_hi_u32 v3, v1, 24
	v_mul_lo_u32 v1, v1, 24
	v_add_u32_e32 v2, v3, v2
	s_waitcnt vmcnt(0)
	v_add_co_u32_e32 v1, vcc, v9, v1
	v_addc_co_u32_e32 v2, vcc, v10, v2, vcc
	global_load_dwordx2 v[11:12], v[1:2], off glc
	s_waitcnt vmcnt(0)
	global_atomic_cmpswap_x2 v[11:12], v0, v[11:14], s[44:45] offset:24 glc
	s_waitcnt vmcnt(0)
	buffer_wbinvl1_vol
	v_cmp_ne_u64_e32 vcc, v[11:12], v[13:14]
	s_and_saveexec_b64 s[10:11], vcc
	s_cbranch_execz .LBB10_7
; %bb.4:
	s_mov_b64 s[16:17], 0
.LBB10_5:                               ; =>This Inner Loop Header: Depth=1
	s_sleep 1
	global_load_dwordx2 v[1:2], v0, s[44:45] offset:40
	global_load_dwordx2 v[9:10], v0, s[44:45]
	v_mov_b32_e32 v14, v12
	v_mov_b32_e32 v13, v11
	s_waitcnt vmcnt(1)
	v_and_b32_e32 v1, v1, v13
	s_waitcnt vmcnt(0)
	v_mad_u64_u32 v[9:10], s[18:19], v1, 24, v[9:10]
	v_and_b32_e32 v2, v2, v14
	v_mov_b32_e32 v1, v10
	v_mad_u64_u32 v[1:2], s[18:19], v2, 24, v[1:2]
	v_mov_b32_e32 v10, v1
	global_load_dwordx2 v[11:12], v[9:10], off glc
	s_waitcnt vmcnt(0)
	global_atomic_cmpswap_x2 v[11:12], v0, v[11:14], s[44:45] offset:24 glc
	s_waitcnt vmcnt(0)
	buffer_wbinvl1_vol
	v_cmp_eq_u64_e32 vcc, v[11:12], v[13:14]
	s_or_b64 s[16:17], vcc, s[16:17]
	s_andn2_b64 exec, exec, s[16:17]
	s_cbranch_execnz .LBB10_5
; %bb.6:
	s_or_b64 exec, exec, s[16:17]
.LBB10_7:
	s_or_b64 exec, exec, s[10:11]
.LBB10_8:
	s_or_b64 exec, exec, s[6:7]
	v_mov_b32_e32 v10, 0
	s_waitcnt lgkmcnt(0)
	global_load_dwordx2 v[13:14], v10, s[44:45] offset:40
	global_load_dwordx4 v[0:3], v10, s[44:45]
	v_readfirstlane_b32 s6, v11
	v_readfirstlane_b32 s7, v12
	s_mov_b64 s[10:11], exec
	s_waitcnt vmcnt(1)
	v_readfirstlane_b32 s16, v13
	v_readfirstlane_b32 s17, v14
	s_and_b64 s[16:17], s[6:7], s[16:17]
	s_mul_i32 s15, s17, 24
	s_mul_hi_u32 s18, s16, 24
	s_mul_i32 s19, s16, 24
	s_add_i32 s15, s18, s15
	v_mov_b32_e32 v9, s15
	s_waitcnt vmcnt(0)
	v_add_co_u32_e32 v13, vcc, s19, v0
	v_addc_co_u32_e32 v14, vcc, v1, v9, vcc
	s_and_saveexec_b64 s[18:19], s[4:5]
	s_cbranch_execz .LBB10_10
; %bb.9:
	v_mov_b32_e32 v16, s11
	v_mov_b32_e32 v15, s10
	;; [unrolled: 1-line block ×4, first 2 shown]
	global_store_dwordx4 v[13:14], v[15:18], off offset:8
.LBB10_10:
	s_or_b64 exec, exec, s[18:19]
	s_lshl_b64 s[10:11], s[16:17], 12
	v_mov_b32_e32 v9, s11
	v_add_co_u32_e32 v2, vcc, s10, v2
	v_addc_co_u32_e32 v3, vcc, v3, v9, vcc
	s_mov_b32 s16, 0
	v_lshlrev_b32_e32 v50, 6, v51
	v_mov_b32_e32 v9, 33
	v_mov_b32_e32 v11, v10
	v_mov_b32_e32 v12, v10
	v_readfirstlane_b32 s10, v2
	v_readfirstlane_b32 s11, v3
	v_add_co_u32_e32 v15, vcc, v2, v50
	s_mov_b32 s17, s16
	s_mov_b32 s18, s16
	;; [unrolled: 1-line block ×3, first 2 shown]
	s_nop 0
	global_store_dwordx4 v50, v[9:12], s[10:11]
	v_addc_co_u32_e32 v16, vcc, 0, v3, vcc
	v_mov_b32_e32 v9, s16
	v_mov_b32_e32 v10, s17
	;; [unrolled: 1-line block ×4, first 2 shown]
	global_store_dwordx4 v50, v[9:12], s[10:11] offset:16
	global_store_dwordx4 v50, v[9:12], s[10:11] offset:32
	;; [unrolled: 1-line block ×3, first 2 shown]
	s_and_saveexec_b64 s[10:11], s[4:5]
	s_cbranch_execz .LBB10_18
; %bb.11:
	v_mov_b32_e32 v11, 0
	global_load_dwordx2 v[19:20], v11, s[44:45] offset:32 glc
	global_load_dwordx2 v[2:3], v11, s[44:45] offset:40
	v_mov_b32_e32 v17, s6
	v_mov_b32_e32 v18, s7
	s_waitcnt vmcnt(0)
	v_and_b32_e32 v2, s6, v2
	v_and_b32_e32 v3, s7, v3
	v_mul_lo_u32 v3, v3, 24
	v_mul_hi_u32 v9, v2, 24
	v_mul_lo_u32 v2, v2, 24
	v_add_u32_e32 v3, v9, v3
	v_add_co_u32_e32 v9, vcc, v0, v2
	v_addc_co_u32_e32 v10, vcc, v1, v3, vcc
	global_store_dwordx2 v[9:10], v[19:20], off
	s_waitcnt vmcnt(0)
	global_atomic_cmpswap_x2 v[2:3], v11, v[17:20], s[44:45] offset:32 glc
	s_waitcnt vmcnt(0)
	v_cmp_ne_u64_e32 vcc, v[2:3], v[19:20]
	s_and_saveexec_b64 s[16:17], vcc
	s_cbranch_execz .LBB10_14
; %bb.12:
	s_mov_b64 s[18:19], 0
.LBB10_13:                              ; =>This Inner Loop Header: Depth=1
	s_sleep 1
	global_store_dwordx2 v[9:10], v[2:3], off
	v_mov_b32_e32 v0, s6
	v_mov_b32_e32 v1, s7
	s_waitcnt vmcnt(0)
	global_atomic_cmpswap_x2 v[0:1], v11, v[0:3], s[44:45] offset:32 glc
	s_waitcnt vmcnt(0)
	v_cmp_eq_u64_e32 vcc, v[0:1], v[2:3]
	v_mov_b32_e32 v3, v1
	s_or_b64 s[18:19], vcc, s[18:19]
	v_mov_b32_e32 v2, v0
	s_andn2_b64 exec, exec, s[18:19]
	s_cbranch_execnz .LBB10_13
.LBB10_14:
	s_or_b64 exec, exec, s[16:17]
	v_mov_b32_e32 v3, 0
	global_load_dwordx2 v[0:1], v3, s[44:45] offset:16
	s_mov_b64 s[16:17], exec
	v_mbcnt_lo_u32_b32 v2, s16, 0
	v_mbcnt_hi_u32_b32 v2, s17, v2
	v_cmp_eq_u32_e32 vcc, 0, v2
	s_and_saveexec_b64 s[18:19], vcc
	s_cbranch_execz .LBB10_16
; %bb.15:
	s_bcnt1_i32_b64 s15, s[16:17]
	v_mov_b32_e32 v2, s15
	s_waitcnt vmcnt(0)
	global_atomic_add_x2 v[0:1], v[2:3], off offset:8
.LBB10_16:
	s_or_b64 exec, exec, s[18:19]
	s_waitcnt vmcnt(0)
	global_load_dwordx2 v[2:3], v[0:1], off offset:16
	s_waitcnt vmcnt(0)
	v_cmp_eq_u64_e32 vcc, 0, v[2:3]
	s_cbranch_vccnz .LBB10_18
; %bb.17:
	global_load_dword v0, v[0:1], off offset:24
	v_mov_b32_e32 v1, 0
	s_waitcnt vmcnt(0)
	global_store_dwordx2 v[2:3], v[0:1], off
	v_and_b32_e32 v0, 0xffffff, v0
	v_readfirstlane_b32 m0, v0
	s_sendmsg sendmsg(MSG_INTERRUPT)
.LBB10_18:
	s_or_b64 exec, exec, s[10:11]
	s_branch .LBB10_22
.LBB10_19:                              ;   in Loop: Header=BB10_22 Depth=1
	s_or_b64 exec, exec, s[10:11]
	v_readfirstlane_b32 s10, v0
	s_cmp_eq_u32 s10, 0
	s_cbranch_scc1 .LBB10_21
; %bb.20:                               ;   in Loop: Header=BB10_22 Depth=1
	s_sleep 1
	s_cbranch_execnz .LBB10_22
	s_branch .LBB10_24
.LBB10_21:
	s_branch .LBB10_24
.LBB10_22:                              ; =>This Inner Loop Header: Depth=1
	v_mov_b32_e32 v0, 1
	s_and_saveexec_b64 s[10:11], s[4:5]
	s_cbranch_execz .LBB10_19
; %bb.23:                               ;   in Loop: Header=BB10_22 Depth=1
	global_load_dword v0, v[13:14], off offset:20 glc
	s_waitcnt vmcnt(0)
	buffer_wbinvl1_vol
	v_and_b32_e32 v0, 1, v0
	s_branch .LBB10_19
.LBB10_24:
	global_load_dwordx2 v[9:10], v[15:16], off
	s_and_saveexec_b64 s[10:11], s[4:5]
	s_cbranch_execz .LBB10_27
; %bb.25:
	v_mov_b32_e32 v13, 0
	global_load_dwordx2 v[2:3], v13, s[44:45] offset:40
	global_load_dwordx2 v[14:15], v13, s[44:45] offset:24 glc
	global_load_dwordx2 v[11:12], v13, s[44:45]
	v_mov_b32_e32 v1, s7
	s_mov_b64 s[4:5], 0
	s_waitcnt vmcnt(2)
	v_add_co_u32_e32 v16, vcc, 1, v2
	v_addc_co_u32_e32 v17, vcc, 0, v3, vcc
	v_add_co_u32_e32 v0, vcc, s6, v16
	v_addc_co_u32_e32 v1, vcc, v17, v1, vcc
	v_cmp_eq_u64_e32 vcc, 0, v[0:1]
	v_cndmask_b32_e32 v1, v1, v17, vcc
	v_cndmask_b32_e32 v0, v0, v16, vcc
	v_and_b32_e32 v3, v1, v3
	v_and_b32_e32 v2, v0, v2
	v_mul_lo_u32 v3, v3, 24
	v_mul_hi_u32 v16, v2, 24
	v_mul_lo_u32 v17, v2, 24
	s_waitcnt vmcnt(1)
	v_mov_b32_e32 v2, v14
	v_add_u32_e32 v3, v16, v3
	s_waitcnt vmcnt(0)
	v_add_co_u32_e32 v11, vcc, v11, v17
	v_addc_co_u32_e32 v12, vcc, v12, v3, vcc
	global_store_dwordx2 v[11:12], v[14:15], off
	v_mov_b32_e32 v3, v15
	s_waitcnt vmcnt(0)
	global_atomic_cmpswap_x2 v[2:3], v13, v[0:3], s[44:45] offset:24 glc
	s_waitcnt vmcnt(0)
	v_cmp_ne_u64_e32 vcc, v[2:3], v[14:15]
	s_and_b64 exec, exec, vcc
	s_cbranch_execz .LBB10_27
.LBB10_26:                              ; =>This Inner Loop Header: Depth=1
	s_sleep 1
	global_store_dwordx2 v[11:12], v[2:3], off
	s_waitcnt vmcnt(0)
	global_atomic_cmpswap_x2 v[14:15], v13, v[0:3], s[44:45] offset:24 glc
	s_waitcnt vmcnt(0)
	v_cmp_eq_u64_e32 vcc, v[14:15], v[2:3]
	v_mov_b32_e32 v2, v14
	s_or_b64 s[4:5], vcc, s[4:5]
	v_mov_b32_e32 v3, v15
	s_andn2_b64 exec, exec, s[4:5]
	s_cbranch_execnz .LBB10_26
.LBB10_27:
	s_or_b64 exec, exec, s[10:11]
	s_getpc_b64 s[10:11]
	s_add_u32 s10, s10, .str.7@rel32@lo+4
	s_addc_u32 s11, s11, .str.7@rel32@hi+12
	s_cmp_lg_u64 s[10:11], 0
	s_cselect_b64 s[6:7], -1, 0
	s_and_b64 vcc, exec, s[6:7]
	s_cbranch_vccz .LBB10_112
; %bb.28:
	s_waitcnt vmcnt(0)
	v_and_b32_e32 v34, 2, v9
	v_mov_b32_e32 v31, 0
	v_and_b32_e32 v0, -3, v9
	v_mov_b32_e32 v1, v10
	s_mov_b64 s[16:17], 3
	v_mov_b32_e32 v13, 2
	v_mov_b32_e32 v14, 1
	s_branch .LBB10_30
.LBB10_29:                              ;   in Loop: Header=BB10_30 Depth=1
	s_or_b64 exec, exec, s[22:23]
	s_sub_u32 s16, s16, s18
	s_subb_u32 s17, s17, s19
	s_add_u32 s10, s10, s18
	s_addc_u32 s11, s11, s19
	s_cmp_lg_u64 s[16:17], 0
	s_cbranch_scc0 .LBB10_111
.LBB10_30:                              ; =>This Loop Header: Depth=1
                                        ;     Child Loop BB10_33 Depth 2
                                        ;     Child Loop BB10_40 Depth 2
	;; [unrolled: 1-line block ×11, first 2 shown]
	v_cmp_lt_u64_e64 s[4:5], s[16:17], 56
	v_cmp_gt_u64_e64 s[20:21], s[16:17], 7
	s_and_b64 s[4:5], s[4:5], exec
	s_cselect_b32 s19, s17, 0
	s_cselect_b32 s18, s16, 56
	s_and_b64 vcc, exec, s[20:21]
	s_cbranch_vccnz .LBB10_35
; %bb.31:                               ;   in Loop: Header=BB10_30 Depth=1
	s_waitcnt vmcnt(0)
	v_mov_b32_e32 v2, 0
	s_cmp_eq_u64 s[16:17], 0
	v_mov_b32_e32 v3, 0
	s_mov_b64 s[4:5], 0
	s_cbranch_scc1 .LBB10_34
; %bb.32:                               ;   in Loop: Header=BB10_30 Depth=1
	v_mov_b32_e32 v2, 0
	s_lshl_b64 s[20:21], s[18:19], 3
	s_mov_b64 s[22:23], 0
	v_mov_b32_e32 v3, 0
	s_mov_b64 s[24:25], s[10:11]
.LBB10_33:                              ;   Parent Loop BB10_30 Depth=1
                                        ; =>  This Inner Loop Header: Depth=2
	global_load_ubyte v11, v31, s[24:25]
	s_waitcnt vmcnt(0)
	v_and_b32_e32 v30, 0xffff, v11
	v_lshlrev_b64 v[11:12], s22, v[30:31]
	s_add_u32 s22, s22, 8
	s_addc_u32 s23, s23, 0
	s_add_u32 s24, s24, 1
	s_addc_u32 s25, s25, 0
	v_or_b32_e32 v2, v11, v2
	s_cmp_lg_u32 s20, s22
	v_or_b32_e32 v3, v12, v3
	s_cbranch_scc1 .LBB10_33
.LBB10_34:                              ;   in Loop: Header=BB10_30 Depth=1
	s_mov_b32 s15, 0
	s_andn2_b64 vcc, exec, s[4:5]
	s_mov_b64 s[4:5], s[10:11]
	s_cbranch_vccz .LBB10_36
	s_branch .LBB10_37
.LBB10_35:                              ;   in Loop: Header=BB10_30 Depth=1
                                        ; implicit-def: $vgpr2_vgpr3
                                        ; implicit-def: $sgpr15
	s_mov_b64 s[4:5], s[10:11]
.LBB10_36:                              ;   in Loop: Header=BB10_30 Depth=1
	global_load_dwordx2 v[2:3], v31, s[10:11]
	s_add_i32 s15, s18, -8
	s_add_u32 s4, s10, 8
	s_addc_u32 s5, s11, 0
.LBB10_37:                              ;   in Loop: Header=BB10_30 Depth=1
	s_cmp_gt_u32 s15, 7
	s_cbranch_scc1 .LBB10_41
; %bb.38:                               ;   in Loop: Header=BB10_30 Depth=1
	s_cmp_eq_u32 s15, 0
	s_cbranch_scc1 .LBB10_42
; %bb.39:                               ;   in Loop: Header=BB10_30 Depth=1
	v_mov_b32_e32 v15, 0
	s_mov_b64 s[20:21], 0
	v_mov_b32_e32 v16, 0
	s_mov_b64 s[22:23], 0
.LBB10_40:                              ;   Parent Loop BB10_30 Depth=1
                                        ; =>  This Inner Loop Header: Depth=2
	s_add_u32 s24, s4, s22
	s_addc_u32 s25, s5, s23
	global_load_ubyte v11, v31, s[24:25]
	s_add_u32 s22, s22, 1
	s_addc_u32 s23, s23, 0
	s_waitcnt vmcnt(0)
	v_and_b32_e32 v30, 0xffff, v11
	v_lshlrev_b64 v[11:12], s20, v[30:31]
	s_add_u32 s20, s20, 8
	s_addc_u32 s21, s21, 0
	v_or_b32_e32 v15, v11, v15
	s_cmp_lg_u32 s15, s22
	v_or_b32_e32 v16, v12, v16
	s_cbranch_scc1 .LBB10_40
	s_branch .LBB10_43
.LBB10_41:                              ;   in Loop: Header=BB10_30 Depth=1
                                        ; implicit-def: $vgpr15_vgpr16
                                        ; implicit-def: $sgpr24
	s_branch .LBB10_44
.LBB10_42:                              ;   in Loop: Header=BB10_30 Depth=1
	v_mov_b32_e32 v15, 0
	v_mov_b32_e32 v16, 0
.LBB10_43:                              ;   in Loop: Header=BB10_30 Depth=1
	s_mov_b32 s24, 0
	s_cbranch_execnz .LBB10_45
.LBB10_44:                              ;   in Loop: Header=BB10_30 Depth=1
	global_load_dwordx2 v[15:16], v31, s[4:5]
	s_add_i32 s24, s15, -8
	s_add_u32 s4, s4, 8
	s_addc_u32 s5, s5, 0
.LBB10_45:                              ;   in Loop: Header=BB10_30 Depth=1
	s_cmp_gt_u32 s24, 7
	s_cbranch_scc1 .LBB10_49
; %bb.46:                               ;   in Loop: Header=BB10_30 Depth=1
	s_cmp_eq_u32 s24, 0
	s_cbranch_scc1 .LBB10_50
; %bb.47:                               ;   in Loop: Header=BB10_30 Depth=1
	v_mov_b32_e32 v17, 0
	s_mov_b64 s[20:21], 0
	v_mov_b32_e32 v18, 0
	s_mov_b64 s[22:23], 0
.LBB10_48:                              ;   Parent Loop BB10_30 Depth=1
                                        ; =>  This Inner Loop Header: Depth=2
	s_add_u32 s26, s4, s22
	s_addc_u32 s27, s5, s23
	global_load_ubyte v11, v31, s[26:27]
	s_add_u32 s22, s22, 1
	s_addc_u32 s23, s23, 0
	s_waitcnt vmcnt(0)
	v_and_b32_e32 v30, 0xffff, v11
	v_lshlrev_b64 v[11:12], s20, v[30:31]
	s_add_u32 s20, s20, 8
	s_addc_u32 s21, s21, 0
	v_or_b32_e32 v17, v11, v17
	s_cmp_lg_u32 s24, s22
	v_or_b32_e32 v18, v12, v18
	s_cbranch_scc1 .LBB10_48
	s_branch .LBB10_51
.LBB10_49:                              ;   in Loop: Header=BB10_30 Depth=1
                                        ; implicit-def: $sgpr15
	s_branch .LBB10_52
.LBB10_50:                              ;   in Loop: Header=BB10_30 Depth=1
	v_mov_b32_e32 v17, 0
	v_mov_b32_e32 v18, 0
.LBB10_51:                              ;   in Loop: Header=BB10_30 Depth=1
	s_mov_b32 s15, 0
	s_cbranch_execnz .LBB10_53
.LBB10_52:                              ;   in Loop: Header=BB10_30 Depth=1
	global_load_dwordx2 v[17:18], v31, s[4:5]
	s_add_i32 s15, s24, -8
	s_add_u32 s4, s4, 8
	s_addc_u32 s5, s5, 0
.LBB10_53:                              ;   in Loop: Header=BB10_30 Depth=1
	s_cmp_gt_u32 s15, 7
	s_cbranch_scc1 .LBB10_57
; %bb.54:                               ;   in Loop: Header=BB10_30 Depth=1
	s_cmp_eq_u32 s15, 0
	s_cbranch_scc1 .LBB10_58
; %bb.55:                               ;   in Loop: Header=BB10_30 Depth=1
	v_mov_b32_e32 v19, 0
	s_mov_b64 s[20:21], 0
	v_mov_b32_e32 v20, 0
	s_mov_b64 s[22:23], 0
.LBB10_56:                              ;   Parent Loop BB10_30 Depth=1
                                        ; =>  This Inner Loop Header: Depth=2
	s_add_u32 s24, s4, s22
	s_addc_u32 s25, s5, s23
	global_load_ubyte v11, v31, s[24:25]
	s_add_u32 s22, s22, 1
	s_addc_u32 s23, s23, 0
	s_waitcnt vmcnt(0)
	v_and_b32_e32 v30, 0xffff, v11
	v_lshlrev_b64 v[11:12], s20, v[30:31]
	s_add_u32 s20, s20, 8
	s_addc_u32 s21, s21, 0
	v_or_b32_e32 v19, v11, v19
	s_cmp_lg_u32 s15, s22
	v_or_b32_e32 v20, v12, v20
	s_cbranch_scc1 .LBB10_56
	s_branch .LBB10_59
.LBB10_57:                              ;   in Loop: Header=BB10_30 Depth=1
                                        ; implicit-def: $vgpr19_vgpr20
                                        ; implicit-def: $sgpr24
	s_branch .LBB10_60
.LBB10_58:                              ;   in Loop: Header=BB10_30 Depth=1
	v_mov_b32_e32 v19, 0
	v_mov_b32_e32 v20, 0
.LBB10_59:                              ;   in Loop: Header=BB10_30 Depth=1
	s_mov_b32 s24, 0
	s_cbranch_execnz .LBB10_61
.LBB10_60:                              ;   in Loop: Header=BB10_30 Depth=1
	global_load_dwordx2 v[19:20], v31, s[4:5]
	s_add_i32 s24, s15, -8
	s_add_u32 s4, s4, 8
	s_addc_u32 s5, s5, 0
.LBB10_61:                              ;   in Loop: Header=BB10_30 Depth=1
	s_cmp_gt_u32 s24, 7
	s_cbranch_scc1 .LBB10_65
; %bb.62:                               ;   in Loop: Header=BB10_30 Depth=1
	s_cmp_eq_u32 s24, 0
	s_cbranch_scc1 .LBB10_66
; %bb.63:                               ;   in Loop: Header=BB10_30 Depth=1
	v_mov_b32_e32 v21, 0
	s_mov_b64 s[20:21], 0
	v_mov_b32_e32 v22, 0
	s_mov_b64 s[22:23], 0
.LBB10_64:                              ;   Parent Loop BB10_30 Depth=1
                                        ; =>  This Inner Loop Header: Depth=2
	s_add_u32 s26, s4, s22
	s_addc_u32 s27, s5, s23
	global_load_ubyte v11, v31, s[26:27]
	s_add_u32 s22, s22, 1
	s_addc_u32 s23, s23, 0
	s_waitcnt vmcnt(0)
	v_and_b32_e32 v30, 0xffff, v11
	v_lshlrev_b64 v[11:12], s20, v[30:31]
	s_add_u32 s20, s20, 8
	s_addc_u32 s21, s21, 0
	v_or_b32_e32 v21, v11, v21
	s_cmp_lg_u32 s24, s22
	v_or_b32_e32 v22, v12, v22
	s_cbranch_scc1 .LBB10_64
	s_branch .LBB10_67
.LBB10_65:                              ;   in Loop: Header=BB10_30 Depth=1
                                        ; implicit-def: $sgpr15
	s_branch .LBB10_68
.LBB10_66:                              ;   in Loop: Header=BB10_30 Depth=1
	v_mov_b32_e32 v21, 0
	v_mov_b32_e32 v22, 0
.LBB10_67:                              ;   in Loop: Header=BB10_30 Depth=1
	s_mov_b32 s15, 0
	s_cbranch_execnz .LBB10_69
.LBB10_68:                              ;   in Loop: Header=BB10_30 Depth=1
	global_load_dwordx2 v[21:22], v31, s[4:5]
	s_add_i32 s15, s24, -8
	s_add_u32 s4, s4, 8
	s_addc_u32 s5, s5, 0
.LBB10_69:                              ;   in Loop: Header=BB10_30 Depth=1
	s_cmp_gt_u32 s15, 7
	s_cbranch_scc1 .LBB10_73
; %bb.70:                               ;   in Loop: Header=BB10_30 Depth=1
	s_cmp_eq_u32 s15, 0
	s_cbranch_scc1 .LBB10_74
; %bb.71:                               ;   in Loop: Header=BB10_30 Depth=1
	v_mov_b32_e32 v23, 0
	s_mov_b64 s[20:21], 0
	v_mov_b32_e32 v24, 0
	s_mov_b64 s[22:23], 0
.LBB10_72:                              ;   Parent Loop BB10_30 Depth=1
                                        ; =>  This Inner Loop Header: Depth=2
	s_add_u32 s24, s4, s22
	s_addc_u32 s25, s5, s23
	global_load_ubyte v11, v31, s[24:25]
	s_add_u32 s22, s22, 1
	s_addc_u32 s23, s23, 0
	s_waitcnt vmcnt(0)
	v_and_b32_e32 v30, 0xffff, v11
	v_lshlrev_b64 v[11:12], s20, v[30:31]
	s_add_u32 s20, s20, 8
	s_addc_u32 s21, s21, 0
	v_or_b32_e32 v23, v11, v23
	s_cmp_lg_u32 s15, s22
	v_or_b32_e32 v24, v12, v24
	s_cbranch_scc1 .LBB10_72
	s_branch .LBB10_75
.LBB10_73:                              ;   in Loop: Header=BB10_30 Depth=1
                                        ; implicit-def: $vgpr23_vgpr24
                                        ; implicit-def: $sgpr24
	s_branch .LBB10_76
.LBB10_74:                              ;   in Loop: Header=BB10_30 Depth=1
	v_mov_b32_e32 v23, 0
	v_mov_b32_e32 v24, 0
.LBB10_75:                              ;   in Loop: Header=BB10_30 Depth=1
	s_mov_b32 s24, 0
	s_cbranch_execnz .LBB10_77
.LBB10_76:                              ;   in Loop: Header=BB10_30 Depth=1
	global_load_dwordx2 v[23:24], v31, s[4:5]
	s_add_i32 s24, s15, -8
	s_add_u32 s4, s4, 8
	s_addc_u32 s5, s5, 0
.LBB10_77:                              ;   in Loop: Header=BB10_30 Depth=1
	s_cmp_gt_u32 s24, 7
	s_cbranch_scc1 .LBB10_81
; %bb.78:                               ;   in Loop: Header=BB10_30 Depth=1
	s_cmp_eq_u32 s24, 0
	s_cbranch_scc1 .LBB10_82
; %bb.79:                               ;   in Loop: Header=BB10_30 Depth=1
	v_mov_b32_e32 v25, 0
	s_mov_b64 s[20:21], 0
	v_mov_b32_e32 v26, 0
	s_mov_b64 s[22:23], s[4:5]
.LBB10_80:                              ;   Parent Loop BB10_30 Depth=1
                                        ; =>  This Inner Loop Header: Depth=2
	global_load_ubyte v11, v31, s[22:23]
	s_add_i32 s24, s24, -1
	s_waitcnt vmcnt(0)
	v_and_b32_e32 v30, 0xffff, v11
	v_lshlrev_b64 v[11:12], s20, v[30:31]
	s_add_u32 s20, s20, 8
	s_addc_u32 s21, s21, 0
	s_add_u32 s22, s22, 1
	s_addc_u32 s23, s23, 0
	v_or_b32_e32 v25, v11, v25
	s_cmp_lg_u32 s24, 0
	v_or_b32_e32 v26, v12, v26
	s_cbranch_scc1 .LBB10_80
	s_branch .LBB10_83
.LBB10_81:                              ;   in Loop: Header=BB10_30 Depth=1
	s_branch .LBB10_84
.LBB10_82:                              ;   in Loop: Header=BB10_30 Depth=1
	v_mov_b32_e32 v25, 0
	v_mov_b32_e32 v26, 0
.LBB10_83:                              ;   in Loop: Header=BB10_30 Depth=1
	s_cbranch_execnz .LBB10_85
.LBB10_84:                              ;   in Loop: Header=BB10_30 Depth=1
	global_load_dwordx2 v[25:26], v31, s[4:5]
.LBB10_85:                              ;   in Loop: Header=BB10_30 Depth=1
	v_readfirstlane_b32 s4, v51
	v_mov_b32_e32 v11, 0
	v_mov_b32_e32 v12, 0
	v_cmp_eq_u32_e64 s[4:5], s4, v51
	s_and_saveexec_b64 s[20:21], s[4:5]
	s_cbranch_execz .LBB10_91
; %bb.86:                               ;   in Loop: Header=BB10_30 Depth=1
	global_load_dwordx2 v[29:30], v31, s[44:45] offset:24 glc
	s_waitcnt vmcnt(0)
	buffer_wbinvl1_vol
	global_load_dwordx2 v[11:12], v31, s[44:45] offset:40
	global_load_dwordx2 v[27:28], v31, s[44:45]
	s_waitcnt vmcnt(1)
	v_and_b32_e32 v11, v11, v29
	v_and_b32_e32 v12, v12, v30
	v_mul_lo_u32 v12, v12, 24
	v_mul_hi_u32 v32, v11, 24
	v_mul_lo_u32 v11, v11, 24
	v_add_u32_e32 v12, v32, v12
	s_waitcnt vmcnt(0)
	v_add_co_u32_e32 v11, vcc, v27, v11
	v_addc_co_u32_e32 v12, vcc, v28, v12, vcc
	global_load_dwordx2 v[27:28], v[11:12], off glc
	s_waitcnt vmcnt(0)
	global_atomic_cmpswap_x2 v[11:12], v31, v[27:30], s[44:45] offset:24 glc
	s_waitcnt vmcnt(0)
	buffer_wbinvl1_vol
	v_cmp_ne_u64_e32 vcc, v[11:12], v[29:30]
	s_and_saveexec_b64 s[22:23], vcc
	s_cbranch_execz .LBB10_90
; %bb.87:                               ;   in Loop: Header=BB10_30 Depth=1
	s_mov_b64 s[24:25], 0
.LBB10_88:                              ;   Parent Loop BB10_30 Depth=1
                                        ; =>  This Inner Loop Header: Depth=2
	s_sleep 1
	global_load_dwordx2 v[27:28], v31, s[44:45] offset:40
	global_load_dwordx2 v[32:33], v31, s[44:45]
	v_mov_b32_e32 v30, v12
	v_mov_b32_e32 v29, v11
	s_waitcnt vmcnt(1)
	v_and_b32_e32 v11, v27, v29
	s_waitcnt vmcnt(0)
	v_mad_u64_u32 v[11:12], s[26:27], v11, 24, v[32:33]
	v_and_b32_e32 v27, v28, v30
	v_mad_u64_u32 v[27:28], s[26:27], v27, 24, v[12:13]
	v_mov_b32_e32 v12, v27
	global_load_dwordx2 v[27:28], v[11:12], off glc
	s_waitcnt vmcnt(0)
	global_atomic_cmpswap_x2 v[11:12], v31, v[27:30], s[44:45] offset:24 glc
	s_waitcnt vmcnt(0)
	buffer_wbinvl1_vol
	v_cmp_eq_u64_e32 vcc, v[11:12], v[29:30]
	s_or_b64 s[24:25], vcc, s[24:25]
	s_andn2_b64 exec, exec, s[24:25]
	s_cbranch_execnz .LBB10_88
; %bb.89:                               ;   in Loop: Header=BB10_30 Depth=1
	s_or_b64 exec, exec, s[24:25]
.LBB10_90:                              ;   in Loop: Header=BB10_30 Depth=1
	s_or_b64 exec, exec, s[22:23]
.LBB10_91:                              ;   in Loop: Header=BB10_30 Depth=1
	s_or_b64 exec, exec, s[20:21]
	global_load_dwordx2 v[32:33], v31, s[44:45] offset:40
	global_load_dwordx4 v[27:30], v31, s[44:45]
	v_readfirstlane_b32 s20, v11
	v_readfirstlane_b32 s21, v12
	s_mov_b64 s[22:23], exec
	s_waitcnt vmcnt(1)
	v_readfirstlane_b32 s24, v32
	v_readfirstlane_b32 s25, v33
	s_and_b64 s[24:25], s[20:21], s[24:25]
	s_mul_i32 s15, s25, 24
	s_mul_hi_u32 s26, s24, 24
	s_mul_i32 s27, s24, 24
	s_add_i32 s15, s26, s15
	v_mov_b32_e32 v11, s15
	s_waitcnt vmcnt(0)
	v_add_co_u32_e32 v32, vcc, s27, v27
	v_addc_co_u32_e32 v33, vcc, v28, v11, vcc
	s_and_saveexec_b64 s[26:27], s[4:5]
	s_cbranch_execz .LBB10_93
; %bb.92:                               ;   in Loop: Header=BB10_30 Depth=1
	v_mov_b32_e32 v11, s22
	v_mov_b32_e32 v12, s23
	global_store_dwordx4 v[32:33], v[11:14], off offset:8
.LBB10_93:                              ;   in Loop: Header=BB10_30 Depth=1
	s_or_b64 exec, exec, s[26:27]
	s_lshl_b64 s[22:23], s[24:25], 12
	v_mov_b32_e32 v11, s23
	v_add_co_u32_e32 v29, vcc, s22, v29
	v_addc_co_u32_e32 v35, vcc, v30, v11, vcc
	v_cmp_gt_u64_e64 vcc, s[16:17], 56
	v_or_b32_e32 v12, v0, v34
	s_lshl_b32 s15, s18, 2
	v_cndmask_b32_e32 v0, v12, v0, vcc
	s_add_i32 s15, s15, 28
	v_or_b32_e32 v11, 0, v1
	s_and_b32 s15, s15, 0x1e0
	v_and_b32_e32 v0, 0xffffff1f, v0
	v_cndmask_b32_e32 v1, v11, v1, vcc
	v_or_b32_e32 v0, s15, v0
	v_readfirstlane_b32 s22, v29
	v_readfirstlane_b32 s23, v35
	s_nop 4
	global_store_dwordx4 v50, v[0:3], s[22:23]
	global_store_dwordx4 v50, v[15:18], s[22:23] offset:16
	global_store_dwordx4 v50, v[19:22], s[22:23] offset:32
	;; [unrolled: 1-line block ×3, first 2 shown]
	s_and_saveexec_b64 s[22:23], s[4:5]
	s_cbranch_execz .LBB10_101
; %bb.94:                               ;   in Loop: Header=BB10_30 Depth=1
	global_load_dwordx2 v[17:18], v31, s[44:45] offset:32 glc
	global_load_dwordx2 v[0:1], v31, s[44:45] offset:40
	v_mov_b32_e32 v15, s20
	v_mov_b32_e32 v16, s21
	s_waitcnt vmcnt(0)
	v_readfirstlane_b32 s24, v0
	v_readfirstlane_b32 s25, v1
	s_and_b64 s[24:25], s[24:25], s[20:21]
	s_mul_i32 s15, s25, 24
	s_mul_hi_u32 s25, s24, 24
	s_mul_i32 s24, s24, 24
	s_add_i32 s15, s25, s15
	v_mov_b32_e32 v0, s15
	v_add_co_u32_e32 v11, vcc, s24, v27
	v_addc_co_u32_e32 v12, vcc, v28, v0, vcc
	global_store_dwordx2 v[11:12], v[17:18], off
	s_waitcnt vmcnt(0)
	global_atomic_cmpswap_x2 v[2:3], v31, v[15:18], s[44:45] offset:32 glc
	s_waitcnt vmcnt(0)
	v_cmp_ne_u64_e32 vcc, v[2:3], v[17:18]
	s_and_saveexec_b64 s[24:25], vcc
	s_cbranch_execz .LBB10_97
; %bb.95:                               ;   in Loop: Header=BB10_30 Depth=1
	s_mov_b64 s[26:27], 0
.LBB10_96:                              ;   Parent Loop BB10_30 Depth=1
                                        ; =>  This Inner Loop Header: Depth=2
	s_sleep 1
	global_store_dwordx2 v[11:12], v[2:3], off
	v_mov_b32_e32 v0, s20
	v_mov_b32_e32 v1, s21
	s_waitcnt vmcnt(0)
	global_atomic_cmpswap_x2 v[0:1], v31, v[0:3], s[44:45] offset:32 glc
	s_waitcnt vmcnt(0)
	v_cmp_eq_u64_e32 vcc, v[0:1], v[2:3]
	v_mov_b32_e32 v3, v1
	s_or_b64 s[26:27], vcc, s[26:27]
	v_mov_b32_e32 v2, v0
	s_andn2_b64 exec, exec, s[26:27]
	s_cbranch_execnz .LBB10_96
.LBB10_97:                              ;   in Loop: Header=BB10_30 Depth=1
	s_or_b64 exec, exec, s[24:25]
	global_load_dwordx2 v[0:1], v31, s[44:45] offset:16
	s_mov_b64 s[26:27], exec
	v_mbcnt_lo_u32_b32 v2, s26, 0
	v_mbcnt_hi_u32_b32 v2, s27, v2
	v_cmp_eq_u32_e32 vcc, 0, v2
	s_and_saveexec_b64 s[24:25], vcc
	s_cbranch_execz .LBB10_99
; %bb.98:                               ;   in Loop: Header=BB10_30 Depth=1
	s_bcnt1_i32_b64 s15, s[26:27]
	v_mov_b32_e32 v30, s15
	s_waitcnt vmcnt(0)
	global_atomic_add_x2 v[0:1], v[30:31], off offset:8
.LBB10_99:                              ;   in Loop: Header=BB10_30 Depth=1
	s_or_b64 exec, exec, s[24:25]
	s_waitcnt vmcnt(0)
	global_load_dwordx2 v[2:3], v[0:1], off offset:16
	s_waitcnt vmcnt(0)
	v_cmp_eq_u64_e32 vcc, 0, v[2:3]
	s_cbranch_vccnz .LBB10_101
; %bb.100:                              ;   in Loop: Header=BB10_30 Depth=1
	global_load_dword v30, v[0:1], off offset:24
	s_waitcnt vmcnt(0)
	v_and_b32_e32 v0, 0xffffff, v30
	v_readfirstlane_b32 m0, v0
	global_store_dwordx2 v[2:3], v[30:31], off
	s_sendmsg sendmsg(MSG_INTERRUPT)
.LBB10_101:                             ;   in Loop: Header=BB10_30 Depth=1
	s_or_b64 exec, exec, s[22:23]
	v_add_co_u32_e32 v0, vcc, v29, v50
	v_addc_co_u32_e32 v1, vcc, 0, v35, vcc
	s_branch .LBB10_105
.LBB10_102:                             ;   in Loop: Header=BB10_105 Depth=2
	s_or_b64 exec, exec, s[22:23]
	v_readfirstlane_b32 s15, v2
	s_cmp_eq_u32 s15, 0
	s_cbranch_scc1 .LBB10_104
; %bb.103:                              ;   in Loop: Header=BB10_105 Depth=2
	s_sleep 1
	s_cbranch_execnz .LBB10_105
	s_branch .LBB10_107
.LBB10_104:                             ;   in Loop: Header=BB10_30 Depth=1
	s_branch .LBB10_107
.LBB10_105:                             ;   Parent Loop BB10_30 Depth=1
                                        ; =>  This Inner Loop Header: Depth=2
	v_mov_b32_e32 v2, 1
	s_and_saveexec_b64 s[22:23], s[4:5]
	s_cbranch_execz .LBB10_102
; %bb.106:                              ;   in Loop: Header=BB10_105 Depth=2
	global_load_dword v2, v[32:33], off offset:20 glc
	s_waitcnt vmcnt(0)
	buffer_wbinvl1_vol
	v_and_b32_e32 v2, 1, v2
	s_branch .LBB10_102
.LBB10_107:                             ;   in Loop: Header=BB10_30 Depth=1
	global_load_dwordx4 v[0:3], v[0:1], off
	s_and_saveexec_b64 s[22:23], s[4:5]
	s_cbranch_execz .LBB10_29
; %bb.108:                              ;   in Loop: Header=BB10_30 Depth=1
	global_load_dwordx2 v[2:3], v31, s[44:45] offset:40
	global_load_dwordx2 v[11:12], v31, s[44:45] offset:24 glc
	global_load_dwordx2 v[18:19], v31, s[44:45]
	v_mov_b32_e32 v16, s21
	s_waitcnt vmcnt(2)
	v_add_co_u32_e32 v17, vcc, 1, v2
	v_addc_co_u32_e32 v20, vcc, 0, v3, vcc
	v_add_co_u32_e32 v15, vcc, s20, v17
	v_addc_co_u32_e32 v16, vcc, v20, v16, vcc
	v_cmp_eq_u64_e32 vcc, 0, v[15:16]
	v_cndmask_b32_e32 v16, v16, v20, vcc
	v_cndmask_b32_e32 v15, v15, v17, vcc
	v_and_b32_e32 v3, v16, v3
	v_and_b32_e32 v2, v15, v2
	v_mul_lo_u32 v3, v3, 24
	v_mul_hi_u32 v20, v2, 24
	v_mul_lo_u32 v2, v2, 24
	s_waitcnt vmcnt(1)
	v_mov_b32_e32 v17, v11
	v_add_u32_e32 v3, v20, v3
	s_waitcnt vmcnt(0)
	v_add_co_u32_e32 v2, vcc, v18, v2
	v_addc_co_u32_e32 v3, vcc, v19, v3, vcc
	global_store_dwordx2 v[2:3], v[11:12], off
	v_mov_b32_e32 v18, v12
	s_waitcnt vmcnt(0)
	global_atomic_cmpswap_x2 v[17:18], v31, v[15:18], s[44:45] offset:24 glc
	s_waitcnt vmcnt(0)
	v_cmp_ne_u64_e32 vcc, v[17:18], v[11:12]
	s_and_b64 exec, exec, vcc
	s_cbranch_execz .LBB10_29
; %bb.109:                              ;   in Loop: Header=BB10_30 Depth=1
	s_mov_b64 s[4:5], 0
.LBB10_110:                             ;   Parent Loop BB10_30 Depth=1
                                        ; =>  This Inner Loop Header: Depth=2
	s_sleep 1
	global_store_dwordx2 v[2:3], v[17:18], off
	s_waitcnt vmcnt(0)
	global_atomic_cmpswap_x2 v[11:12], v31, v[15:18], s[44:45] offset:24 glc
	s_waitcnt vmcnt(0)
	v_cmp_eq_u64_e32 vcc, v[11:12], v[17:18]
	v_mov_b32_e32 v18, v12
	s_or_b64 s[4:5], vcc, s[4:5]
	v_mov_b32_e32 v17, v11
	s_andn2_b64 exec, exec, s[4:5]
	s_cbranch_execnz .LBB10_110
	s_branch .LBB10_29
.LBB10_111:
	s_branch .LBB10_139
.LBB10_112:
                                        ; implicit-def: $vgpr0_vgpr1
	s_cbranch_execz .LBB10_139
; %bb.113:
	v_readfirstlane_b32 s4, v51
	v_mov_b32_e32 v12, 0
	v_mov_b32_e32 v13, 0
	v_cmp_eq_u32_e64 s[4:5], s4, v51
	s_and_saveexec_b64 s[10:11], s[4:5]
	s_cbranch_execz .LBB10_119
; %bb.114:
	s_waitcnt vmcnt(0)
	v_mov_b32_e32 v0, 0
	global_load_dwordx2 v[14:15], v0, s[44:45] offset:24 glc
	s_waitcnt vmcnt(0)
	buffer_wbinvl1_vol
	global_load_dwordx2 v[1:2], v0, s[44:45] offset:40
	global_load_dwordx2 v[11:12], v0, s[44:45]
	s_waitcnt vmcnt(1)
	v_and_b32_e32 v1, v1, v14
	v_and_b32_e32 v2, v2, v15
	v_mul_lo_u32 v2, v2, 24
	v_mul_hi_u32 v3, v1, 24
	v_mul_lo_u32 v1, v1, 24
	v_add_u32_e32 v2, v3, v2
	s_waitcnt vmcnt(0)
	v_add_co_u32_e32 v1, vcc, v11, v1
	v_addc_co_u32_e32 v2, vcc, v12, v2, vcc
	global_load_dwordx2 v[12:13], v[1:2], off glc
	s_waitcnt vmcnt(0)
	global_atomic_cmpswap_x2 v[12:13], v0, v[12:15], s[44:45] offset:24 glc
	s_waitcnt vmcnt(0)
	buffer_wbinvl1_vol
	v_cmp_ne_u64_e32 vcc, v[12:13], v[14:15]
	s_and_saveexec_b64 s[16:17], vcc
	s_cbranch_execz .LBB10_118
; %bb.115:
	s_mov_b64 s[18:19], 0
.LBB10_116:                             ; =>This Inner Loop Header: Depth=1
	s_sleep 1
	global_load_dwordx2 v[1:2], v0, s[44:45] offset:40
	global_load_dwordx2 v[16:17], v0, s[44:45]
	v_mov_b32_e32 v15, v13
	v_mov_b32_e32 v14, v12
	s_waitcnt vmcnt(1)
	v_and_b32_e32 v1, v1, v14
	s_waitcnt vmcnt(0)
	v_mad_u64_u32 v[11:12], s[20:21], v1, 24, v[16:17]
	v_and_b32_e32 v2, v2, v15
	v_mov_b32_e32 v1, v12
	v_mad_u64_u32 v[1:2], s[20:21], v2, 24, v[1:2]
	v_mov_b32_e32 v12, v1
	global_load_dwordx2 v[12:13], v[11:12], off glc
	s_waitcnt vmcnt(0)
	global_atomic_cmpswap_x2 v[12:13], v0, v[12:15], s[44:45] offset:24 glc
	s_waitcnt vmcnt(0)
	buffer_wbinvl1_vol
	v_cmp_eq_u64_e32 vcc, v[12:13], v[14:15]
	s_or_b64 s[18:19], vcc, s[18:19]
	s_andn2_b64 exec, exec, s[18:19]
	s_cbranch_execnz .LBB10_116
; %bb.117:
	s_or_b64 exec, exec, s[18:19]
.LBB10_118:
	s_or_b64 exec, exec, s[16:17]
.LBB10_119:
	s_or_b64 exec, exec, s[10:11]
	v_mov_b32_e32 v11, 0
	global_load_dwordx2 v[14:15], v11, s[44:45] offset:40
	global_load_dwordx4 v[0:3], v11, s[44:45]
	v_readfirstlane_b32 s10, v12
	v_readfirstlane_b32 s11, v13
	s_mov_b64 s[16:17], exec
	s_waitcnt vmcnt(1)
	v_readfirstlane_b32 s18, v14
	v_readfirstlane_b32 s19, v15
	s_and_b64 s[18:19], s[10:11], s[18:19]
	s_mul_i32 s15, s19, 24
	s_mul_hi_u32 s20, s18, 24
	s_mul_i32 s21, s18, 24
	s_add_i32 s15, s20, s15
	v_mov_b32_e32 v12, s15
	s_waitcnt vmcnt(0)
	v_add_co_u32_e32 v13, vcc, s21, v0
	v_addc_co_u32_e32 v14, vcc, v1, v12, vcc
	s_and_saveexec_b64 s[20:21], s[4:5]
	s_cbranch_execz .LBB10_121
; %bb.120:
	v_mov_b32_e32 v15, s16
	v_mov_b32_e32 v16, s17
	;; [unrolled: 1-line block ×4, first 2 shown]
	global_store_dwordx4 v[13:14], v[15:18], off offset:8
.LBB10_121:
	s_or_b64 exec, exec, s[20:21]
	s_lshl_b64 s[16:17], s[18:19], 12
	v_mov_b32_e32 v12, s17
	v_add_co_u32_e32 v2, vcc, s16, v2
	v_addc_co_u32_e32 v3, vcc, v3, v12, vcc
	s_movk_i32 s15, 0xff1f
	v_and_or_b32 v9, v9, s15, 32
	s_mov_b32 s16, 0
	v_mov_b32_e32 v12, v11
	v_readfirstlane_b32 s20, v2
	v_readfirstlane_b32 s21, v3
	v_add_co_u32_e32 v15, vcc, v2, v50
	s_mov_b32 s17, s16
	s_mov_b32 s18, s16
	;; [unrolled: 1-line block ×3, first 2 shown]
	s_nop 0
	global_store_dwordx4 v50, v[9:12], s[20:21]
	v_addc_co_u32_e32 v16, vcc, 0, v3, vcc
	v_mov_b32_e32 v9, s16
	v_mov_b32_e32 v10, s17
	;; [unrolled: 1-line block ×4, first 2 shown]
	global_store_dwordx4 v50, v[9:12], s[20:21] offset:16
	global_store_dwordx4 v50, v[9:12], s[20:21] offset:32
	;; [unrolled: 1-line block ×3, first 2 shown]
	s_and_saveexec_b64 s[16:17], s[4:5]
	s_cbranch_execz .LBB10_129
; %bb.122:
	v_mov_b32_e32 v11, 0
	global_load_dwordx2 v[19:20], v11, s[44:45] offset:32 glc
	global_load_dwordx2 v[2:3], v11, s[44:45] offset:40
	v_mov_b32_e32 v17, s10
	v_mov_b32_e32 v18, s11
	s_waitcnt vmcnt(0)
	v_readfirstlane_b32 s18, v2
	v_readfirstlane_b32 s19, v3
	s_and_b64 s[18:19], s[18:19], s[10:11]
	s_mul_i32 s15, s19, 24
	s_mul_hi_u32 s19, s18, 24
	s_mul_i32 s18, s18, 24
	s_add_i32 s15, s19, s15
	v_mov_b32_e32 v2, s15
	v_add_co_u32_e32 v9, vcc, s18, v0
	v_addc_co_u32_e32 v10, vcc, v1, v2, vcc
	global_store_dwordx2 v[9:10], v[19:20], off
	s_waitcnt vmcnt(0)
	global_atomic_cmpswap_x2 v[2:3], v11, v[17:20], s[44:45] offset:32 glc
	s_waitcnt vmcnt(0)
	v_cmp_ne_u64_e32 vcc, v[2:3], v[19:20]
	s_and_saveexec_b64 s[18:19], vcc
	s_cbranch_execz .LBB10_125
; %bb.123:
	s_mov_b64 s[20:21], 0
.LBB10_124:                             ; =>This Inner Loop Header: Depth=1
	s_sleep 1
	global_store_dwordx2 v[9:10], v[2:3], off
	v_mov_b32_e32 v0, s10
	v_mov_b32_e32 v1, s11
	s_waitcnt vmcnt(0)
	global_atomic_cmpswap_x2 v[0:1], v11, v[0:3], s[44:45] offset:32 glc
	s_waitcnt vmcnt(0)
	v_cmp_eq_u64_e32 vcc, v[0:1], v[2:3]
	v_mov_b32_e32 v3, v1
	s_or_b64 s[20:21], vcc, s[20:21]
	v_mov_b32_e32 v2, v0
	s_andn2_b64 exec, exec, s[20:21]
	s_cbranch_execnz .LBB10_124
.LBB10_125:
	s_or_b64 exec, exec, s[18:19]
	v_mov_b32_e32 v3, 0
	global_load_dwordx2 v[0:1], v3, s[44:45] offset:16
	s_mov_b64 s[18:19], exec
	v_mbcnt_lo_u32_b32 v2, s18, 0
	v_mbcnt_hi_u32_b32 v2, s19, v2
	v_cmp_eq_u32_e32 vcc, 0, v2
	s_and_saveexec_b64 s[20:21], vcc
	s_cbranch_execz .LBB10_127
; %bb.126:
	s_bcnt1_i32_b64 s15, s[18:19]
	v_mov_b32_e32 v2, s15
	s_waitcnt vmcnt(0)
	global_atomic_add_x2 v[0:1], v[2:3], off offset:8
.LBB10_127:
	s_or_b64 exec, exec, s[20:21]
	s_waitcnt vmcnt(0)
	global_load_dwordx2 v[2:3], v[0:1], off offset:16
	s_waitcnt vmcnt(0)
	v_cmp_eq_u64_e32 vcc, 0, v[2:3]
	s_cbranch_vccnz .LBB10_129
; %bb.128:
	global_load_dword v0, v[0:1], off offset:24
	v_mov_b32_e32 v1, 0
	s_waitcnt vmcnt(0)
	global_store_dwordx2 v[2:3], v[0:1], off
	v_and_b32_e32 v0, 0xffffff, v0
	v_readfirstlane_b32 m0, v0
	s_sendmsg sendmsg(MSG_INTERRUPT)
.LBB10_129:
	s_or_b64 exec, exec, s[16:17]
	s_branch .LBB10_133
.LBB10_130:                             ;   in Loop: Header=BB10_133 Depth=1
	s_or_b64 exec, exec, s[16:17]
	v_readfirstlane_b32 s15, v0
	s_cmp_eq_u32 s15, 0
	s_cbranch_scc1 .LBB10_132
; %bb.131:                              ;   in Loop: Header=BB10_133 Depth=1
	s_sleep 1
	s_cbranch_execnz .LBB10_133
	s_branch .LBB10_135
.LBB10_132:
	s_branch .LBB10_135
.LBB10_133:                             ; =>This Inner Loop Header: Depth=1
	v_mov_b32_e32 v0, 1
	s_and_saveexec_b64 s[16:17], s[4:5]
	s_cbranch_execz .LBB10_130
; %bb.134:                              ;   in Loop: Header=BB10_133 Depth=1
	global_load_dword v0, v[13:14], off offset:20 glc
	s_waitcnt vmcnt(0)
	buffer_wbinvl1_vol
	v_and_b32_e32 v0, 1, v0
	s_branch .LBB10_130
.LBB10_135:
	global_load_dwordx2 v[0:1], v[15:16], off
	s_and_saveexec_b64 s[16:17], s[4:5]
	s_cbranch_execz .LBB10_138
; %bb.136:
	v_mov_b32_e32 v13, 0
	global_load_dwordx2 v[2:3], v13, s[44:45] offset:40
	global_load_dwordx2 v[14:15], v13, s[44:45] offset:24 glc
	global_load_dwordx2 v[16:17], v13, s[44:45]
	v_mov_b32_e32 v10, s11
	s_mov_b64 s[4:5], 0
	s_waitcnt vmcnt(2)
	v_add_co_u32_e32 v11, vcc, 1, v2
	v_addc_co_u32_e32 v12, vcc, 0, v3, vcc
	v_add_co_u32_e32 v9, vcc, s10, v11
	v_addc_co_u32_e32 v10, vcc, v12, v10, vcc
	v_cmp_eq_u64_e32 vcc, 0, v[9:10]
	v_cndmask_b32_e32 v10, v10, v12, vcc
	v_cndmask_b32_e32 v9, v9, v11, vcc
	v_and_b32_e32 v3, v10, v3
	v_and_b32_e32 v2, v9, v2
	v_mul_lo_u32 v3, v3, 24
	v_mul_hi_u32 v12, v2, 24
	v_mul_lo_u32 v2, v2, 24
	s_waitcnt vmcnt(1)
	v_mov_b32_e32 v11, v14
	v_add_u32_e32 v3, v12, v3
	s_waitcnt vmcnt(0)
	v_add_co_u32_e32 v2, vcc, v16, v2
	v_addc_co_u32_e32 v3, vcc, v17, v3, vcc
	global_store_dwordx2 v[2:3], v[14:15], off
	v_mov_b32_e32 v12, v15
	s_waitcnt vmcnt(0)
	global_atomic_cmpswap_x2 v[11:12], v13, v[9:12], s[44:45] offset:24 glc
	s_waitcnt vmcnt(0)
	v_cmp_ne_u64_e32 vcc, v[11:12], v[14:15]
	s_and_b64 exec, exec, vcc
	s_cbranch_execz .LBB10_138
.LBB10_137:                             ; =>This Inner Loop Header: Depth=1
	s_sleep 1
	global_store_dwordx2 v[2:3], v[11:12], off
	s_waitcnt vmcnt(0)
	global_atomic_cmpswap_x2 v[14:15], v13, v[9:12], s[44:45] offset:24 glc
	s_waitcnt vmcnt(0)
	v_cmp_eq_u64_e32 vcc, v[14:15], v[11:12]
	v_mov_b32_e32 v11, v14
	s_or_b64 s[4:5], vcc, s[4:5]
	v_mov_b32_e32 v12, v15
	s_andn2_b64 exec, exec, s[4:5]
	s_cbranch_execnz .LBB10_137
.LBB10_138:
	s_or_b64 exec, exec, s[16:17]
.LBB10_139:
	v_cmp_ne_u64_e32 vcc, 0, v[6:7]
	v_mov_b32_e32 v29, 0
	v_mov_b32_e32 v30, 0
	s_mov_b64 s[16:17], 0
	s_and_saveexec_b64 s[10:11], vcc
	s_cbranch_execnz .LBB10_142
; %bb.140:
	s_or_b64 exec, exec, s[10:11]
	s_and_saveexec_b64 s[4:5], vcc
	s_xor_b64 s[10:11], exec, s[4:5]
	s_cbranch_execnz .LBB10_145
.LBB10_141:
	s_andn2_saveexec_b64 s[10:11], s[10:11]
	s_cbranch_execnz .LBB10_230
	s_branch .LBB10_256
.LBB10_142:
	s_waitcnt vmcnt(0)
	v_add_co_u32_e64 v2, s[4:5], -1, v6
	v_addc_co_u32_e64 v3, s[4:5], -1, v7, s[4:5]
.LBB10_143:                             ; =>This Inner Loop Header: Depth=1
	flat_load_ubyte v11, v[2:3] offset:1
	v_add_co_u32_e64 v9, s[4:5], 1, v2
	v_addc_co_u32_e64 v10, s[4:5], 0, v3, s[4:5]
	v_mov_b32_e32 v2, v9
	v_mov_b32_e32 v3, v10
	s_waitcnt vmcnt(0) lgkmcnt(0)
	v_cmp_eq_u16_e64 s[4:5], 0, v11
	s_or_b64 s[16:17], s[4:5], s[16:17]
	s_andn2_b64 exec, exec, s[16:17]
	s_cbranch_execnz .LBB10_143
; %bb.144:
	s_or_b64 exec, exec, s[16:17]
	v_sub_co_u32_e64 v2, s[4:5], v9, v6
	v_subb_co_u32_e64 v3, s[4:5], v10, v7, s[4:5]
	v_add_co_u32_e64 v29, s[4:5], 1, v2
	v_addc_co_u32_e64 v30, s[4:5], 0, v3, s[4:5]
	s_or_b64 exec, exec, s[10:11]
	s_and_saveexec_b64 s[4:5], vcc
	s_xor_b64 s[10:11], exec, s[4:5]
	s_cbranch_execz .LBB10_141
.LBB10_145:
	s_waitcnt vmcnt(0)
	v_and_b32_e32 v0, -3, v0
	s_mov_b64 s[16:17], 0
	s_mov_b32 s15, 0
	v_mov_b32_e32 v32, 0
	s_movk_i32 s26, 0xff1f
	v_mov_b32_e32 v11, 2
	v_mov_b32_e32 v12, 1
	s_branch .LBB10_147
.LBB10_146:                             ;   in Loop: Header=BB10_147 Depth=1
	s_or_b64 exec, exec, s[20:21]
	v_sub_co_u32_e32 v29, vcc, v29, v33
	v_subb_co_u32_e32 v30, vcc, v30, v34, vcc
	v_cmp_eq_u64_e32 vcc, 0, v[29:30]
	s_or_b64 s[16:17], vcc, s[16:17]
	v_add_co_u32_e32 v6, vcc, v6, v33
	v_addc_co_u32_e32 v7, vcc, v7, v34, vcc
	s_andn2_b64 exec, exec, s[16:17]
	s_cbranch_execz .LBB10_229
.LBB10_147:                             ; =>This Loop Header: Depth=1
                                        ;     Child Loop BB10_150 Depth 2
                                        ;     Child Loop BB10_158 Depth 2
	;; [unrolled: 1-line block ×11, first 2 shown]
	v_cmp_gt_u64_e32 vcc, 56, v[29:30]
	v_cmp_gt_u64_e64 s[4:5], 8, v[29:30]
	v_cndmask_b32_e32 v34, 0, v30, vcc
	v_cndmask_b32_e32 v33, 56, v29, vcc
                                        ; implicit-def: $sgpr18
	s_and_saveexec_b64 s[20:21], s[4:5]
	s_xor_b64 s[4:5], exec, s[20:21]
	s_cbranch_execz .LBB10_153
; %bb.148:                              ;   in Loop: Header=BB10_147 Depth=1
	v_cmp_ne_u64_e32 vcc, 0, v[29:30]
	s_waitcnt vmcnt(0)
	v_mov_b32_e32 v2, 0
	v_mov_b32_e32 v3, 0
	s_mov_b64 s[20:21], 0
	s_and_saveexec_b64 s[18:19], vcc
	s_cbranch_execz .LBB10_152
; %bb.149:                              ;   in Loop: Header=BB10_147 Depth=1
	v_lshlrev_b64 v[9:10], 3, v[33:34]
	v_mov_b32_e32 v2, 0
	v_mov_b32_e32 v14, v7
	;; [unrolled: 1-line block ×4, first 2 shown]
	s_mov_b64 s[22:23], 0
.LBB10_150:                             ;   Parent Loop BB10_147 Depth=1
                                        ; =>  This Inner Loop Header: Depth=2
	flat_load_ubyte v10, v[13:14]
	v_mov_b32_e32 v16, s15
	v_add_co_u32_e32 v13, vcc, 1, v13
	v_addc_co_u32_e32 v14, vcc, 0, v14, vcc
	s_waitcnt vmcnt(0) lgkmcnt(0)
	v_and_b32_e32 v15, 0xffff, v10
	v_lshlrev_b64 v[15:16], s22, v[15:16]
	s_add_u32 s22, s22, 8
	s_addc_u32 s23, s23, 0
	v_cmp_eq_u32_e32 vcc, s22, v9
	v_or_b32_e32 v3, v16, v3
	s_or_b64 s[20:21], vcc, s[20:21]
	v_or_b32_e32 v2, v15, v2
	s_andn2_b64 exec, exec, s[20:21]
	s_cbranch_execnz .LBB10_150
; %bb.151:                              ;   in Loop: Header=BB10_147 Depth=1
	s_or_b64 exec, exec, s[20:21]
.LBB10_152:                             ;   in Loop: Header=BB10_147 Depth=1
	s_or_b64 exec, exec, s[18:19]
	s_mov_b32 s18, 0
.LBB10_153:                             ;   in Loop: Header=BB10_147 Depth=1
	s_or_saveexec_b64 s[4:5], s[4:5]
	v_mov_b32_e32 v10, v7
	v_mov_b32_e32 v15, s18
	v_mov_b32_e32 v9, v6
	s_xor_b64 exec, exec, s[4:5]
	s_cbranch_execz .LBB10_155
; %bb.154:                              ;   in Loop: Header=BB10_147 Depth=1
	s_waitcnt vmcnt(0)
	flat_load_dwordx2 v[2:3], v[6:7]
	v_add_u32_e32 v15, -8, v33
	s_waitcnt vmcnt(0) lgkmcnt(0)
	v_and_b32_e32 v9, 0xff, v3
	v_and_b32_e32 v10, 0xff00, v3
	;; [unrolled: 1-line block ×4, first 2 shown]
	v_or_b32_e32 v9, v9, v10
	v_or3_b32 v3, v9, v13, v3
	v_add_co_u32_e32 v9, vcc, 8, v6
	v_or3_b32 v2, v2, 0, 0
	v_addc_co_u32_e32 v10, vcc, 0, v7, vcc
.LBB10_155:                             ;   in Loop: Header=BB10_147 Depth=1
	s_or_b64 exec, exec, s[4:5]
	v_cmp_gt_u32_e32 vcc, 8, v15
                                        ; implicit-def: $vgpr13_vgpr14
                                        ; implicit-def: $sgpr18
	s_and_saveexec_b64 s[4:5], vcc
	s_xor_b64 s[4:5], exec, s[4:5]
	s_cbranch_execz .LBB10_161
; %bb.156:                              ;   in Loop: Header=BB10_147 Depth=1
	v_mov_b32_e32 v13, 0
	v_mov_b32_e32 v14, 0
	v_cmp_ne_u32_e32 vcc, 0, v15
	s_and_saveexec_b64 s[18:19], vcc
	s_cbranch_execz .LBB10_160
; %bb.157:                              ;   in Loop: Header=BB10_147 Depth=1
	v_mov_b32_e32 v13, 0
	s_mov_b64 s[20:21], 0
	v_mov_b32_e32 v14, 0
	s_mov_b64 s[22:23], 0
	s_mov_b64 s[24:25], 0
.LBB10_158:                             ;   Parent Loop BB10_147 Depth=1
                                        ; =>  This Inner Loop Header: Depth=2
	v_mov_b32_e32 v17, s25
	v_add_co_u32_e32 v16, vcc, s24, v9
	v_addc_co_u32_e32 v17, vcc, v10, v17, vcc
	flat_load_ubyte v16, v[16:17]
	s_add_u32 s24, s24, 1
	v_mov_b32_e32 v17, s15
	s_addc_u32 s25, s25, 0
	v_cmp_eq_u32_e32 vcc, s24, v15
	s_waitcnt vmcnt(0) lgkmcnt(0)
	v_and_b32_e32 v16, 0xffff, v16
	v_lshlrev_b64 v[16:17], s22, v[16:17]
	s_add_u32 s22, s22, 8
	s_addc_u32 s23, s23, 0
	v_or_b32_e32 v14, v17, v14
	s_or_b64 s[20:21], vcc, s[20:21]
	v_or_b32_e32 v13, v16, v13
	s_andn2_b64 exec, exec, s[20:21]
	s_cbranch_execnz .LBB10_158
; %bb.159:                              ;   in Loop: Header=BB10_147 Depth=1
	s_or_b64 exec, exec, s[20:21]
.LBB10_160:                             ;   in Loop: Header=BB10_147 Depth=1
	s_or_b64 exec, exec, s[18:19]
	s_mov_b32 s18, 0
                                        ; implicit-def: $vgpr15
.LBB10_161:                             ;   in Loop: Header=BB10_147 Depth=1
	s_or_saveexec_b64 s[4:5], s[4:5]
	v_mov_b32_e32 v17, s18
	s_xor_b64 exec, exec, s[4:5]
	s_cbranch_execz .LBB10_163
; %bb.162:                              ;   in Loop: Header=BB10_147 Depth=1
	flat_load_dwordx2 v[13:14], v[9:10]
	v_add_u32_e32 v17, -8, v15
	v_add_co_u32_e32 v9, vcc, 8, v9
	v_addc_co_u32_e32 v10, vcc, 0, v10, vcc
	s_waitcnt vmcnt(0) lgkmcnt(0)
	v_and_b32_e32 v15, 0xff, v14
	v_and_b32_e32 v16, 0xff00, v14
	;; [unrolled: 1-line block ×4, first 2 shown]
	v_or_b32_e32 v15, v15, v16
	v_or3_b32 v13, v13, 0, 0
	v_or3_b32 v14, v15, v18, v14
.LBB10_163:                             ;   in Loop: Header=BB10_147 Depth=1
	s_or_b64 exec, exec, s[4:5]
	v_cmp_gt_u32_e32 vcc, 8, v17
                                        ; implicit-def: $sgpr18
	s_and_saveexec_b64 s[4:5], vcc
	s_xor_b64 s[4:5], exec, s[4:5]
	s_cbranch_execz .LBB10_169
; %bb.164:                              ;   in Loop: Header=BB10_147 Depth=1
	v_mov_b32_e32 v15, 0
	v_mov_b32_e32 v16, 0
	v_cmp_ne_u32_e32 vcc, 0, v17
	s_and_saveexec_b64 s[18:19], vcc
	s_cbranch_execz .LBB10_168
; %bb.165:                              ;   in Loop: Header=BB10_147 Depth=1
	v_mov_b32_e32 v15, 0
	s_mov_b64 s[20:21], 0
	v_mov_b32_e32 v16, 0
	s_mov_b64 s[22:23], 0
	s_mov_b64 s[24:25], 0
.LBB10_166:                             ;   Parent Loop BB10_147 Depth=1
                                        ; =>  This Inner Loop Header: Depth=2
	v_mov_b32_e32 v19, s25
	v_add_co_u32_e32 v18, vcc, s24, v9
	v_addc_co_u32_e32 v19, vcc, v10, v19, vcc
	flat_load_ubyte v18, v[18:19]
	s_add_u32 s24, s24, 1
	v_mov_b32_e32 v19, s15
	s_addc_u32 s25, s25, 0
	v_cmp_eq_u32_e32 vcc, s24, v17
	s_waitcnt vmcnt(0) lgkmcnt(0)
	v_and_b32_e32 v18, 0xffff, v18
	v_lshlrev_b64 v[18:19], s22, v[18:19]
	s_add_u32 s22, s22, 8
	s_addc_u32 s23, s23, 0
	v_or_b32_e32 v16, v19, v16
	s_or_b64 s[20:21], vcc, s[20:21]
	v_or_b32_e32 v15, v18, v15
	s_andn2_b64 exec, exec, s[20:21]
	s_cbranch_execnz .LBB10_166
; %bb.167:                              ;   in Loop: Header=BB10_147 Depth=1
	s_or_b64 exec, exec, s[20:21]
.LBB10_168:                             ;   in Loop: Header=BB10_147 Depth=1
	s_or_b64 exec, exec, s[18:19]
	s_mov_b32 s18, 0
                                        ; implicit-def: $vgpr17
.LBB10_169:                             ;   in Loop: Header=BB10_147 Depth=1
	s_or_saveexec_b64 s[4:5], s[4:5]
	v_mov_b32_e32 v19, s18
	s_xor_b64 exec, exec, s[4:5]
	s_cbranch_execz .LBB10_171
; %bb.170:                              ;   in Loop: Header=BB10_147 Depth=1
	flat_load_dwordx2 v[15:16], v[9:10]
	v_add_u32_e32 v19, -8, v17
	v_add_co_u32_e32 v9, vcc, 8, v9
	v_addc_co_u32_e32 v10, vcc, 0, v10, vcc
	s_waitcnt vmcnt(0) lgkmcnt(0)
	v_and_b32_e32 v17, 0xff, v16
	v_and_b32_e32 v18, 0xff00, v16
	;; [unrolled: 1-line block ×4, first 2 shown]
	v_or_b32_e32 v17, v17, v18
	v_or3_b32 v15, v15, 0, 0
	v_or3_b32 v16, v17, v20, v16
.LBB10_171:                             ;   in Loop: Header=BB10_147 Depth=1
	s_or_b64 exec, exec, s[4:5]
	v_cmp_gt_u32_e32 vcc, 8, v19
                                        ; implicit-def: $vgpr17_vgpr18
                                        ; implicit-def: $sgpr18
	s_and_saveexec_b64 s[4:5], vcc
	s_xor_b64 s[4:5], exec, s[4:5]
	s_cbranch_execz .LBB10_177
; %bb.172:                              ;   in Loop: Header=BB10_147 Depth=1
	v_mov_b32_e32 v17, 0
	v_mov_b32_e32 v18, 0
	v_cmp_ne_u32_e32 vcc, 0, v19
	s_and_saveexec_b64 s[18:19], vcc
	s_cbranch_execz .LBB10_176
; %bb.173:                              ;   in Loop: Header=BB10_147 Depth=1
	v_mov_b32_e32 v17, 0
	s_mov_b64 s[20:21], 0
	v_mov_b32_e32 v18, 0
	s_mov_b64 s[22:23], 0
	s_mov_b64 s[24:25], 0
.LBB10_174:                             ;   Parent Loop BB10_147 Depth=1
                                        ; =>  This Inner Loop Header: Depth=2
	v_mov_b32_e32 v21, s25
	v_add_co_u32_e32 v20, vcc, s24, v9
	v_addc_co_u32_e32 v21, vcc, v10, v21, vcc
	flat_load_ubyte v20, v[20:21]
	s_add_u32 s24, s24, 1
	v_mov_b32_e32 v21, s15
	s_addc_u32 s25, s25, 0
	v_cmp_eq_u32_e32 vcc, s24, v19
	s_waitcnt vmcnt(0) lgkmcnt(0)
	v_and_b32_e32 v20, 0xffff, v20
	v_lshlrev_b64 v[20:21], s22, v[20:21]
	s_add_u32 s22, s22, 8
	s_addc_u32 s23, s23, 0
	v_or_b32_e32 v18, v21, v18
	s_or_b64 s[20:21], vcc, s[20:21]
	v_or_b32_e32 v17, v20, v17
	s_andn2_b64 exec, exec, s[20:21]
	s_cbranch_execnz .LBB10_174
; %bb.175:                              ;   in Loop: Header=BB10_147 Depth=1
	s_or_b64 exec, exec, s[20:21]
.LBB10_176:                             ;   in Loop: Header=BB10_147 Depth=1
	s_or_b64 exec, exec, s[18:19]
	s_mov_b32 s18, 0
                                        ; implicit-def: $vgpr19
.LBB10_177:                             ;   in Loop: Header=BB10_147 Depth=1
	s_or_saveexec_b64 s[4:5], s[4:5]
	v_mov_b32_e32 v21, s18
	s_xor_b64 exec, exec, s[4:5]
	s_cbranch_execz .LBB10_179
; %bb.178:                              ;   in Loop: Header=BB10_147 Depth=1
	flat_load_dwordx2 v[17:18], v[9:10]
	v_add_u32_e32 v21, -8, v19
	v_add_co_u32_e32 v9, vcc, 8, v9
	v_addc_co_u32_e32 v10, vcc, 0, v10, vcc
	s_waitcnt vmcnt(0) lgkmcnt(0)
	v_and_b32_e32 v19, 0xff, v18
	v_and_b32_e32 v20, 0xff00, v18
	;; [unrolled: 1-line block ×4, first 2 shown]
	v_or_b32_e32 v19, v19, v20
	v_or3_b32 v17, v17, 0, 0
	v_or3_b32 v18, v19, v22, v18
.LBB10_179:                             ;   in Loop: Header=BB10_147 Depth=1
	s_or_b64 exec, exec, s[4:5]
	v_cmp_gt_u32_e32 vcc, 8, v21
                                        ; implicit-def: $sgpr18
	s_and_saveexec_b64 s[4:5], vcc
	s_xor_b64 s[4:5], exec, s[4:5]
	s_cbranch_execz .LBB10_185
; %bb.180:                              ;   in Loop: Header=BB10_147 Depth=1
	v_mov_b32_e32 v19, 0
	v_mov_b32_e32 v20, 0
	v_cmp_ne_u32_e32 vcc, 0, v21
	s_and_saveexec_b64 s[18:19], vcc
	s_cbranch_execz .LBB10_184
; %bb.181:                              ;   in Loop: Header=BB10_147 Depth=1
	v_mov_b32_e32 v19, 0
	s_mov_b64 s[20:21], 0
	v_mov_b32_e32 v20, 0
	s_mov_b64 s[22:23], 0
	s_mov_b64 s[24:25], 0
.LBB10_182:                             ;   Parent Loop BB10_147 Depth=1
                                        ; =>  This Inner Loop Header: Depth=2
	v_mov_b32_e32 v23, s25
	v_add_co_u32_e32 v22, vcc, s24, v9
	v_addc_co_u32_e32 v23, vcc, v10, v23, vcc
	flat_load_ubyte v22, v[22:23]
	s_add_u32 s24, s24, 1
	v_mov_b32_e32 v23, s15
	s_addc_u32 s25, s25, 0
	v_cmp_eq_u32_e32 vcc, s24, v21
	s_waitcnt vmcnt(0) lgkmcnt(0)
	v_and_b32_e32 v22, 0xffff, v22
	v_lshlrev_b64 v[22:23], s22, v[22:23]
	s_add_u32 s22, s22, 8
	s_addc_u32 s23, s23, 0
	v_or_b32_e32 v20, v23, v20
	s_or_b64 s[20:21], vcc, s[20:21]
	v_or_b32_e32 v19, v22, v19
	s_andn2_b64 exec, exec, s[20:21]
	s_cbranch_execnz .LBB10_182
; %bb.183:                              ;   in Loop: Header=BB10_147 Depth=1
	s_or_b64 exec, exec, s[20:21]
.LBB10_184:                             ;   in Loop: Header=BB10_147 Depth=1
	s_or_b64 exec, exec, s[18:19]
	s_mov_b32 s18, 0
                                        ; implicit-def: $vgpr21
.LBB10_185:                             ;   in Loop: Header=BB10_147 Depth=1
	s_or_saveexec_b64 s[4:5], s[4:5]
	v_mov_b32_e32 v23, s18
	s_xor_b64 exec, exec, s[4:5]
	s_cbranch_execz .LBB10_187
; %bb.186:                              ;   in Loop: Header=BB10_147 Depth=1
	flat_load_dwordx2 v[19:20], v[9:10]
	v_add_u32_e32 v23, -8, v21
	v_add_co_u32_e32 v9, vcc, 8, v9
	v_addc_co_u32_e32 v10, vcc, 0, v10, vcc
	s_waitcnt vmcnt(0) lgkmcnt(0)
	v_and_b32_e32 v21, 0xff, v20
	v_and_b32_e32 v22, 0xff00, v20
	;; [unrolled: 1-line block ×4, first 2 shown]
	v_or_b32_e32 v21, v21, v22
	v_or3_b32 v19, v19, 0, 0
	v_or3_b32 v20, v21, v24, v20
.LBB10_187:                             ;   in Loop: Header=BB10_147 Depth=1
	s_or_b64 exec, exec, s[4:5]
	v_cmp_gt_u32_e32 vcc, 8, v23
                                        ; implicit-def: $vgpr21_vgpr22
                                        ; implicit-def: $sgpr18
	s_and_saveexec_b64 s[4:5], vcc
	s_xor_b64 s[4:5], exec, s[4:5]
	s_cbranch_execz .LBB10_193
; %bb.188:                              ;   in Loop: Header=BB10_147 Depth=1
	v_mov_b32_e32 v21, 0
	v_mov_b32_e32 v22, 0
	v_cmp_ne_u32_e32 vcc, 0, v23
	s_and_saveexec_b64 s[18:19], vcc
	s_cbranch_execz .LBB10_192
; %bb.189:                              ;   in Loop: Header=BB10_147 Depth=1
	v_mov_b32_e32 v21, 0
	s_mov_b64 s[20:21], 0
	v_mov_b32_e32 v22, 0
	s_mov_b64 s[22:23], 0
	s_mov_b64 s[24:25], 0
.LBB10_190:                             ;   Parent Loop BB10_147 Depth=1
                                        ; =>  This Inner Loop Header: Depth=2
	v_mov_b32_e32 v25, s25
	v_add_co_u32_e32 v24, vcc, s24, v9
	v_addc_co_u32_e32 v25, vcc, v10, v25, vcc
	flat_load_ubyte v24, v[24:25]
	s_add_u32 s24, s24, 1
	v_mov_b32_e32 v25, s15
	s_addc_u32 s25, s25, 0
	v_cmp_eq_u32_e32 vcc, s24, v23
	s_waitcnt vmcnt(0) lgkmcnt(0)
	v_and_b32_e32 v24, 0xffff, v24
	v_lshlrev_b64 v[24:25], s22, v[24:25]
	s_add_u32 s22, s22, 8
	s_addc_u32 s23, s23, 0
	v_or_b32_e32 v22, v25, v22
	s_or_b64 s[20:21], vcc, s[20:21]
	v_or_b32_e32 v21, v24, v21
	s_andn2_b64 exec, exec, s[20:21]
	s_cbranch_execnz .LBB10_190
; %bb.191:                              ;   in Loop: Header=BB10_147 Depth=1
	s_or_b64 exec, exec, s[20:21]
.LBB10_192:                             ;   in Loop: Header=BB10_147 Depth=1
	s_or_b64 exec, exec, s[18:19]
	s_mov_b32 s18, 0
                                        ; implicit-def: $vgpr23
.LBB10_193:                             ;   in Loop: Header=BB10_147 Depth=1
	s_or_saveexec_b64 s[4:5], s[4:5]
	v_mov_b32_e32 v25, s18
	s_xor_b64 exec, exec, s[4:5]
	s_cbranch_execz .LBB10_195
; %bb.194:                              ;   in Loop: Header=BB10_147 Depth=1
	flat_load_dwordx2 v[21:22], v[9:10]
	v_add_u32_e32 v25, -8, v23
	v_add_co_u32_e32 v9, vcc, 8, v9
	v_addc_co_u32_e32 v10, vcc, 0, v10, vcc
	s_waitcnt vmcnt(0) lgkmcnt(0)
	v_and_b32_e32 v23, 0xff, v22
	v_and_b32_e32 v24, 0xff00, v22
	;; [unrolled: 1-line block ×4, first 2 shown]
	v_or_b32_e32 v23, v23, v24
	v_or3_b32 v21, v21, 0, 0
	v_or3_b32 v22, v23, v26, v22
.LBB10_195:                             ;   in Loop: Header=BB10_147 Depth=1
	s_or_b64 exec, exec, s[4:5]
	v_cmp_gt_u32_e32 vcc, 8, v25
	s_and_saveexec_b64 s[4:5], vcc
	s_xor_b64 s[4:5], exec, s[4:5]
	s_cbranch_execz .LBB10_201
; %bb.196:                              ;   in Loop: Header=BB10_147 Depth=1
	v_mov_b32_e32 v23, 0
	v_mov_b32_e32 v24, 0
	v_cmp_ne_u32_e32 vcc, 0, v25
	s_and_saveexec_b64 s[18:19], vcc
	s_cbranch_execz .LBB10_200
; %bb.197:                              ;   in Loop: Header=BB10_147 Depth=1
	v_mov_b32_e32 v23, 0
	s_mov_b64 s[20:21], 0
	v_mov_b32_e32 v24, 0
	s_mov_b64 s[22:23], 0
.LBB10_198:                             ;   Parent Loop BB10_147 Depth=1
                                        ; =>  This Inner Loop Header: Depth=2
	flat_load_ubyte v26, v[9:10]
	v_mov_b32_e32 v27, s15
	v_add_co_u32_e32 v9, vcc, 1, v9
	v_add_u32_e32 v25, -1, v25
	v_addc_co_u32_e32 v10, vcc, 0, v10, vcc
	v_cmp_eq_u32_e32 vcc, 0, v25
	s_waitcnt vmcnt(0) lgkmcnt(0)
	v_and_b32_e32 v26, 0xffff, v26
	v_lshlrev_b64 v[26:27], s22, v[26:27]
	s_add_u32 s22, s22, 8
	s_addc_u32 s23, s23, 0
	v_or_b32_e32 v24, v27, v24
	s_or_b64 s[20:21], vcc, s[20:21]
	v_or_b32_e32 v23, v26, v23
	s_andn2_b64 exec, exec, s[20:21]
	s_cbranch_execnz .LBB10_198
; %bb.199:                              ;   in Loop: Header=BB10_147 Depth=1
	s_or_b64 exec, exec, s[20:21]
.LBB10_200:                             ;   in Loop: Header=BB10_147 Depth=1
	s_or_b64 exec, exec, s[18:19]
                                        ; implicit-def: $vgpr9_vgpr10
.LBB10_201:                             ;   in Loop: Header=BB10_147 Depth=1
	s_andn2_saveexec_b64 s[4:5], s[4:5]
	s_cbranch_execz .LBB10_203
; %bb.202:                              ;   in Loop: Header=BB10_147 Depth=1
	flat_load_dwordx2 v[9:10], v[9:10]
	s_waitcnt vmcnt(0) lgkmcnt(0)
	v_and_b32_e32 v23, 0xff, v10
	v_and_b32_e32 v24, 0xff00, v10
	;; [unrolled: 1-line block ×4, first 2 shown]
	v_or_b32_e32 v23, v23, v24
	v_or3_b32 v24, v23, v25, v10
	v_or3_b32 v23, v9, 0, 0
.LBB10_203:                             ;   in Loop: Header=BB10_147 Depth=1
	s_or_b64 exec, exec, s[4:5]
	v_readfirstlane_b32 s4, v51
	v_mov_b32_e32 v9, 0
	v_mov_b32_e32 v10, 0
	v_cmp_eq_u32_e64 s[4:5], s4, v51
	s_and_saveexec_b64 s[18:19], s[4:5]
	s_cbranch_execz .LBB10_209
; %bb.204:                              ;   in Loop: Header=BB10_147 Depth=1
	global_load_dwordx2 v[27:28], v32, s[44:45] offset:24 glc
	s_waitcnt vmcnt(0)
	buffer_wbinvl1_vol
	global_load_dwordx2 v[9:10], v32, s[44:45] offset:40
	global_load_dwordx2 v[25:26], v32, s[44:45]
	s_waitcnt vmcnt(1)
	v_and_b32_e32 v9, v9, v27
	v_and_b32_e32 v10, v10, v28
	v_mul_lo_u32 v10, v10, 24
	v_mul_hi_u32 v31, v9, 24
	v_mul_lo_u32 v9, v9, 24
	v_add_u32_e32 v10, v31, v10
	s_waitcnt vmcnt(0)
	v_add_co_u32_e32 v9, vcc, v25, v9
	v_addc_co_u32_e32 v10, vcc, v26, v10, vcc
	global_load_dwordx2 v[25:26], v[9:10], off glc
	s_waitcnt vmcnt(0)
	global_atomic_cmpswap_x2 v[9:10], v32, v[25:28], s[44:45] offset:24 glc
	s_waitcnt vmcnt(0)
	buffer_wbinvl1_vol
	v_cmp_ne_u64_e32 vcc, v[9:10], v[27:28]
	s_and_saveexec_b64 s[20:21], vcc
	s_cbranch_execz .LBB10_208
; %bb.205:                              ;   in Loop: Header=BB10_147 Depth=1
	s_mov_b64 s[22:23], 0
.LBB10_206:                             ;   Parent Loop BB10_147 Depth=1
                                        ; =>  This Inner Loop Header: Depth=2
	s_sleep 1
	global_load_dwordx2 v[25:26], v32, s[44:45] offset:40
	global_load_dwordx2 v[38:39], v32, s[44:45]
	v_mov_b32_e32 v28, v10
	v_mov_b32_e32 v27, v9
	s_waitcnt vmcnt(1)
	v_and_b32_e32 v9, v25, v27
	s_waitcnt vmcnt(0)
	v_mad_u64_u32 v[9:10], s[24:25], v9, 24, v[38:39]
	v_and_b32_e32 v25, v26, v28
	v_mad_u64_u32 v[25:26], s[24:25], v25, 24, v[10:11]
	v_mov_b32_e32 v10, v25
	global_load_dwordx2 v[25:26], v[9:10], off glc
	s_waitcnt vmcnt(0)
	global_atomic_cmpswap_x2 v[9:10], v32, v[25:28], s[44:45] offset:24 glc
	s_waitcnt vmcnt(0)
	buffer_wbinvl1_vol
	v_cmp_eq_u64_e32 vcc, v[9:10], v[27:28]
	s_or_b64 s[22:23], vcc, s[22:23]
	s_andn2_b64 exec, exec, s[22:23]
	s_cbranch_execnz .LBB10_206
; %bb.207:                              ;   in Loop: Header=BB10_147 Depth=1
	s_or_b64 exec, exec, s[22:23]
.LBB10_208:                             ;   in Loop: Header=BB10_147 Depth=1
	s_or_b64 exec, exec, s[20:21]
.LBB10_209:                             ;   in Loop: Header=BB10_147 Depth=1
	s_or_b64 exec, exec, s[18:19]
	global_load_dwordx2 v[38:39], v32, s[44:45] offset:40
	global_load_dwordx4 v[25:28], v32, s[44:45]
	v_readfirstlane_b32 s18, v9
	v_readfirstlane_b32 s19, v10
	s_mov_b64 s[20:21], exec
	s_waitcnt vmcnt(1)
	v_readfirstlane_b32 s22, v38
	v_readfirstlane_b32 s23, v39
	s_and_b64 s[22:23], s[18:19], s[22:23]
	s_mul_i32 s24, s23, 24
	s_mul_hi_u32 s25, s22, 24
	s_mul_i32 s27, s22, 24
	s_add_i32 s24, s25, s24
	v_mov_b32_e32 v9, s24
	s_waitcnt vmcnt(0)
	v_add_co_u32_e32 v38, vcc, s27, v25
	v_addc_co_u32_e32 v39, vcc, v26, v9, vcc
	s_and_saveexec_b64 s[24:25], s[4:5]
	s_cbranch_execz .LBB10_211
; %bb.210:                              ;   in Loop: Header=BB10_147 Depth=1
	v_mov_b32_e32 v9, s20
	v_mov_b32_e32 v10, s21
	global_store_dwordx4 v[38:39], v[9:12], off offset:8
.LBB10_211:                             ;   in Loop: Header=BB10_147 Depth=1
	s_or_b64 exec, exec, s[24:25]
	s_lshl_b64 s[20:21], s[22:23], 12
	v_mov_b32_e32 v9, s21
	v_add_co_u32_e32 v27, vcc, s20, v27
	v_addc_co_u32_e32 v28, vcc, v28, v9, vcc
	v_cmp_lt_u64_e32 vcc, 56, v[29:30]
	v_or_b32_e32 v9, 2, v0
	v_cndmask_b32_e32 v0, v9, v0, vcc
	v_lshl_add_u32 v9, v33, 2, 28
	v_and_b32_e32 v9, 0x1e0, v9
	v_and_or_b32 v0, v0, s26, v9
	v_readfirstlane_b32 s20, v27
	v_readfirstlane_b32 s21, v28
	s_nop 4
	global_store_dwordx4 v50, v[0:3], s[20:21]
	global_store_dwordx4 v50, v[13:16], s[20:21] offset:16
	global_store_dwordx4 v50, v[17:20], s[20:21] offset:32
	global_store_dwordx4 v50, v[21:24], s[20:21] offset:48
	s_and_saveexec_b64 s[20:21], s[4:5]
	s_cbranch_execz .LBB10_219
; %bb.212:                              ;   in Loop: Header=BB10_147 Depth=1
	global_load_dwordx2 v[15:16], v32, s[44:45] offset:32 glc
	global_load_dwordx2 v[0:1], v32, s[44:45] offset:40
	v_mov_b32_e32 v13, s18
	v_mov_b32_e32 v14, s19
	s_waitcnt vmcnt(0)
	v_readfirstlane_b32 s22, v0
	v_readfirstlane_b32 s23, v1
	s_and_b64 s[22:23], s[22:23], s[18:19]
	s_mul_i32 s23, s23, 24
	s_mul_hi_u32 s24, s22, 24
	s_mul_i32 s22, s22, 24
	s_add_i32 s23, s24, s23
	v_mov_b32_e32 v0, s23
	v_add_co_u32_e32 v9, vcc, s22, v25
	v_addc_co_u32_e32 v10, vcc, v26, v0, vcc
	global_store_dwordx2 v[9:10], v[15:16], off
	s_waitcnt vmcnt(0)
	global_atomic_cmpswap_x2 v[2:3], v32, v[13:16], s[44:45] offset:32 glc
	s_waitcnt vmcnt(0)
	v_cmp_ne_u64_e32 vcc, v[2:3], v[15:16]
	s_and_saveexec_b64 s[22:23], vcc
	s_cbranch_execz .LBB10_215
; %bb.213:                              ;   in Loop: Header=BB10_147 Depth=1
	s_mov_b64 s[24:25], 0
.LBB10_214:                             ;   Parent Loop BB10_147 Depth=1
                                        ; =>  This Inner Loop Header: Depth=2
	s_sleep 1
	global_store_dwordx2 v[9:10], v[2:3], off
	v_mov_b32_e32 v0, s18
	v_mov_b32_e32 v1, s19
	s_waitcnt vmcnt(0)
	global_atomic_cmpswap_x2 v[0:1], v32, v[0:3], s[44:45] offset:32 glc
	s_waitcnt vmcnt(0)
	v_cmp_eq_u64_e32 vcc, v[0:1], v[2:3]
	v_mov_b32_e32 v3, v1
	s_or_b64 s[24:25], vcc, s[24:25]
	v_mov_b32_e32 v2, v0
	s_andn2_b64 exec, exec, s[24:25]
	s_cbranch_execnz .LBB10_214
.LBB10_215:                             ;   in Loop: Header=BB10_147 Depth=1
	s_or_b64 exec, exec, s[22:23]
	global_load_dwordx2 v[0:1], v32, s[44:45] offset:16
	s_mov_b64 s[24:25], exec
	v_mbcnt_lo_u32_b32 v2, s24, 0
	v_mbcnt_hi_u32_b32 v2, s25, v2
	v_cmp_eq_u32_e32 vcc, 0, v2
	s_and_saveexec_b64 s[22:23], vcc
	s_cbranch_execz .LBB10_217
; %bb.216:                              ;   in Loop: Header=BB10_147 Depth=1
	s_bcnt1_i32_b64 s24, s[24:25]
	v_mov_b32_e32 v31, s24
	s_waitcnt vmcnt(0)
	global_atomic_add_x2 v[0:1], v[31:32], off offset:8
.LBB10_217:                             ;   in Loop: Header=BB10_147 Depth=1
	s_or_b64 exec, exec, s[22:23]
	s_waitcnt vmcnt(0)
	global_load_dwordx2 v[2:3], v[0:1], off offset:16
	s_waitcnt vmcnt(0)
	v_cmp_eq_u64_e32 vcc, 0, v[2:3]
	s_cbranch_vccnz .LBB10_219
; %bb.218:                              ;   in Loop: Header=BB10_147 Depth=1
	global_load_dword v31, v[0:1], off offset:24
	s_waitcnt vmcnt(0)
	v_and_b32_e32 v0, 0xffffff, v31
	v_readfirstlane_b32 m0, v0
	global_store_dwordx2 v[2:3], v[31:32], off
	s_sendmsg sendmsg(MSG_INTERRUPT)
.LBB10_219:                             ;   in Loop: Header=BB10_147 Depth=1
	s_or_b64 exec, exec, s[20:21]
	v_add_co_u32_e32 v0, vcc, v27, v50
	v_addc_co_u32_e32 v1, vcc, 0, v28, vcc
	s_branch .LBB10_223
.LBB10_220:                             ;   in Loop: Header=BB10_223 Depth=2
	s_or_b64 exec, exec, s[20:21]
	v_readfirstlane_b32 s20, v2
	s_cmp_eq_u32 s20, 0
	s_cbranch_scc1 .LBB10_222
; %bb.221:                              ;   in Loop: Header=BB10_223 Depth=2
	s_sleep 1
	s_cbranch_execnz .LBB10_223
	s_branch .LBB10_225
.LBB10_222:                             ;   in Loop: Header=BB10_147 Depth=1
	s_branch .LBB10_225
.LBB10_223:                             ;   Parent Loop BB10_147 Depth=1
                                        ; =>  This Inner Loop Header: Depth=2
	v_mov_b32_e32 v2, 1
	s_and_saveexec_b64 s[20:21], s[4:5]
	s_cbranch_execz .LBB10_220
; %bb.224:                              ;   in Loop: Header=BB10_223 Depth=2
	global_load_dword v2, v[38:39], off offset:20 glc
	s_waitcnt vmcnt(0)
	buffer_wbinvl1_vol
	v_and_b32_e32 v2, 1, v2
	s_branch .LBB10_220
.LBB10_225:                             ;   in Loop: Header=BB10_147 Depth=1
	global_load_dwordx4 v[0:3], v[0:1], off
	s_and_saveexec_b64 s[20:21], s[4:5]
	s_cbranch_execz .LBB10_146
; %bb.226:                              ;   in Loop: Header=BB10_147 Depth=1
	global_load_dwordx2 v[2:3], v32, s[44:45] offset:40
	global_load_dwordx2 v[9:10], v32, s[44:45] offset:24 glc
	global_load_dwordx2 v[16:17], v32, s[44:45]
	v_mov_b32_e32 v14, s19
	s_waitcnt vmcnt(2)
	v_add_co_u32_e32 v15, vcc, 1, v2
	v_addc_co_u32_e32 v18, vcc, 0, v3, vcc
	v_add_co_u32_e32 v13, vcc, s18, v15
	v_addc_co_u32_e32 v14, vcc, v18, v14, vcc
	v_cmp_eq_u64_e32 vcc, 0, v[13:14]
	v_cndmask_b32_e32 v14, v14, v18, vcc
	v_cndmask_b32_e32 v13, v13, v15, vcc
	v_and_b32_e32 v3, v14, v3
	v_and_b32_e32 v2, v13, v2
	v_mul_lo_u32 v3, v3, 24
	v_mul_hi_u32 v18, v2, 24
	v_mul_lo_u32 v2, v2, 24
	s_waitcnt vmcnt(1)
	v_mov_b32_e32 v15, v9
	v_add_u32_e32 v3, v18, v3
	s_waitcnt vmcnt(0)
	v_add_co_u32_e32 v2, vcc, v16, v2
	v_addc_co_u32_e32 v3, vcc, v17, v3, vcc
	global_store_dwordx2 v[2:3], v[9:10], off
	v_mov_b32_e32 v16, v10
	s_waitcnt vmcnt(0)
	global_atomic_cmpswap_x2 v[15:16], v32, v[13:16], s[44:45] offset:24 glc
	s_waitcnt vmcnt(0)
	v_cmp_ne_u64_e32 vcc, v[15:16], v[9:10]
	s_and_b64 exec, exec, vcc
	s_cbranch_execz .LBB10_146
; %bb.227:                              ;   in Loop: Header=BB10_147 Depth=1
	s_mov_b64 s[4:5], 0
.LBB10_228:                             ;   Parent Loop BB10_147 Depth=1
                                        ; =>  This Inner Loop Header: Depth=2
	s_sleep 1
	global_store_dwordx2 v[2:3], v[15:16], off
	s_waitcnt vmcnt(0)
	global_atomic_cmpswap_x2 v[9:10], v32, v[13:16], s[44:45] offset:24 glc
	s_waitcnt vmcnt(0)
	v_cmp_eq_u64_e32 vcc, v[9:10], v[15:16]
	v_mov_b32_e32 v16, v10
	s_or_b64 s[4:5], vcc, s[4:5]
	v_mov_b32_e32 v15, v9
	s_andn2_b64 exec, exec, s[4:5]
	s_cbranch_execnz .LBB10_228
	s_branch .LBB10_146
.LBB10_229:
	s_or_b64 exec, exec, s[16:17]
                                        ; implicit-def: $vgpr0_vgpr1
	s_andn2_saveexec_b64 s[10:11], s[10:11]
	s_cbranch_execz .LBB10_256
.LBB10_230:
	v_readfirstlane_b32 s4, v51
	v_mov_b32_e32 v6, 0
	v_mov_b32_e32 v7, 0
	v_cmp_eq_u32_e64 s[4:5], s4, v51
	s_and_saveexec_b64 s[16:17], s[4:5]
	s_cbranch_execz .LBB10_236
; %bb.231:
	s_waitcnt vmcnt(0)
	v_mov_b32_e32 v2, 0
	global_load_dwordx2 v[11:12], v2, s[44:45] offset:24 glc
	s_waitcnt vmcnt(0)
	buffer_wbinvl1_vol
	global_load_dwordx2 v[6:7], v2, s[44:45] offset:40
	global_load_dwordx2 v[9:10], v2, s[44:45]
	s_waitcnt vmcnt(1)
	v_and_b32_e32 v3, v6, v11
	v_and_b32_e32 v6, v7, v12
	v_mul_lo_u32 v6, v6, 24
	v_mul_hi_u32 v7, v3, 24
	v_mul_lo_u32 v3, v3, 24
	v_add_u32_e32 v7, v7, v6
	s_waitcnt vmcnt(0)
	v_add_co_u32_e32 v6, vcc, v9, v3
	v_addc_co_u32_e32 v7, vcc, v10, v7, vcc
	global_load_dwordx2 v[9:10], v[6:7], off glc
	s_waitcnt vmcnt(0)
	global_atomic_cmpswap_x2 v[6:7], v2, v[9:12], s[44:45] offset:24 glc
	s_waitcnt vmcnt(0)
	buffer_wbinvl1_vol
	v_cmp_ne_u64_e32 vcc, v[6:7], v[11:12]
	s_and_saveexec_b64 s[18:19], vcc
	s_cbranch_execz .LBB10_235
; %bb.232:
	s_mov_b64 s[20:21], 0
.LBB10_233:                             ; =>This Inner Loop Header: Depth=1
	s_sleep 1
	global_load_dwordx2 v[9:10], v2, s[44:45] offset:40
	global_load_dwordx2 v[13:14], v2, s[44:45]
	v_mov_b32_e32 v12, v7
	v_mov_b32_e32 v11, v6
	s_waitcnt vmcnt(1)
	v_and_b32_e32 v3, v9, v11
	s_waitcnt vmcnt(0)
	v_mad_u64_u32 v[6:7], s[22:23], v3, 24, v[13:14]
	v_and_b32_e32 v9, v10, v12
	v_mov_b32_e32 v3, v7
	v_mad_u64_u32 v[9:10], s[22:23], v9, 24, v[3:4]
	v_mov_b32_e32 v7, v9
	global_load_dwordx2 v[9:10], v[6:7], off glc
	s_waitcnt vmcnt(0)
	global_atomic_cmpswap_x2 v[6:7], v2, v[9:12], s[44:45] offset:24 glc
	s_waitcnt vmcnt(0)
	buffer_wbinvl1_vol
	v_cmp_eq_u64_e32 vcc, v[6:7], v[11:12]
	s_or_b64 s[20:21], vcc, s[20:21]
	s_andn2_b64 exec, exec, s[20:21]
	s_cbranch_execnz .LBB10_233
; %bb.234:
	s_or_b64 exec, exec, s[20:21]
.LBB10_235:
	s_or_b64 exec, exec, s[18:19]
.LBB10_236:
	s_or_b64 exec, exec, s[16:17]
	s_waitcnt vmcnt(0)
	v_mov_b32_e32 v2, 0
	global_load_dwordx2 v[13:14], v2, s[44:45] offset:40
	global_load_dwordx4 v[9:12], v2, s[44:45]
	v_readfirstlane_b32 s16, v6
	v_readfirstlane_b32 s17, v7
	s_mov_b64 s[18:19], exec
	s_waitcnt vmcnt(1)
	v_readfirstlane_b32 s20, v13
	v_readfirstlane_b32 s21, v14
	s_and_b64 s[20:21], s[16:17], s[20:21]
	s_mul_i32 s15, s21, 24
	s_mul_hi_u32 s22, s20, 24
	s_mul_i32 s23, s20, 24
	s_add_i32 s15, s22, s15
	v_mov_b32_e32 v3, s15
	s_waitcnt vmcnt(0)
	v_add_co_u32_e32 v6, vcc, s23, v9
	v_addc_co_u32_e32 v7, vcc, v10, v3, vcc
	s_and_saveexec_b64 s[22:23], s[4:5]
	s_cbranch_execz .LBB10_238
; %bb.237:
	v_mov_b32_e32 v13, s18
	v_mov_b32_e32 v14, s19
	;; [unrolled: 1-line block ×4, first 2 shown]
	global_store_dwordx4 v[6:7], v[13:16], off offset:8
.LBB10_238:
	s_or_b64 exec, exec, s[22:23]
	s_lshl_b64 s[18:19], s[20:21], 12
	v_mov_b32_e32 v3, s19
	v_add_co_u32_e32 v11, vcc, s18, v11
	v_addc_co_u32_e32 v12, vcc, v12, v3, vcc
	s_movk_i32 s15, 0xff1d
	v_and_or_b32 v0, v0, s15, 34
	s_mov_b32 s20, 0
	v_mov_b32_e32 v3, v2
	v_readfirstlane_b32 s18, v11
	v_readfirstlane_b32 s19, v12
	s_mov_b32 s21, s20
	s_mov_b32 s22, s20
	;; [unrolled: 1-line block ×3, first 2 shown]
	s_nop 1
	global_store_dwordx4 v50, v[0:3], s[18:19]
	s_nop 0
	v_mov_b32_e32 v0, s20
	v_mov_b32_e32 v1, s21
	;; [unrolled: 1-line block ×4, first 2 shown]
	global_store_dwordx4 v50, v[0:3], s[18:19] offset:16
	global_store_dwordx4 v50, v[0:3], s[18:19] offset:32
	;; [unrolled: 1-line block ×3, first 2 shown]
	s_and_saveexec_b64 s[18:19], s[4:5]
	s_cbranch_execz .LBB10_246
; %bb.239:
	v_mov_b32_e32 v11, 0
	global_load_dwordx2 v[14:15], v11, s[44:45] offset:32 glc
	global_load_dwordx2 v[0:1], v11, s[44:45] offset:40
	v_mov_b32_e32 v12, s16
	v_mov_b32_e32 v13, s17
	s_waitcnt vmcnt(0)
	v_readfirstlane_b32 s20, v0
	v_readfirstlane_b32 s21, v1
	s_and_b64 s[20:21], s[20:21], s[16:17]
	s_mul_i32 s15, s21, 24
	s_mul_hi_u32 s21, s20, 24
	s_mul_i32 s20, s20, 24
	s_add_i32 s15, s21, s15
	v_mov_b32_e32 v0, s15
	v_add_co_u32_e32 v9, vcc, s20, v9
	v_addc_co_u32_e32 v10, vcc, v10, v0, vcc
	global_store_dwordx2 v[9:10], v[14:15], off
	s_waitcnt vmcnt(0)
	global_atomic_cmpswap_x2 v[2:3], v11, v[12:15], s[44:45] offset:32 glc
	s_waitcnt vmcnt(0)
	v_cmp_ne_u64_e32 vcc, v[2:3], v[14:15]
	s_and_saveexec_b64 s[20:21], vcc
	s_cbranch_execz .LBB10_242
; %bb.240:
	s_mov_b64 s[22:23], 0
.LBB10_241:                             ; =>This Inner Loop Header: Depth=1
	s_sleep 1
	global_store_dwordx2 v[9:10], v[2:3], off
	v_mov_b32_e32 v0, s16
	v_mov_b32_e32 v1, s17
	s_waitcnt vmcnt(0)
	global_atomic_cmpswap_x2 v[0:1], v11, v[0:3], s[44:45] offset:32 glc
	s_waitcnt vmcnt(0)
	v_cmp_eq_u64_e32 vcc, v[0:1], v[2:3]
	v_mov_b32_e32 v3, v1
	s_or_b64 s[22:23], vcc, s[22:23]
	v_mov_b32_e32 v2, v0
	s_andn2_b64 exec, exec, s[22:23]
	s_cbranch_execnz .LBB10_241
.LBB10_242:
	s_or_b64 exec, exec, s[20:21]
	v_mov_b32_e32 v3, 0
	global_load_dwordx2 v[0:1], v3, s[44:45] offset:16
	s_mov_b64 s[20:21], exec
	v_mbcnt_lo_u32_b32 v2, s20, 0
	v_mbcnt_hi_u32_b32 v2, s21, v2
	v_cmp_eq_u32_e32 vcc, 0, v2
	s_and_saveexec_b64 s[22:23], vcc
	s_cbranch_execz .LBB10_244
; %bb.243:
	s_bcnt1_i32_b64 s15, s[20:21]
	v_mov_b32_e32 v2, s15
	s_waitcnt vmcnt(0)
	global_atomic_add_x2 v[0:1], v[2:3], off offset:8
.LBB10_244:
	s_or_b64 exec, exec, s[22:23]
	s_waitcnt vmcnt(0)
	global_load_dwordx2 v[2:3], v[0:1], off offset:16
	s_waitcnt vmcnt(0)
	v_cmp_eq_u64_e32 vcc, 0, v[2:3]
	s_cbranch_vccnz .LBB10_246
; %bb.245:
	global_load_dword v0, v[0:1], off offset:24
	v_mov_b32_e32 v1, 0
	s_waitcnt vmcnt(0)
	global_store_dwordx2 v[2:3], v[0:1], off
	v_and_b32_e32 v0, 0xffffff, v0
	v_readfirstlane_b32 m0, v0
	s_sendmsg sendmsg(MSG_INTERRUPT)
.LBB10_246:
	s_or_b64 exec, exec, s[18:19]
	s_branch .LBB10_250
.LBB10_247:                             ;   in Loop: Header=BB10_250 Depth=1
	s_or_b64 exec, exec, s[18:19]
	v_readfirstlane_b32 s15, v0
	s_cmp_eq_u32 s15, 0
	s_cbranch_scc1 .LBB10_249
; %bb.248:                              ;   in Loop: Header=BB10_250 Depth=1
	s_sleep 1
	s_cbranch_execnz .LBB10_250
	s_branch .LBB10_252
.LBB10_249:
	s_branch .LBB10_252
.LBB10_250:                             ; =>This Inner Loop Header: Depth=1
	v_mov_b32_e32 v0, 1
	s_and_saveexec_b64 s[18:19], s[4:5]
	s_cbranch_execz .LBB10_247
; %bb.251:                              ;   in Loop: Header=BB10_250 Depth=1
	global_load_dword v0, v[6:7], off offset:20 glc
	s_waitcnt vmcnt(0)
	buffer_wbinvl1_vol
	v_and_b32_e32 v0, 1, v0
	s_branch .LBB10_247
.LBB10_252:
	s_and_saveexec_b64 s[18:19], s[4:5]
	s_cbranch_execz .LBB10_255
; %bb.253:
	v_mov_b32_e32 v9, 0
	global_load_dwordx2 v[2:3], v9, s[44:45] offset:40
	global_load_dwordx2 v[10:11], v9, s[44:45] offset:24 glc
	global_load_dwordx2 v[6:7], v9, s[44:45]
	v_mov_b32_e32 v1, s17
	s_mov_b64 s[4:5], 0
	s_waitcnt vmcnt(2)
	v_add_co_u32_e32 v12, vcc, 1, v2
	v_addc_co_u32_e32 v13, vcc, 0, v3, vcc
	v_add_co_u32_e32 v0, vcc, s16, v12
	v_addc_co_u32_e32 v1, vcc, v13, v1, vcc
	v_cmp_eq_u64_e32 vcc, 0, v[0:1]
	v_cndmask_b32_e32 v1, v1, v13, vcc
	v_cndmask_b32_e32 v0, v0, v12, vcc
	v_and_b32_e32 v3, v1, v3
	v_and_b32_e32 v2, v0, v2
	v_mul_lo_u32 v3, v3, 24
	v_mul_hi_u32 v12, v2, 24
	v_mul_lo_u32 v13, v2, 24
	s_waitcnt vmcnt(1)
	v_mov_b32_e32 v2, v10
	v_add_u32_e32 v3, v12, v3
	s_waitcnt vmcnt(0)
	v_add_co_u32_e32 v6, vcc, v6, v13
	v_addc_co_u32_e32 v7, vcc, v7, v3, vcc
	global_store_dwordx2 v[6:7], v[10:11], off
	v_mov_b32_e32 v3, v11
	s_waitcnt vmcnt(0)
	global_atomic_cmpswap_x2 v[2:3], v9, v[0:3], s[44:45] offset:24 glc
	s_waitcnt vmcnt(0)
	v_cmp_ne_u64_e32 vcc, v[2:3], v[10:11]
	s_and_b64 exec, exec, vcc
	s_cbranch_execz .LBB10_255
.LBB10_254:                             ; =>This Inner Loop Header: Depth=1
	s_sleep 1
	global_store_dwordx2 v[6:7], v[2:3], off
	s_waitcnt vmcnt(0)
	global_atomic_cmpswap_x2 v[10:11], v9, v[0:3], s[44:45] offset:24 glc
	s_waitcnt vmcnt(0)
	v_cmp_eq_u64_e32 vcc, v[10:11], v[2:3]
	v_mov_b32_e32 v2, v10
	s_or_b64 s[4:5], vcc, s[4:5]
	v_mov_b32_e32 v3, v11
	s_andn2_b64 exec, exec, s[4:5]
	s_cbranch_execnz .LBB10_254
.LBB10_255:
	s_or_b64 exec, exec, s[18:19]
.LBB10_256:
	s_or_b64 exec, exec, s[10:11]
	v_readfirstlane_b32 s4, v51
	v_mov_b32_e32 v6, 0
	v_mov_b32_e32 v7, 0
	v_cmp_eq_u32_e64 s[4:5], s4, v51
	s_and_saveexec_b64 s[10:11], s[4:5]
	s_cbranch_execz .LBB10_262
; %bb.257:
	s_waitcnt vmcnt(0)
	v_mov_b32_e32 v0, 0
	global_load_dwordx2 v[11:12], v0, s[44:45] offset:24 glc
	s_waitcnt vmcnt(0)
	buffer_wbinvl1_vol
	global_load_dwordx2 v[1:2], v0, s[44:45] offset:40
	global_load_dwordx2 v[6:7], v0, s[44:45]
	s_waitcnt vmcnt(1)
	v_and_b32_e32 v1, v1, v11
	v_and_b32_e32 v2, v2, v12
	v_mul_lo_u32 v2, v2, 24
	v_mul_hi_u32 v3, v1, 24
	v_mul_lo_u32 v1, v1, 24
	v_add_u32_e32 v2, v3, v2
	s_waitcnt vmcnt(0)
	v_add_co_u32_e32 v1, vcc, v6, v1
	v_addc_co_u32_e32 v2, vcc, v7, v2, vcc
	global_load_dwordx2 v[9:10], v[1:2], off glc
	s_waitcnt vmcnt(0)
	global_atomic_cmpswap_x2 v[6:7], v0, v[9:12], s[44:45] offset:24 glc
	s_waitcnt vmcnt(0)
	buffer_wbinvl1_vol
	v_cmp_ne_u64_e32 vcc, v[6:7], v[11:12]
	s_and_saveexec_b64 s[16:17], vcc
	s_cbranch_execz .LBB10_261
; %bb.258:
	s_mov_b64 s[18:19], 0
.LBB10_259:                             ; =>This Inner Loop Header: Depth=1
	s_sleep 1
	global_load_dwordx2 v[1:2], v0, s[44:45] offset:40
	global_load_dwordx2 v[9:10], v0, s[44:45]
	v_mov_b32_e32 v12, v7
	v_mov_b32_e32 v11, v6
	s_waitcnt vmcnt(1)
	v_and_b32_e32 v1, v1, v11
	s_waitcnt vmcnt(0)
	v_mad_u64_u32 v[6:7], s[20:21], v1, 24, v[9:10]
	v_and_b32_e32 v2, v2, v12
	v_mov_b32_e32 v1, v7
	v_mad_u64_u32 v[1:2], s[20:21], v2, 24, v[1:2]
	v_mov_b32_e32 v7, v1
	global_load_dwordx2 v[9:10], v[6:7], off glc
	s_waitcnt vmcnt(0)
	global_atomic_cmpswap_x2 v[6:7], v0, v[9:12], s[44:45] offset:24 glc
	s_waitcnt vmcnt(0)
	buffer_wbinvl1_vol
	v_cmp_eq_u64_e32 vcc, v[6:7], v[11:12]
	s_or_b64 s[18:19], vcc, s[18:19]
	s_andn2_b64 exec, exec, s[18:19]
	s_cbranch_execnz .LBB10_259
; %bb.260:
	s_or_b64 exec, exec, s[18:19]
.LBB10_261:
	s_or_b64 exec, exec, s[16:17]
.LBB10_262:
	s_or_b64 exec, exec, s[10:11]
	s_waitcnt vmcnt(0)
	v_mov_b32_e32 v10, 0
	global_load_dwordx2 v[11:12], v10, s[44:45] offset:40
	global_load_dwordx4 v[0:3], v10, s[44:45]
	v_readfirstlane_b32 s10, v6
	v_readfirstlane_b32 s11, v7
	s_mov_b64 s[16:17], exec
	s_waitcnt vmcnt(1)
	v_readfirstlane_b32 s18, v11
	v_readfirstlane_b32 s19, v12
	s_and_b64 s[18:19], s[10:11], s[18:19]
	s_mul_i32 s15, s19, 24
	s_mul_hi_u32 s20, s18, 24
	s_mul_i32 s21, s18, 24
	s_add_i32 s15, s20, s15
	v_mov_b32_e32 v7, s15
	s_waitcnt vmcnt(0)
	v_add_co_u32_e32 v6, vcc, s21, v0
	v_addc_co_u32_e32 v7, vcc, v1, v7, vcc
	s_and_saveexec_b64 s[20:21], s[4:5]
	s_cbranch_execz .LBB10_264
; %bb.263:
	v_mov_b32_e32 v11, s16
	v_mov_b32_e32 v12, s17
	v_mov_b32_e32 v13, 2
	v_mov_b32_e32 v14, 1
	global_store_dwordx4 v[6:7], v[11:14], off offset:8
.LBB10_264:
	s_or_b64 exec, exec, s[20:21]
	s_lshl_b64 s[16:17], s[18:19], 12
	v_mov_b32_e32 v9, s17
	v_add_co_u32_e32 v2, vcc, s16, v2
	v_addc_co_u32_e32 v3, vcc, v3, v9, vcc
	s_mov_b32 s16, 0
	v_mov_b32_e32 v9, 33
	v_mov_b32_e32 v11, v10
	;; [unrolled: 1-line block ×3, first 2 shown]
	v_readfirstlane_b32 s20, v2
	v_readfirstlane_b32 s21, v3
	v_add_co_u32_e32 v13, vcc, v2, v50
	s_mov_b32 s17, s16
	s_mov_b32 s18, s16
	;; [unrolled: 1-line block ×3, first 2 shown]
	s_nop 0
	global_store_dwordx4 v50, v[9:12], s[20:21]
	v_addc_co_u32_e32 v14, vcc, 0, v3, vcc
	v_mov_b32_e32 v9, s16
	v_mov_b32_e32 v10, s17
	;; [unrolled: 1-line block ×4, first 2 shown]
	global_store_dwordx4 v50, v[9:12], s[20:21] offset:16
	global_store_dwordx4 v50, v[9:12], s[20:21] offset:32
	;; [unrolled: 1-line block ×3, first 2 shown]
	s_and_saveexec_b64 s[16:17], s[4:5]
	s_cbranch_execz .LBB10_272
; %bb.265:
	v_mov_b32_e32 v11, 0
	global_load_dwordx2 v[17:18], v11, s[44:45] offset:32 glc
	global_load_dwordx2 v[2:3], v11, s[44:45] offset:40
	v_mov_b32_e32 v15, s10
	v_mov_b32_e32 v16, s11
	s_waitcnt vmcnt(0)
	v_readfirstlane_b32 s18, v2
	v_readfirstlane_b32 s19, v3
	s_and_b64 s[18:19], s[18:19], s[10:11]
	s_mul_i32 s15, s19, 24
	s_mul_hi_u32 s19, s18, 24
	s_mul_i32 s18, s18, 24
	s_add_i32 s15, s19, s15
	v_mov_b32_e32 v2, s15
	v_add_co_u32_e32 v9, vcc, s18, v0
	v_addc_co_u32_e32 v10, vcc, v1, v2, vcc
	global_store_dwordx2 v[9:10], v[17:18], off
	s_waitcnt vmcnt(0)
	global_atomic_cmpswap_x2 v[2:3], v11, v[15:18], s[44:45] offset:32 glc
	s_waitcnt vmcnt(0)
	v_cmp_ne_u64_e32 vcc, v[2:3], v[17:18]
	s_and_saveexec_b64 s[18:19], vcc
	s_cbranch_execz .LBB10_268
; %bb.266:
	s_mov_b64 s[20:21], 0
.LBB10_267:                             ; =>This Inner Loop Header: Depth=1
	s_sleep 1
	global_store_dwordx2 v[9:10], v[2:3], off
	v_mov_b32_e32 v0, s10
	v_mov_b32_e32 v1, s11
	s_waitcnt vmcnt(0)
	global_atomic_cmpswap_x2 v[0:1], v11, v[0:3], s[44:45] offset:32 glc
	s_waitcnt vmcnt(0)
	v_cmp_eq_u64_e32 vcc, v[0:1], v[2:3]
	v_mov_b32_e32 v3, v1
	s_or_b64 s[20:21], vcc, s[20:21]
	v_mov_b32_e32 v2, v0
	s_andn2_b64 exec, exec, s[20:21]
	s_cbranch_execnz .LBB10_267
.LBB10_268:
	s_or_b64 exec, exec, s[18:19]
	v_mov_b32_e32 v3, 0
	global_load_dwordx2 v[0:1], v3, s[44:45] offset:16
	s_mov_b64 s[18:19], exec
	v_mbcnt_lo_u32_b32 v2, s18, 0
	v_mbcnt_hi_u32_b32 v2, s19, v2
	v_cmp_eq_u32_e32 vcc, 0, v2
	s_and_saveexec_b64 s[20:21], vcc
	s_cbranch_execz .LBB10_270
; %bb.269:
	s_bcnt1_i32_b64 s15, s[18:19]
	v_mov_b32_e32 v2, s15
	s_waitcnt vmcnt(0)
	global_atomic_add_x2 v[0:1], v[2:3], off offset:8
.LBB10_270:
	s_or_b64 exec, exec, s[20:21]
	s_waitcnt vmcnt(0)
	global_load_dwordx2 v[2:3], v[0:1], off offset:16
	s_waitcnt vmcnt(0)
	v_cmp_eq_u64_e32 vcc, 0, v[2:3]
	s_cbranch_vccnz .LBB10_272
; %bb.271:
	global_load_dword v0, v[0:1], off offset:24
	v_mov_b32_e32 v1, 0
	s_waitcnt vmcnt(0)
	global_store_dwordx2 v[2:3], v[0:1], off
	v_and_b32_e32 v0, 0xffffff, v0
	v_readfirstlane_b32 m0, v0
	s_sendmsg sendmsg(MSG_INTERRUPT)
.LBB10_272:
	s_or_b64 exec, exec, s[16:17]
	s_branch .LBB10_276
.LBB10_273:                             ;   in Loop: Header=BB10_276 Depth=1
	s_or_b64 exec, exec, s[16:17]
	v_readfirstlane_b32 s15, v0
	s_cmp_eq_u32 s15, 0
	s_cbranch_scc1 .LBB10_275
; %bb.274:                              ;   in Loop: Header=BB10_276 Depth=1
	s_sleep 1
	s_cbranch_execnz .LBB10_276
	s_branch .LBB10_278
.LBB10_275:
	s_branch .LBB10_278
.LBB10_276:                             ; =>This Inner Loop Header: Depth=1
	v_mov_b32_e32 v0, 1
	s_and_saveexec_b64 s[16:17], s[4:5]
	s_cbranch_execz .LBB10_273
; %bb.277:                              ;   in Loop: Header=BB10_276 Depth=1
	global_load_dword v0, v[6:7], off offset:20 glc
	s_waitcnt vmcnt(0)
	buffer_wbinvl1_vol
	v_and_b32_e32 v0, 1, v0
	s_branch .LBB10_273
.LBB10_278:
	global_load_dwordx2 v[0:1], v[13:14], off
	s_and_saveexec_b64 s[16:17], s[4:5]
	s_cbranch_execz .LBB10_281
; %bb.279:
	v_mov_b32_e32 v6, 0
	global_load_dwordx2 v[2:3], v6, s[44:45] offset:40
	global_load_dwordx2 v[13:14], v6, s[44:45] offset:24 glc
	global_load_dwordx2 v[15:16], v6, s[44:45]
	v_mov_b32_e32 v7, s11
	s_mov_b64 s[4:5], 0
	s_waitcnt vmcnt(2)
	v_add_co_u32_e32 v11, vcc, 1, v2
	v_addc_co_u32_e32 v12, vcc, 0, v3, vcc
	v_add_co_u32_e32 v9, vcc, s10, v11
	v_addc_co_u32_e32 v10, vcc, v12, v7, vcc
	v_cmp_eq_u64_e32 vcc, 0, v[9:10]
	v_cndmask_b32_e32 v10, v10, v12, vcc
	v_cndmask_b32_e32 v9, v9, v11, vcc
	v_and_b32_e32 v3, v10, v3
	v_and_b32_e32 v2, v9, v2
	v_mul_lo_u32 v3, v3, 24
	v_mul_hi_u32 v7, v2, 24
	v_mul_lo_u32 v2, v2, 24
	s_waitcnt vmcnt(1)
	v_mov_b32_e32 v11, v13
	v_mov_b32_e32 v12, v14
	v_add_u32_e32 v3, v7, v3
	s_waitcnt vmcnt(0)
	v_add_co_u32_e32 v2, vcc, v15, v2
	v_addc_co_u32_e32 v3, vcc, v16, v3, vcc
	global_store_dwordx2 v[2:3], v[13:14], off
	s_waitcnt vmcnt(0)
	global_atomic_cmpswap_x2 v[11:12], v6, v[9:12], s[44:45] offset:24 glc
	s_waitcnt vmcnt(0)
	v_cmp_ne_u64_e32 vcc, v[11:12], v[13:14]
	s_and_b64 exec, exec, vcc
	s_cbranch_execz .LBB10_281
.LBB10_280:                             ; =>This Inner Loop Header: Depth=1
	s_sleep 1
	global_store_dwordx2 v[2:3], v[11:12], off
	s_waitcnt vmcnt(0)
	global_atomic_cmpswap_x2 v[13:14], v6, v[9:12], s[44:45] offset:24 glc
	s_waitcnt vmcnt(0)
	v_cmp_eq_u64_e32 vcc, v[13:14], v[11:12]
	v_mov_b32_e32 v11, v13
	s_or_b64 s[4:5], vcc, s[4:5]
	v_mov_b32_e32 v12, v14
	s_andn2_b64 exec, exec, s[4:5]
	s_cbranch_execnz .LBB10_280
.LBB10_281:
	s_or_b64 exec, exec, s[16:17]
	s_getpc_b64 s[10:11]
	s_add_u32 s10, s10, .str.8@rel32@lo+4
	s_addc_u32 s11, s11, .str.8@rel32@hi+12
	s_cmp_lg_u64 s[10:11], 0
	s_cselect_b64 s[46:47], -1, 0
	s_and_b64 vcc, exec, s[46:47]
	s_cbranch_vccz .LBB10_366
; %bb.282:
	s_waitcnt vmcnt(0)
	v_and_b32_e32 v35, 2, v0
	v_mov_b32_e32 v3, 0
	v_and_b32_e32 v9, -3, v0
	v_mov_b32_e32 v10, v1
	s_mov_b64 s[16:17], 3
	v_mov_b32_e32 v13, 2
	v_mov_b32_e32 v14, 1
	s_branch .LBB10_284
.LBB10_283:                             ;   in Loop: Header=BB10_284 Depth=1
	s_or_b64 exec, exec, s[22:23]
	s_sub_u32 s16, s16, s18
	s_subb_u32 s17, s17, s19
	s_add_u32 s10, s10, s18
	s_addc_u32 s11, s11, s19
	s_cmp_lg_u64 s[16:17], 0
	s_cbranch_scc0 .LBB10_365
.LBB10_284:                             ; =>This Loop Header: Depth=1
                                        ;     Child Loop BB10_287 Depth 2
                                        ;     Child Loop BB10_294 Depth 2
                                        ;     Child Loop BB10_302 Depth 2
                                        ;     Child Loop BB10_310 Depth 2
                                        ;     Child Loop BB10_318 Depth 2
                                        ;     Child Loop BB10_326 Depth 2
                                        ;     Child Loop BB10_334 Depth 2
                                        ;     Child Loop BB10_342 Depth 2
                                        ;     Child Loop BB10_350 Depth 2
                                        ;     Child Loop BB10_359 Depth 2
                                        ;     Child Loop BB10_364 Depth 2
	v_cmp_lt_u64_e64 s[4:5], s[16:17], 56
	v_cmp_gt_u64_e64 s[20:21], s[16:17], 7
	s_and_b64 s[4:5], s[4:5], exec
	s_cselect_b32 s19, s17, 0
	s_cselect_b32 s18, s16, 56
	s_and_b64 vcc, exec, s[20:21]
	s_cbranch_vccnz .LBB10_289
; %bb.285:                              ;   in Loop: Header=BB10_284 Depth=1
	v_mov_b32_e32 v17, 0
	s_cmp_eq_u64 s[16:17], 0
	v_mov_b32_e32 v18, 0
	s_mov_b64 s[4:5], 0
	s_cbranch_scc1 .LBB10_288
; %bb.286:                              ;   in Loop: Header=BB10_284 Depth=1
	v_mov_b32_e32 v17, 0
	s_lshl_b64 s[20:21], s[18:19], 3
	s_mov_b64 s[22:23], 0
	v_mov_b32_e32 v18, 0
	s_mov_b64 s[24:25], s[10:11]
.LBB10_287:                             ;   Parent Loop BB10_284 Depth=1
                                        ; =>  This Inner Loop Header: Depth=2
	global_load_ubyte v2, v3, s[24:25]
	s_waitcnt vmcnt(0)
	v_and_b32_e32 v2, 0xffff, v2
	v_lshlrev_b64 v[6:7], s22, v[2:3]
	s_add_u32 s22, s22, 8
	s_addc_u32 s23, s23, 0
	s_add_u32 s24, s24, 1
	s_addc_u32 s25, s25, 0
	v_or_b32_e32 v17, v6, v17
	s_cmp_lg_u32 s20, s22
	v_or_b32_e32 v18, v7, v18
	s_cbranch_scc1 .LBB10_287
.LBB10_288:                             ;   in Loop: Header=BB10_284 Depth=1
	s_mov_b32 s15, 0
	s_andn2_b64 vcc, exec, s[4:5]
	s_mov_b64 s[4:5], s[10:11]
	s_cbranch_vccz .LBB10_290
	s_branch .LBB10_291
.LBB10_289:                             ;   in Loop: Header=BB10_284 Depth=1
                                        ; implicit-def: $vgpr17_vgpr18
                                        ; implicit-def: $sgpr15
	s_mov_b64 s[4:5], s[10:11]
.LBB10_290:                             ;   in Loop: Header=BB10_284 Depth=1
	global_load_dwordx2 v[17:18], v3, s[10:11]
	s_add_i32 s15, s18, -8
	s_add_u32 s4, s10, 8
	s_addc_u32 s5, s11, 0
.LBB10_291:                             ;   in Loop: Header=BB10_284 Depth=1
	s_cmp_gt_u32 s15, 7
	s_cbranch_scc1 .LBB10_295
; %bb.292:                              ;   in Loop: Header=BB10_284 Depth=1
	s_cmp_eq_u32 s15, 0
	s_cbranch_scc1 .LBB10_296
; %bb.293:                              ;   in Loop: Header=BB10_284 Depth=1
	v_mov_b32_e32 v19, 0
	s_mov_b64 s[20:21], 0
	v_mov_b32_e32 v20, 0
	s_mov_b64 s[22:23], 0
.LBB10_294:                             ;   Parent Loop BB10_284 Depth=1
                                        ; =>  This Inner Loop Header: Depth=2
	s_add_u32 s24, s4, s22
	s_addc_u32 s25, s5, s23
	global_load_ubyte v2, v3, s[24:25]
	s_add_u32 s22, s22, 1
	s_addc_u32 s23, s23, 0
	s_waitcnt vmcnt(0)
	v_and_b32_e32 v2, 0xffff, v2
	v_lshlrev_b64 v[6:7], s20, v[2:3]
	s_add_u32 s20, s20, 8
	s_addc_u32 s21, s21, 0
	v_or_b32_e32 v19, v6, v19
	s_cmp_lg_u32 s15, s22
	v_or_b32_e32 v20, v7, v20
	s_cbranch_scc1 .LBB10_294
	s_branch .LBB10_297
.LBB10_295:                             ;   in Loop: Header=BB10_284 Depth=1
                                        ; implicit-def: $vgpr19_vgpr20
                                        ; implicit-def: $sgpr24
	s_branch .LBB10_298
.LBB10_296:                             ;   in Loop: Header=BB10_284 Depth=1
	v_mov_b32_e32 v19, 0
	v_mov_b32_e32 v20, 0
.LBB10_297:                             ;   in Loop: Header=BB10_284 Depth=1
	s_mov_b32 s24, 0
	s_cbranch_execnz .LBB10_299
.LBB10_298:                             ;   in Loop: Header=BB10_284 Depth=1
	global_load_dwordx2 v[19:20], v3, s[4:5]
	s_add_i32 s24, s15, -8
	s_add_u32 s4, s4, 8
	s_addc_u32 s5, s5, 0
.LBB10_299:                             ;   in Loop: Header=BB10_284 Depth=1
	s_cmp_gt_u32 s24, 7
	s_cbranch_scc1 .LBB10_303
; %bb.300:                              ;   in Loop: Header=BB10_284 Depth=1
	s_cmp_eq_u32 s24, 0
	s_cbranch_scc1 .LBB10_304
; %bb.301:                              ;   in Loop: Header=BB10_284 Depth=1
	v_mov_b32_e32 v21, 0
	s_mov_b64 s[20:21], 0
	v_mov_b32_e32 v22, 0
	s_mov_b64 s[22:23], 0
.LBB10_302:                             ;   Parent Loop BB10_284 Depth=1
                                        ; =>  This Inner Loop Header: Depth=2
	s_add_u32 s26, s4, s22
	s_addc_u32 s27, s5, s23
	global_load_ubyte v2, v3, s[26:27]
	s_add_u32 s22, s22, 1
	s_addc_u32 s23, s23, 0
	s_waitcnt vmcnt(0)
	v_and_b32_e32 v2, 0xffff, v2
	v_lshlrev_b64 v[6:7], s20, v[2:3]
	s_add_u32 s20, s20, 8
	s_addc_u32 s21, s21, 0
	v_or_b32_e32 v21, v6, v21
	s_cmp_lg_u32 s24, s22
	v_or_b32_e32 v22, v7, v22
	s_cbranch_scc1 .LBB10_302
	s_branch .LBB10_305
.LBB10_303:                             ;   in Loop: Header=BB10_284 Depth=1
                                        ; implicit-def: $sgpr15
	s_branch .LBB10_306
.LBB10_304:                             ;   in Loop: Header=BB10_284 Depth=1
	v_mov_b32_e32 v21, 0
	v_mov_b32_e32 v22, 0
.LBB10_305:                             ;   in Loop: Header=BB10_284 Depth=1
	s_mov_b32 s15, 0
	s_cbranch_execnz .LBB10_307
.LBB10_306:                             ;   in Loop: Header=BB10_284 Depth=1
	global_load_dwordx2 v[21:22], v3, s[4:5]
	s_add_i32 s15, s24, -8
	s_add_u32 s4, s4, 8
	s_addc_u32 s5, s5, 0
.LBB10_307:                             ;   in Loop: Header=BB10_284 Depth=1
	s_cmp_gt_u32 s15, 7
	s_cbranch_scc1 .LBB10_311
; %bb.308:                              ;   in Loop: Header=BB10_284 Depth=1
	s_cmp_eq_u32 s15, 0
	s_cbranch_scc1 .LBB10_312
; %bb.309:                              ;   in Loop: Header=BB10_284 Depth=1
	v_mov_b32_e32 v23, 0
	s_mov_b64 s[20:21], 0
	v_mov_b32_e32 v24, 0
	s_mov_b64 s[22:23], 0
.LBB10_310:                             ;   Parent Loop BB10_284 Depth=1
                                        ; =>  This Inner Loop Header: Depth=2
	s_add_u32 s24, s4, s22
	s_addc_u32 s25, s5, s23
	global_load_ubyte v2, v3, s[24:25]
	s_add_u32 s22, s22, 1
	s_addc_u32 s23, s23, 0
	s_waitcnt vmcnt(0)
	v_and_b32_e32 v2, 0xffff, v2
	v_lshlrev_b64 v[6:7], s20, v[2:3]
	s_add_u32 s20, s20, 8
	s_addc_u32 s21, s21, 0
	v_or_b32_e32 v23, v6, v23
	s_cmp_lg_u32 s15, s22
	v_or_b32_e32 v24, v7, v24
	s_cbranch_scc1 .LBB10_310
	s_branch .LBB10_313
.LBB10_311:                             ;   in Loop: Header=BB10_284 Depth=1
                                        ; implicit-def: $vgpr23_vgpr24
                                        ; implicit-def: $sgpr24
	s_branch .LBB10_314
.LBB10_312:                             ;   in Loop: Header=BB10_284 Depth=1
	v_mov_b32_e32 v23, 0
	v_mov_b32_e32 v24, 0
.LBB10_313:                             ;   in Loop: Header=BB10_284 Depth=1
	s_mov_b32 s24, 0
	s_cbranch_execnz .LBB10_315
.LBB10_314:                             ;   in Loop: Header=BB10_284 Depth=1
	global_load_dwordx2 v[23:24], v3, s[4:5]
	s_add_i32 s24, s15, -8
	s_add_u32 s4, s4, 8
	s_addc_u32 s5, s5, 0
.LBB10_315:                             ;   in Loop: Header=BB10_284 Depth=1
	s_cmp_gt_u32 s24, 7
	s_cbranch_scc1 .LBB10_319
; %bb.316:                              ;   in Loop: Header=BB10_284 Depth=1
	s_cmp_eq_u32 s24, 0
	s_cbranch_scc1 .LBB10_320
; %bb.317:                              ;   in Loop: Header=BB10_284 Depth=1
	v_mov_b32_e32 v25, 0
	s_mov_b64 s[20:21], 0
	v_mov_b32_e32 v26, 0
	s_mov_b64 s[22:23], 0
.LBB10_318:                             ;   Parent Loop BB10_284 Depth=1
                                        ; =>  This Inner Loop Header: Depth=2
	s_add_u32 s26, s4, s22
	s_addc_u32 s27, s5, s23
	global_load_ubyte v2, v3, s[26:27]
	s_add_u32 s22, s22, 1
	s_addc_u32 s23, s23, 0
	s_waitcnt vmcnt(0)
	v_and_b32_e32 v2, 0xffff, v2
	v_lshlrev_b64 v[6:7], s20, v[2:3]
	s_add_u32 s20, s20, 8
	s_addc_u32 s21, s21, 0
	v_or_b32_e32 v25, v6, v25
	s_cmp_lg_u32 s24, s22
	v_or_b32_e32 v26, v7, v26
	s_cbranch_scc1 .LBB10_318
	s_branch .LBB10_321
.LBB10_319:                             ;   in Loop: Header=BB10_284 Depth=1
                                        ; implicit-def: $sgpr15
	s_branch .LBB10_322
.LBB10_320:                             ;   in Loop: Header=BB10_284 Depth=1
	v_mov_b32_e32 v25, 0
	v_mov_b32_e32 v26, 0
.LBB10_321:                             ;   in Loop: Header=BB10_284 Depth=1
	s_mov_b32 s15, 0
	s_cbranch_execnz .LBB10_323
.LBB10_322:                             ;   in Loop: Header=BB10_284 Depth=1
	global_load_dwordx2 v[25:26], v3, s[4:5]
	s_add_i32 s15, s24, -8
	s_add_u32 s4, s4, 8
	s_addc_u32 s5, s5, 0
.LBB10_323:                             ;   in Loop: Header=BB10_284 Depth=1
	s_cmp_gt_u32 s15, 7
	s_cbranch_scc1 .LBB10_327
; %bb.324:                              ;   in Loop: Header=BB10_284 Depth=1
	s_cmp_eq_u32 s15, 0
	s_cbranch_scc1 .LBB10_328
; %bb.325:                              ;   in Loop: Header=BB10_284 Depth=1
	v_mov_b32_e32 v27, 0
	s_mov_b64 s[20:21], 0
	v_mov_b32_e32 v28, 0
	s_mov_b64 s[22:23], 0
.LBB10_326:                             ;   Parent Loop BB10_284 Depth=1
                                        ; =>  This Inner Loop Header: Depth=2
	s_add_u32 s24, s4, s22
	s_addc_u32 s25, s5, s23
	global_load_ubyte v2, v3, s[24:25]
	s_add_u32 s22, s22, 1
	s_addc_u32 s23, s23, 0
	s_waitcnt vmcnt(0)
	v_and_b32_e32 v2, 0xffff, v2
	v_lshlrev_b64 v[6:7], s20, v[2:3]
	s_add_u32 s20, s20, 8
	s_addc_u32 s21, s21, 0
	v_or_b32_e32 v27, v6, v27
	s_cmp_lg_u32 s15, s22
	v_or_b32_e32 v28, v7, v28
	s_cbranch_scc1 .LBB10_326
	s_branch .LBB10_329
.LBB10_327:                             ;   in Loop: Header=BB10_284 Depth=1
                                        ; implicit-def: $vgpr27_vgpr28
                                        ; implicit-def: $sgpr24
	s_branch .LBB10_330
.LBB10_328:                             ;   in Loop: Header=BB10_284 Depth=1
	v_mov_b32_e32 v27, 0
	v_mov_b32_e32 v28, 0
.LBB10_329:                             ;   in Loop: Header=BB10_284 Depth=1
	s_mov_b32 s24, 0
	s_cbranch_execnz .LBB10_331
.LBB10_330:                             ;   in Loop: Header=BB10_284 Depth=1
	global_load_dwordx2 v[27:28], v3, s[4:5]
	s_add_i32 s24, s15, -8
	s_add_u32 s4, s4, 8
	s_addc_u32 s5, s5, 0
.LBB10_331:                             ;   in Loop: Header=BB10_284 Depth=1
	s_cmp_gt_u32 s24, 7
	s_cbranch_scc1 .LBB10_335
; %bb.332:                              ;   in Loop: Header=BB10_284 Depth=1
	s_cmp_eq_u32 s24, 0
	s_cbranch_scc1 .LBB10_336
; %bb.333:                              ;   in Loop: Header=BB10_284 Depth=1
	v_mov_b32_e32 v29, 0
	s_mov_b64 s[20:21], 0
	v_mov_b32_e32 v30, 0
	s_mov_b64 s[22:23], s[4:5]
.LBB10_334:                             ;   Parent Loop BB10_284 Depth=1
                                        ; =>  This Inner Loop Header: Depth=2
	global_load_ubyte v2, v3, s[22:23]
	s_add_i32 s24, s24, -1
	s_waitcnt vmcnt(0)
	v_and_b32_e32 v2, 0xffff, v2
	v_lshlrev_b64 v[6:7], s20, v[2:3]
	s_add_u32 s20, s20, 8
	s_addc_u32 s21, s21, 0
	s_add_u32 s22, s22, 1
	s_addc_u32 s23, s23, 0
	v_or_b32_e32 v29, v6, v29
	s_cmp_lg_u32 s24, 0
	v_or_b32_e32 v30, v7, v30
	s_cbranch_scc1 .LBB10_334
	s_branch .LBB10_337
.LBB10_335:                             ;   in Loop: Header=BB10_284 Depth=1
	s_branch .LBB10_338
.LBB10_336:                             ;   in Loop: Header=BB10_284 Depth=1
	v_mov_b32_e32 v29, 0
	v_mov_b32_e32 v30, 0
.LBB10_337:                             ;   in Loop: Header=BB10_284 Depth=1
	s_cbranch_execnz .LBB10_339
.LBB10_338:                             ;   in Loop: Header=BB10_284 Depth=1
	global_load_dwordx2 v[29:30], v3, s[4:5]
.LBB10_339:                             ;   in Loop: Header=BB10_284 Depth=1
	v_readfirstlane_b32 s4, v51
	v_mov_b32_e32 v6, 0
	v_mov_b32_e32 v7, 0
	v_cmp_eq_u32_e64 s[4:5], s4, v51
	s_and_saveexec_b64 s[20:21], s[4:5]
	s_cbranch_execz .LBB10_345
; %bb.340:                              ;   in Loop: Header=BB10_284 Depth=1
	global_load_dwordx2 v[33:34], v3, s[44:45] offset:24 glc
	s_waitcnt vmcnt(0)
	buffer_wbinvl1_vol
	global_load_dwordx2 v[6:7], v3, s[44:45] offset:40
	global_load_dwordx2 v[11:12], v3, s[44:45]
	s_waitcnt vmcnt(1)
	v_and_b32_e32 v2, v6, v33
	v_and_b32_e32 v6, v7, v34
	v_mul_lo_u32 v6, v6, 24
	v_mul_hi_u32 v7, v2, 24
	v_mul_lo_u32 v2, v2, 24
	v_add_u32_e32 v7, v7, v6
	s_waitcnt vmcnt(0)
	v_add_co_u32_e32 v6, vcc, v11, v2
	v_addc_co_u32_e32 v7, vcc, v12, v7, vcc
	global_load_dwordx2 v[31:32], v[6:7], off glc
	s_waitcnt vmcnt(0)
	global_atomic_cmpswap_x2 v[6:7], v3, v[31:34], s[44:45] offset:24 glc
	s_waitcnt vmcnt(0)
	buffer_wbinvl1_vol
	v_cmp_ne_u64_e32 vcc, v[6:7], v[33:34]
	s_and_saveexec_b64 s[22:23], vcc
	s_cbranch_execz .LBB10_344
; %bb.341:                              ;   in Loop: Header=BB10_284 Depth=1
	s_mov_b64 s[24:25], 0
.LBB10_342:                             ;   Parent Loop BB10_284 Depth=1
                                        ; =>  This Inner Loop Header: Depth=2
	s_sleep 1
	global_load_dwordx2 v[11:12], v3, s[44:45] offset:40
	global_load_dwordx2 v[15:16], v3, s[44:45]
	v_mov_b32_e32 v34, v7
	v_mov_b32_e32 v33, v6
	s_waitcnt vmcnt(1)
	v_and_b32_e32 v2, v11, v33
	s_waitcnt vmcnt(0)
	v_mad_u64_u32 v[6:7], s[26:27], v2, 24, v[15:16]
	v_and_b32_e32 v11, v12, v34
	v_mov_b32_e32 v2, v7
	v_mad_u64_u32 v[11:12], s[26:27], v11, 24, v[2:3]
	v_mov_b32_e32 v7, v11
	global_load_dwordx2 v[31:32], v[6:7], off glc
	s_waitcnt vmcnt(0)
	global_atomic_cmpswap_x2 v[6:7], v3, v[31:34], s[44:45] offset:24 glc
	s_waitcnt vmcnt(0)
	buffer_wbinvl1_vol
	v_cmp_eq_u64_e32 vcc, v[6:7], v[33:34]
	s_or_b64 s[24:25], vcc, s[24:25]
	s_andn2_b64 exec, exec, s[24:25]
	s_cbranch_execnz .LBB10_342
; %bb.343:                              ;   in Loop: Header=BB10_284 Depth=1
	s_or_b64 exec, exec, s[24:25]
.LBB10_344:                             ;   in Loop: Header=BB10_284 Depth=1
	s_or_b64 exec, exec, s[22:23]
.LBB10_345:                             ;   in Loop: Header=BB10_284 Depth=1
	s_or_b64 exec, exec, s[20:21]
	global_load_dwordx2 v[11:12], v3, s[44:45] offset:40
	global_load_dwordx4 v[31:34], v3, s[44:45]
	v_readfirstlane_b32 s20, v6
	v_readfirstlane_b32 s21, v7
	s_mov_b64 s[22:23], exec
	s_waitcnt vmcnt(1)
	v_readfirstlane_b32 s24, v11
	v_readfirstlane_b32 s25, v12
	s_and_b64 s[24:25], s[20:21], s[24:25]
	s_mul_i32 s15, s25, 24
	s_mul_hi_u32 s26, s24, 24
	s_mul_i32 s27, s24, 24
	s_add_i32 s15, s26, s15
	v_mov_b32_e32 v2, s15
	s_waitcnt vmcnt(0)
	v_add_co_u32_e32 v6, vcc, s27, v31
	v_addc_co_u32_e32 v7, vcc, v32, v2, vcc
	s_and_saveexec_b64 s[26:27], s[4:5]
	s_cbranch_execz .LBB10_347
; %bb.346:                              ;   in Loop: Header=BB10_284 Depth=1
	v_mov_b32_e32 v11, s22
	v_mov_b32_e32 v12, s23
	global_store_dwordx4 v[6:7], v[11:14], off offset:8
.LBB10_347:                             ;   in Loop: Header=BB10_284 Depth=1
	s_or_b64 exec, exec, s[26:27]
	s_lshl_b64 s[22:23], s[24:25], 12
	v_mov_b32_e32 v2, s23
	v_add_co_u32_e32 v33, vcc, s22, v33
	v_addc_co_u32_e32 v34, vcc, v34, v2, vcc
	v_cmp_gt_u64_e64 vcc, s[16:17], 56
	v_or_b32_e32 v2, 0, v10
	v_or_b32_e32 v11, v9, v35
	s_lshl_b32 s15, s18, 2
	v_cndmask_b32_e32 v16, v2, v10, vcc
	v_cndmask_b32_e32 v2, v11, v9, vcc
	s_add_i32 s15, s15, 28
	s_and_b32 s15, s15, 0x1e0
	v_and_b32_e32 v2, 0xffffff1f, v2
	v_or_b32_e32 v15, s15, v2
	v_readfirstlane_b32 s22, v33
	v_readfirstlane_b32 s23, v34
	s_nop 4
	global_store_dwordx4 v50, v[15:18], s[22:23]
	global_store_dwordx4 v50, v[19:22], s[22:23] offset:16
	global_store_dwordx4 v50, v[23:26], s[22:23] offset:32
	;; [unrolled: 1-line block ×3, first 2 shown]
	s_and_saveexec_b64 s[22:23], s[4:5]
	s_cbranch_execz .LBB10_355
; %bb.348:                              ;   in Loop: Header=BB10_284 Depth=1
	global_load_dwordx2 v[19:20], v3, s[44:45] offset:32 glc
	global_load_dwordx2 v[9:10], v3, s[44:45] offset:40
	v_mov_b32_e32 v17, s20
	v_mov_b32_e32 v18, s21
	s_waitcnt vmcnt(0)
	v_readfirstlane_b32 s24, v9
	v_readfirstlane_b32 s25, v10
	s_and_b64 s[24:25], s[24:25], s[20:21]
	s_mul_i32 s15, s25, 24
	s_mul_hi_u32 s25, s24, 24
	s_mul_i32 s24, s24, 24
	s_add_i32 s15, s25, s15
	v_mov_b32_e32 v2, s15
	v_add_co_u32_e32 v15, vcc, s24, v31
	v_addc_co_u32_e32 v16, vcc, v32, v2, vcc
	global_store_dwordx2 v[15:16], v[19:20], off
	s_waitcnt vmcnt(0)
	global_atomic_cmpswap_x2 v[11:12], v3, v[17:20], s[44:45] offset:32 glc
	s_waitcnt vmcnt(0)
	v_cmp_ne_u64_e32 vcc, v[11:12], v[19:20]
	s_and_saveexec_b64 s[24:25], vcc
	s_cbranch_execz .LBB10_351
; %bb.349:                              ;   in Loop: Header=BB10_284 Depth=1
	s_mov_b64 s[26:27], 0
.LBB10_350:                             ;   Parent Loop BB10_284 Depth=1
                                        ; =>  This Inner Loop Header: Depth=2
	s_sleep 1
	global_store_dwordx2 v[15:16], v[11:12], off
	v_mov_b32_e32 v9, s20
	v_mov_b32_e32 v10, s21
	s_waitcnt vmcnt(0)
	global_atomic_cmpswap_x2 v[9:10], v3, v[9:12], s[44:45] offset:32 glc
	s_waitcnt vmcnt(0)
	v_cmp_eq_u64_e32 vcc, v[9:10], v[11:12]
	v_mov_b32_e32 v12, v10
	s_or_b64 s[26:27], vcc, s[26:27]
	v_mov_b32_e32 v11, v9
	s_andn2_b64 exec, exec, s[26:27]
	s_cbranch_execnz .LBB10_350
.LBB10_351:                             ;   in Loop: Header=BB10_284 Depth=1
	s_or_b64 exec, exec, s[24:25]
	global_load_dwordx2 v[9:10], v3, s[44:45] offset:16
	s_mov_b64 s[26:27], exec
	v_mbcnt_lo_u32_b32 v2, s26, 0
	v_mbcnt_hi_u32_b32 v2, s27, v2
	v_cmp_eq_u32_e32 vcc, 0, v2
	s_and_saveexec_b64 s[24:25], vcc
	s_cbranch_execz .LBB10_353
; %bb.352:                              ;   in Loop: Header=BB10_284 Depth=1
	s_bcnt1_i32_b64 s15, s[26:27]
	v_mov_b32_e32 v2, s15
	s_waitcnt vmcnt(0)
	global_atomic_add_x2 v[9:10], v[2:3], off offset:8
.LBB10_353:                             ;   in Loop: Header=BB10_284 Depth=1
	s_or_b64 exec, exec, s[24:25]
	s_waitcnt vmcnt(0)
	global_load_dwordx2 v[11:12], v[9:10], off offset:16
	s_waitcnt vmcnt(0)
	v_cmp_eq_u64_e32 vcc, 0, v[11:12]
	s_cbranch_vccnz .LBB10_355
; %bb.354:                              ;   in Loop: Header=BB10_284 Depth=1
	global_load_dword v2, v[9:10], off offset:24
	s_waitcnt vmcnt(0)
	global_store_dwordx2 v[11:12], v[2:3], off
	v_and_b32_e32 v2, 0xffffff, v2
	v_readfirstlane_b32 m0, v2
	s_sendmsg sendmsg(MSG_INTERRUPT)
.LBB10_355:                             ;   in Loop: Header=BB10_284 Depth=1
	s_or_b64 exec, exec, s[22:23]
	v_add_co_u32_e32 v9, vcc, v33, v50
	v_addc_co_u32_e32 v10, vcc, 0, v34, vcc
	s_branch .LBB10_359
.LBB10_356:                             ;   in Loop: Header=BB10_359 Depth=2
	s_or_b64 exec, exec, s[22:23]
	v_readfirstlane_b32 s15, v2
	s_cmp_eq_u32 s15, 0
	s_cbranch_scc1 .LBB10_358
; %bb.357:                              ;   in Loop: Header=BB10_359 Depth=2
	s_sleep 1
	s_cbranch_execnz .LBB10_359
	s_branch .LBB10_361
.LBB10_358:                             ;   in Loop: Header=BB10_284 Depth=1
	s_branch .LBB10_361
.LBB10_359:                             ;   Parent Loop BB10_284 Depth=1
                                        ; =>  This Inner Loop Header: Depth=2
	v_mov_b32_e32 v2, 1
	s_and_saveexec_b64 s[22:23], s[4:5]
	s_cbranch_execz .LBB10_356
; %bb.360:                              ;   in Loop: Header=BB10_359 Depth=2
	global_load_dword v2, v[6:7], off offset:20 glc
	s_waitcnt vmcnt(0)
	buffer_wbinvl1_vol
	v_and_b32_e32 v2, 1, v2
	s_branch .LBB10_356
.LBB10_361:                             ;   in Loop: Header=BB10_284 Depth=1
	global_load_dwordx4 v[9:12], v[9:10], off
	s_and_saveexec_b64 s[22:23], s[4:5]
	s_cbranch_execz .LBB10_283
; %bb.362:                              ;   in Loop: Header=BB10_284 Depth=1
	global_load_dwordx2 v[6:7], v3, s[44:45] offset:40
	global_load_dwordx2 v[11:12], v3, s[44:45] offset:24 glc
	global_load_dwordx2 v[18:19], v3, s[44:45]
	v_mov_b32_e32 v2, s21
	s_waitcnt vmcnt(2)
	v_add_co_u32_e32 v17, vcc, 1, v6
	v_addc_co_u32_e32 v20, vcc, 0, v7, vcc
	v_add_co_u32_e32 v15, vcc, s20, v17
	v_addc_co_u32_e32 v16, vcc, v20, v2, vcc
	v_cmp_eq_u64_e32 vcc, 0, v[15:16]
	v_cndmask_b32_e32 v16, v16, v20, vcc
	v_cndmask_b32_e32 v15, v15, v17, vcc
	v_and_b32_e32 v2, v16, v7
	v_and_b32_e32 v6, v15, v6
	v_mul_lo_u32 v2, v2, 24
	v_mul_hi_u32 v7, v6, 24
	v_mul_lo_u32 v6, v6, 24
	s_waitcnt vmcnt(1)
	v_mov_b32_e32 v17, v11
	v_add_u32_e32 v2, v7, v2
	s_waitcnt vmcnt(0)
	v_add_co_u32_e32 v6, vcc, v18, v6
	v_addc_co_u32_e32 v7, vcc, v19, v2, vcc
	global_store_dwordx2 v[6:7], v[11:12], off
	v_mov_b32_e32 v18, v12
	s_waitcnt vmcnt(0)
	global_atomic_cmpswap_x2 v[17:18], v3, v[15:18], s[44:45] offset:24 glc
	s_waitcnt vmcnt(0)
	v_cmp_ne_u64_e32 vcc, v[17:18], v[11:12]
	s_and_b64 exec, exec, vcc
	s_cbranch_execz .LBB10_283
; %bb.363:                              ;   in Loop: Header=BB10_284 Depth=1
	s_mov_b64 s[4:5], 0
.LBB10_364:                             ;   Parent Loop BB10_284 Depth=1
                                        ; =>  This Inner Loop Header: Depth=2
	s_sleep 1
	global_store_dwordx2 v[6:7], v[17:18], off
	s_waitcnt vmcnt(0)
	global_atomic_cmpswap_x2 v[11:12], v3, v[15:18], s[44:45] offset:24 glc
	s_waitcnt vmcnt(0)
	v_cmp_eq_u64_e32 vcc, v[11:12], v[17:18]
	v_mov_b32_e32 v18, v12
	s_or_b64 s[4:5], vcc, s[4:5]
	v_mov_b32_e32 v17, v11
	s_andn2_b64 exec, exec, s[4:5]
	s_cbranch_execnz .LBB10_364
	s_branch .LBB10_283
.LBB10_365:
	s_branch .LBB10_393
.LBB10_366:
                                        ; implicit-def: $vgpr9_vgpr10
	s_cbranch_execz .LBB10_393
; %bb.367:
	v_readfirstlane_b32 s4, v51
	v_mov_b32_e32 v6, 0
	v_mov_b32_e32 v7, 0
	v_cmp_eq_u32_e64 s[4:5], s4, v51
	s_and_saveexec_b64 s[10:11], s[4:5]
	s_cbranch_execz .LBB10_373
; %bb.368:
	v_mov_b32_e32 v2, 0
	global_load_dwordx2 v[11:12], v2, s[44:45] offset:24 glc
	s_waitcnt vmcnt(0)
	buffer_wbinvl1_vol
	global_load_dwordx2 v[6:7], v2, s[44:45] offset:40
	global_load_dwordx2 v[9:10], v2, s[44:45]
	s_waitcnt vmcnt(1)
	v_and_b32_e32 v3, v6, v11
	v_and_b32_e32 v6, v7, v12
	v_mul_lo_u32 v6, v6, 24
	v_mul_hi_u32 v7, v3, 24
	v_mul_lo_u32 v3, v3, 24
	v_add_u32_e32 v7, v7, v6
	s_waitcnt vmcnt(0)
	v_add_co_u32_e32 v6, vcc, v9, v3
	v_addc_co_u32_e32 v7, vcc, v10, v7, vcc
	global_load_dwordx2 v[9:10], v[6:7], off glc
	s_waitcnt vmcnt(0)
	global_atomic_cmpswap_x2 v[6:7], v2, v[9:12], s[44:45] offset:24 glc
	s_waitcnt vmcnt(0)
	buffer_wbinvl1_vol
	v_cmp_ne_u64_e32 vcc, v[6:7], v[11:12]
	s_and_saveexec_b64 s[16:17], vcc
	s_cbranch_execz .LBB10_372
; %bb.369:
	s_mov_b64 s[18:19], 0
.LBB10_370:                             ; =>This Inner Loop Header: Depth=1
	s_sleep 1
	global_load_dwordx2 v[9:10], v2, s[44:45] offset:40
	global_load_dwordx2 v[13:14], v2, s[44:45]
	v_mov_b32_e32 v12, v7
	v_mov_b32_e32 v11, v6
	s_waitcnt vmcnt(1)
	v_and_b32_e32 v3, v9, v11
	s_waitcnt vmcnt(0)
	v_mad_u64_u32 v[6:7], s[20:21], v3, 24, v[13:14]
	v_and_b32_e32 v9, v10, v12
	v_mov_b32_e32 v3, v7
	v_mad_u64_u32 v[9:10], s[20:21], v9, 24, v[3:4]
	v_mov_b32_e32 v7, v9
	global_load_dwordx2 v[9:10], v[6:7], off glc
	s_waitcnt vmcnt(0)
	global_atomic_cmpswap_x2 v[6:7], v2, v[9:12], s[44:45] offset:24 glc
	s_waitcnt vmcnt(0)
	buffer_wbinvl1_vol
	v_cmp_eq_u64_e32 vcc, v[6:7], v[11:12]
	s_or_b64 s[18:19], vcc, s[18:19]
	s_andn2_b64 exec, exec, s[18:19]
	s_cbranch_execnz .LBB10_370
; %bb.371:
	s_or_b64 exec, exec, s[18:19]
.LBB10_372:
	s_or_b64 exec, exec, s[16:17]
.LBB10_373:
	s_or_b64 exec, exec, s[10:11]
	v_mov_b32_e32 v2, 0
	global_load_dwordx2 v[13:14], v2, s[44:45] offset:40
	global_load_dwordx4 v[9:12], v2, s[44:45]
	v_readfirstlane_b32 s10, v6
	v_readfirstlane_b32 s11, v7
	s_mov_b64 s[16:17], exec
	s_waitcnt vmcnt(1)
	v_readfirstlane_b32 s18, v13
	v_readfirstlane_b32 s19, v14
	s_and_b64 s[18:19], s[10:11], s[18:19]
	s_mul_i32 s15, s19, 24
	s_mul_hi_u32 s20, s18, 24
	s_mul_i32 s21, s18, 24
	s_add_i32 s15, s20, s15
	v_mov_b32_e32 v3, s15
	s_waitcnt vmcnt(0)
	v_add_co_u32_e32 v6, vcc, s21, v9
	v_addc_co_u32_e32 v7, vcc, v10, v3, vcc
	s_and_saveexec_b64 s[20:21], s[4:5]
	s_cbranch_execz .LBB10_375
; %bb.374:
	v_mov_b32_e32 v13, s16
	v_mov_b32_e32 v14, s17
	;; [unrolled: 1-line block ×4, first 2 shown]
	global_store_dwordx4 v[6:7], v[13:16], off offset:8
.LBB10_375:
	s_or_b64 exec, exec, s[20:21]
	s_lshl_b64 s[16:17], s[18:19], 12
	v_mov_b32_e32 v3, s17
	v_add_co_u32_e32 v13, vcc, s16, v11
	v_addc_co_u32_e32 v14, vcc, v12, v3, vcc
	s_movk_i32 s15, 0xff1f
	v_and_or_b32 v0, v0, s15, 32
	s_mov_b32 s16, 0
	v_mov_b32_e32 v3, v2
	v_readfirstlane_b32 s20, v13
	v_readfirstlane_b32 s21, v14
	v_add_co_u32_e32 v11, vcc, v13, v50
	s_mov_b32 s17, s16
	s_mov_b32 s18, s16
	;; [unrolled: 1-line block ×3, first 2 shown]
	s_nop 0
	global_store_dwordx4 v50, v[0:3], s[20:21]
	v_addc_co_u32_e32 v12, vcc, 0, v14, vcc
	v_mov_b32_e32 v0, s16
	v_mov_b32_e32 v1, s17
	v_mov_b32_e32 v2, s18
	v_mov_b32_e32 v3, s19
	global_store_dwordx4 v50, v[0:3], s[20:21] offset:16
	global_store_dwordx4 v50, v[0:3], s[20:21] offset:32
	;; [unrolled: 1-line block ×3, first 2 shown]
	s_and_saveexec_b64 s[16:17], s[4:5]
	s_cbranch_execz .LBB10_383
; %bb.376:
	v_mov_b32_e32 v13, 0
	global_load_dwordx2 v[16:17], v13, s[44:45] offset:32 glc
	global_load_dwordx2 v[0:1], v13, s[44:45] offset:40
	v_mov_b32_e32 v14, s10
	v_mov_b32_e32 v15, s11
	s_waitcnt vmcnt(0)
	v_readfirstlane_b32 s18, v0
	v_readfirstlane_b32 s19, v1
	s_and_b64 s[18:19], s[18:19], s[10:11]
	s_mul_i32 s15, s19, 24
	s_mul_hi_u32 s19, s18, 24
	s_mul_i32 s18, s18, 24
	s_add_i32 s15, s19, s15
	v_mov_b32_e32 v0, s15
	v_add_co_u32_e32 v9, vcc, s18, v9
	v_addc_co_u32_e32 v10, vcc, v10, v0, vcc
	global_store_dwordx2 v[9:10], v[16:17], off
	s_waitcnt vmcnt(0)
	global_atomic_cmpswap_x2 v[2:3], v13, v[14:17], s[44:45] offset:32 glc
	s_waitcnt vmcnt(0)
	v_cmp_ne_u64_e32 vcc, v[2:3], v[16:17]
	s_and_saveexec_b64 s[18:19], vcc
	s_cbranch_execz .LBB10_379
; %bb.377:
	s_mov_b64 s[20:21], 0
.LBB10_378:                             ; =>This Inner Loop Header: Depth=1
	s_sleep 1
	global_store_dwordx2 v[9:10], v[2:3], off
	v_mov_b32_e32 v0, s10
	v_mov_b32_e32 v1, s11
	s_waitcnt vmcnt(0)
	global_atomic_cmpswap_x2 v[0:1], v13, v[0:3], s[44:45] offset:32 glc
	s_waitcnt vmcnt(0)
	v_cmp_eq_u64_e32 vcc, v[0:1], v[2:3]
	v_mov_b32_e32 v3, v1
	s_or_b64 s[20:21], vcc, s[20:21]
	v_mov_b32_e32 v2, v0
	s_andn2_b64 exec, exec, s[20:21]
	s_cbranch_execnz .LBB10_378
.LBB10_379:
	s_or_b64 exec, exec, s[18:19]
	v_mov_b32_e32 v3, 0
	global_load_dwordx2 v[0:1], v3, s[44:45] offset:16
	s_mov_b64 s[18:19], exec
	v_mbcnt_lo_u32_b32 v2, s18, 0
	v_mbcnt_hi_u32_b32 v2, s19, v2
	v_cmp_eq_u32_e32 vcc, 0, v2
	s_and_saveexec_b64 s[20:21], vcc
	s_cbranch_execz .LBB10_381
; %bb.380:
	s_bcnt1_i32_b64 s15, s[18:19]
	v_mov_b32_e32 v2, s15
	s_waitcnt vmcnt(0)
	global_atomic_add_x2 v[0:1], v[2:3], off offset:8
.LBB10_381:
	s_or_b64 exec, exec, s[20:21]
	s_waitcnt vmcnt(0)
	global_load_dwordx2 v[2:3], v[0:1], off offset:16
	s_waitcnt vmcnt(0)
	v_cmp_eq_u64_e32 vcc, 0, v[2:3]
	s_cbranch_vccnz .LBB10_383
; %bb.382:
	global_load_dword v0, v[0:1], off offset:24
	v_mov_b32_e32 v1, 0
	s_waitcnt vmcnt(0)
	global_store_dwordx2 v[2:3], v[0:1], off
	v_and_b32_e32 v0, 0xffffff, v0
	v_readfirstlane_b32 m0, v0
	s_sendmsg sendmsg(MSG_INTERRUPT)
.LBB10_383:
	s_or_b64 exec, exec, s[16:17]
	s_branch .LBB10_387
.LBB10_384:                             ;   in Loop: Header=BB10_387 Depth=1
	s_or_b64 exec, exec, s[16:17]
	v_readfirstlane_b32 s15, v0
	s_cmp_eq_u32 s15, 0
	s_cbranch_scc1 .LBB10_386
; %bb.385:                              ;   in Loop: Header=BB10_387 Depth=1
	s_sleep 1
	s_cbranch_execnz .LBB10_387
	s_branch .LBB10_389
.LBB10_386:
	s_branch .LBB10_389
.LBB10_387:                             ; =>This Inner Loop Header: Depth=1
	v_mov_b32_e32 v0, 1
	s_and_saveexec_b64 s[16:17], s[4:5]
	s_cbranch_execz .LBB10_384
; %bb.388:                              ;   in Loop: Header=BB10_387 Depth=1
	global_load_dword v0, v[6:7], off offset:20 glc
	s_waitcnt vmcnt(0)
	buffer_wbinvl1_vol
	v_and_b32_e32 v0, 1, v0
	s_branch .LBB10_384
.LBB10_389:
	global_load_dwordx2 v[9:10], v[11:12], off
	s_and_saveexec_b64 s[16:17], s[4:5]
	s_cbranch_execz .LBB10_392
; %bb.390:
	v_mov_b32_e32 v11, 0
	global_load_dwordx2 v[2:3], v11, s[44:45] offset:40
	global_load_dwordx2 v[12:13], v11, s[44:45] offset:24 glc
	global_load_dwordx2 v[6:7], v11, s[44:45]
	v_mov_b32_e32 v1, s11
	s_mov_b64 s[4:5], 0
	s_waitcnt vmcnt(2)
	v_add_co_u32_e32 v14, vcc, 1, v2
	v_addc_co_u32_e32 v15, vcc, 0, v3, vcc
	v_add_co_u32_e32 v0, vcc, s10, v14
	v_addc_co_u32_e32 v1, vcc, v15, v1, vcc
	v_cmp_eq_u64_e32 vcc, 0, v[0:1]
	v_cndmask_b32_e32 v1, v1, v15, vcc
	v_cndmask_b32_e32 v0, v0, v14, vcc
	v_and_b32_e32 v3, v1, v3
	v_and_b32_e32 v2, v0, v2
	v_mul_lo_u32 v3, v3, 24
	v_mul_hi_u32 v14, v2, 24
	v_mul_lo_u32 v15, v2, 24
	s_waitcnt vmcnt(1)
	v_mov_b32_e32 v2, v12
	v_add_u32_e32 v3, v14, v3
	s_waitcnt vmcnt(0)
	v_add_co_u32_e32 v6, vcc, v6, v15
	v_addc_co_u32_e32 v7, vcc, v7, v3, vcc
	global_store_dwordx2 v[6:7], v[12:13], off
	v_mov_b32_e32 v3, v13
	s_waitcnt vmcnt(0)
	global_atomic_cmpswap_x2 v[2:3], v11, v[0:3], s[44:45] offset:24 glc
	s_waitcnt vmcnt(0)
	v_cmp_ne_u64_e32 vcc, v[2:3], v[12:13]
	s_and_b64 exec, exec, vcc
	s_cbranch_execz .LBB10_392
.LBB10_391:                             ; =>This Inner Loop Header: Depth=1
	s_sleep 1
	global_store_dwordx2 v[6:7], v[2:3], off
	s_waitcnt vmcnt(0)
	global_atomic_cmpswap_x2 v[12:13], v11, v[0:3], s[44:45] offset:24 glc
	s_waitcnt vmcnt(0)
	v_cmp_eq_u64_e32 vcc, v[12:13], v[2:3]
	v_mov_b32_e32 v2, v12
	s_or_b64 s[4:5], vcc, s[4:5]
	v_mov_b32_e32 v3, v13
	s_andn2_b64 exec, exec, s[4:5]
	s_cbranch_execnz .LBB10_391
.LBB10_392:
	s_or_b64 exec, exec, s[16:17]
.LBB10_393:
	v_readfirstlane_b32 s4, v51
	v_mov_b32_e32 v6, 0
	v_mov_b32_e32 v7, 0
	v_cmp_eq_u32_e64 s[4:5], s4, v51
	s_and_saveexec_b64 s[10:11], s[4:5]
	s_cbranch_execz .LBB10_399
; %bb.394:
	s_waitcnt vmcnt(0)
	v_mov_b32_e32 v0, 0
	global_load_dwordx2 v[13:14], v0, s[44:45] offset:24 glc
	s_waitcnt vmcnt(0)
	buffer_wbinvl1_vol
	global_load_dwordx2 v[1:2], v0, s[44:45] offset:40
	global_load_dwordx2 v[6:7], v0, s[44:45]
	s_waitcnt vmcnt(1)
	v_and_b32_e32 v1, v1, v13
	v_and_b32_e32 v2, v2, v14
	v_mul_lo_u32 v2, v2, 24
	v_mul_hi_u32 v3, v1, 24
	v_mul_lo_u32 v1, v1, 24
	v_add_u32_e32 v2, v3, v2
	s_waitcnt vmcnt(0)
	v_add_co_u32_e32 v1, vcc, v6, v1
	v_addc_co_u32_e32 v2, vcc, v7, v2, vcc
	global_load_dwordx2 v[11:12], v[1:2], off glc
	s_waitcnt vmcnt(0)
	global_atomic_cmpswap_x2 v[6:7], v0, v[11:14], s[44:45] offset:24 glc
	s_waitcnt vmcnt(0)
	buffer_wbinvl1_vol
	v_cmp_ne_u64_e32 vcc, v[6:7], v[13:14]
	s_and_saveexec_b64 s[16:17], vcc
	s_cbranch_execz .LBB10_398
; %bb.395:
	s_mov_b64 s[18:19], 0
.LBB10_396:                             ; =>This Inner Loop Header: Depth=1
	s_sleep 1
	global_load_dwordx2 v[1:2], v0, s[44:45] offset:40
	global_load_dwordx2 v[11:12], v0, s[44:45]
	v_mov_b32_e32 v14, v7
	v_mov_b32_e32 v13, v6
	s_waitcnt vmcnt(1)
	v_and_b32_e32 v1, v1, v13
	s_waitcnt vmcnt(0)
	v_mad_u64_u32 v[6:7], s[20:21], v1, 24, v[11:12]
	v_and_b32_e32 v2, v2, v14
	v_mov_b32_e32 v1, v7
	v_mad_u64_u32 v[1:2], s[20:21], v2, 24, v[1:2]
	v_mov_b32_e32 v7, v1
	global_load_dwordx2 v[11:12], v[6:7], off glc
	s_waitcnt vmcnt(0)
	global_atomic_cmpswap_x2 v[6:7], v0, v[11:14], s[44:45] offset:24 glc
	s_waitcnt vmcnt(0)
	buffer_wbinvl1_vol
	v_cmp_eq_u64_e32 vcc, v[6:7], v[13:14]
	s_or_b64 s[18:19], vcc, s[18:19]
	s_andn2_b64 exec, exec, s[18:19]
	s_cbranch_execnz .LBB10_396
; %bb.397:
	s_or_b64 exec, exec, s[18:19]
.LBB10_398:
	s_or_b64 exec, exec, s[16:17]
.LBB10_399:
	s_or_b64 exec, exec, s[10:11]
	s_waitcnt vmcnt(0)
	v_mov_b32_e32 v12, 0
	global_load_dwordx2 v[13:14], v12, s[44:45] offset:40
	global_load_dwordx4 v[0:3], v12, s[44:45]
	v_readfirstlane_b32 s10, v6
	v_readfirstlane_b32 s11, v7
	s_mov_b64 s[16:17], exec
	s_waitcnt vmcnt(1)
	v_readfirstlane_b32 s18, v13
	v_readfirstlane_b32 s19, v14
	s_and_b64 s[18:19], s[10:11], s[18:19]
	s_mul_i32 s15, s19, 24
	s_mul_hi_u32 s20, s18, 24
	s_mul_i32 s21, s18, 24
	s_add_i32 s15, s20, s15
	v_mov_b32_e32 v7, s15
	s_waitcnt vmcnt(0)
	v_add_co_u32_e32 v6, vcc, s21, v0
	v_addc_co_u32_e32 v7, vcc, v1, v7, vcc
	s_and_saveexec_b64 s[20:21], s[4:5]
	s_cbranch_execz .LBB10_401
; %bb.400:
	v_mov_b32_e32 v13, s16
	v_mov_b32_e32 v14, s17
	;; [unrolled: 1-line block ×4, first 2 shown]
	global_store_dwordx4 v[6:7], v[13:16], off offset:8
.LBB10_401:
	s_or_b64 exec, exec, s[20:21]
	s_lshl_b64 s[16:17], s[18:19], 12
	v_mov_b32_e32 v11, s17
	v_add_co_u32_e32 v2, vcc, s16, v2
	v_addc_co_u32_e32 v3, vcc, v3, v11, vcc
	s_movk_i32 s15, 0xff1d
	v_and_or_b32 v9, v9, s15, 34
	s_mov_b32 s16, 0
	v_mov_b32_e32 v11, 10
	v_readfirstlane_b32 s20, v2
	v_readfirstlane_b32 s21, v3
	s_mov_b32 s17, s16
	s_mov_b32 s18, s16
	s_mov_b32 s19, s16
	s_nop 1
	global_store_dwordx4 v50, v[9:12], s[20:21]
	s_nop 0
	v_mov_b32_e32 v9, s16
	v_mov_b32_e32 v10, s17
	;; [unrolled: 1-line block ×4, first 2 shown]
	global_store_dwordx4 v50, v[9:12], s[20:21] offset:16
	global_store_dwordx4 v50, v[9:12], s[20:21] offset:32
	global_store_dwordx4 v50, v[9:12], s[20:21] offset:48
	s_and_saveexec_b64 s[16:17], s[4:5]
	s_cbranch_execz .LBB10_409
; %bb.402:
	v_mov_b32_e32 v11, 0
	global_load_dwordx2 v[14:15], v11, s[44:45] offset:32 glc
	global_load_dwordx2 v[2:3], v11, s[44:45] offset:40
	v_mov_b32_e32 v12, s10
	v_mov_b32_e32 v13, s11
	s_waitcnt vmcnt(0)
	v_readfirstlane_b32 s18, v2
	v_readfirstlane_b32 s19, v3
	s_and_b64 s[18:19], s[18:19], s[10:11]
	s_mul_i32 s15, s19, 24
	s_mul_hi_u32 s19, s18, 24
	s_mul_i32 s18, s18, 24
	s_add_i32 s15, s19, s15
	v_mov_b32_e32 v2, s15
	v_add_co_u32_e32 v9, vcc, s18, v0
	v_addc_co_u32_e32 v10, vcc, v1, v2, vcc
	global_store_dwordx2 v[9:10], v[14:15], off
	s_waitcnt vmcnt(0)
	global_atomic_cmpswap_x2 v[2:3], v11, v[12:15], s[44:45] offset:32 glc
	s_waitcnt vmcnt(0)
	v_cmp_ne_u64_e32 vcc, v[2:3], v[14:15]
	s_and_saveexec_b64 s[18:19], vcc
	s_cbranch_execz .LBB10_405
; %bb.403:
	s_mov_b64 s[20:21], 0
.LBB10_404:                             ; =>This Inner Loop Header: Depth=1
	s_sleep 1
	global_store_dwordx2 v[9:10], v[2:3], off
	v_mov_b32_e32 v0, s10
	v_mov_b32_e32 v1, s11
	s_waitcnt vmcnt(0)
	global_atomic_cmpswap_x2 v[0:1], v11, v[0:3], s[44:45] offset:32 glc
	s_waitcnt vmcnt(0)
	v_cmp_eq_u64_e32 vcc, v[0:1], v[2:3]
	v_mov_b32_e32 v3, v1
	s_or_b64 s[20:21], vcc, s[20:21]
	v_mov_b32_e32 v2, v0
	s_andn2_b64 exec, exec, s[20:21]
	s_cbranch_execnz .LBB10_404
.LBB10_405:
	s_or_b64 exec, exec, s[18:19]
	v_mov_b32_e32 v3, 0
	global_load_dwordx2 v[0:1], v3, s[44:45] offset:16
	s_mov_b64 s[18:19], exec
	v_mbcnt_lo_u32_b32 v2, s18, 0
	v_mbcnt_hi_u32_b32 v2, s19, v2
	v_cmp_eq_u32_e32 vcc, 0, v2
	s_and_saveexec_b64 s[20:21], vcc
	s_cbranch_execz .LBB10_407
; %bb.406:
	s_bcnt1_i32_b64 s15, s[18:19]
	v_mov_b32_e32 v2, s15
	s_waitcnt vmcnt(0)
	global_atomic_add_x2 v[0:1], v[2:3], off offset:8
.LBB10_407:
	s_or_b64 exec, exec, s[20:21]
	s_waitcnt vmcnt(0)
	global_load_dwordx2 v[2:3], v[0:1], off offset:16
	s_waitcnt vmcnt(0)
	v_cmp_eq_u64_e32 vcc, 0, v[2:3]
	s_cbranch_vccnz .LBB10_409
; %bb.408:
	global_load_dword v0, v[0:1], off offset:24
	v_mov_b32_e32 v1, 0
	s_waitcnt vmcnt(0)
	global_store_dwordx2 v[2:3], v[0:1], off
	v_and_b32_e32 v0, 0xffffff, v0
	v_readfirstlane_b32 m0, v0
	s_sendmsg sendmsg(MSG_INTERRUPT)
.LBB10_409:
	s_or_b64 exec, exec, s[16:17]
	s_branch .LBB10_413
.LBB10_410:                             ;   in Loop: Header=BB10_413 Depth=1
	s_or_b64 exec, exec, s[16:17]
	v_readfirstlane_b32 s15, v0
	s_cmp_eq_u32 s15, 0
	s_cbranch_scc1 .LBB10_412
; %bb.411:                              ;   in Loop: Header=BB10_413 Depth=1
	s_sleep 1
	s_cbranch_execnz .LBB10_413
	s_branch .LBB10_415
.LBB10_412:
	s_branch .LBB10_415
.LBB10_413:                             ; =>This Inner Loop Header: Depth=1
	v_mov_b32_e32 v0, 1
	s_and_saveexec_b64 s[16:17], s[4:5]
	s_cbranch_execz .LBB10_410
; %bb.414:                              ;   in Loop: Header=BB10_413 Depth=1
	global_load_dword v0, v[6:7], off offset:20 glc
	s_waitcnt vmcnt(0)
	buffer_wbinvl1_vol
	v_and_b32_e32 v0, 1, v0
	s_branch .LBB10_410
.LBB10_415:
	s_and_saveexec_b64 s[16:17], s[4:5]
	s_cbranch_execz .LBB10_418
; %bb.416:
	v_mov_b32_e32 v9, 0
	global_load_dwordx2 v[2:3], v9, s[44:45] offset:40
	global_load_dwordx2 v[10:11], v9, s[44:45] offset:24 glc
	global_load_dwordx2 v[6:7], v9, s[44:45]
	v_mov_b32_e32 v1, s11
	s_mov_b64 s[4:5], 0
	s_waitcnt vmcnt(2)
	v_add_co_u32_e32 v12, vcc, 1, v2
	v_addc_co_u32_e32 v13, vcc, 0, v3, vcc
	v_add_co_u32_e32 v0, vcc, s10, v12
	v_addc_co_u32_e32 v1, vcc, v13, v1, vcc
	v_cmp_eq_u64_e32 vcc, 0, v[0:1]
	v_cndmask_b32_e32 v1, v1, v13, vcc
	v_cndmask_b32_e32 v0, v0, v12, vcc
	v_and_b32_e32 v3, v1, v3
	v_and_b32_e32 v2, v0, v2
	v_mul_lo_u32 v3, v3, 24
	v_mul_hi_u32 v12, v2, 24
	v_mul_lo_u32 v13, v2, 24
	s_waitcnt vmcnt(1)
	v_mov_b32_e32 v2, v10
	v_add_u32_e32 v3, v12, v3
	s_waitcnt vmcnt(0)
	v_add_co_u32_e32 v6, vcc, v6, v13
	v_addc_co_u32_e32 v7, vcc, v7, v3, vcc
	global_store_dwordx2 v[6:7], v[10:11], off
	v_mov_b32_e32 v3, v11
	s_waitcnt vmcnt(0)
	global_atomic_cmpswap_x2 v[2:3], v9, v[0:3], s[44:45] offset:24 glc
	s_waitcnt vmcnt(0)
	v_cmp_ne_u64_e32 vcc, v[2:3], v[10:11]
	s_and_b64 exec, exec, vcc
	s_cbranch_execz .LBB10_418
.LBB10_417:                             ; =>This Inner Loop Header: Depth=1
	s_sleep 1
	global_store_dwordx2 v[6:7], v[2:3], off
	s_waitcnt vmcnt(0)
	global_atomic_cmpswap_x2 v[10:11], v9, v[0:3], s[44:45] offset:24 glc
	s_waitcnt vmcnt(0)
	v_cmp_eq_u64_e32 vcc, v[10:11], v[2:3]
	v_mov_b32_e32 v2, v10
	s_or_b64 s[4:5], vcc, s[4:5]
	v_mov_b32_e32 v3, v11
	s_andn2_b64 exec, exec, s[4:5]
	s_cbranch_execnz .LBB10_417
.LBB10_418:
	s_or_b64 exec, exec, s[16:17]
	v_readfirstlane_b32 s4, v51
	v_mov_b32_e32 v6, 0
	v_mov_b32_e32 v7, 0
	v_cmp_eq_u32_e64 s[4:5], s4, v51
	s_and_saveexec_b64 s[10:11], s[4:5]
	s_cbranch_execz .LBB10_424
; %bb.419:
	v_mov_b32_e32 v0, 0
	global_load_dwordx2 v[11:12], v0, s[44:45] offset:24 glc
	s_waitcnt vmcnt(0)
	buffer_wbinvl1_vol
	global_load_dwordx2 v[1:2], v0, s[44:45] offset:40
	global_load_dwordx2 v[6:7], v0, s[44:45]
	s_waitcnt vmcnt(1)
	v_and_b32_e32 v1, v1, v11
	v_and_b32_e32 v2, v2, v12
	v_mul_lo_u32 v2, v2, 24
	v_mul_hi_u32 v3, v1, 24
	v_mul_lo_u32 v1, v1, 24
	v_add_u32_e32 v2, v3, v2
	s_waitcnt vmcnt(0)
	v_add_co_u32_e32 v1, vcc, v6, v1
	v_addc_co_u32_e32 v2, vcc, v7, v2, vcc
	global_load_dwordx2 v[9:10], v[1:2], off glc
	s_waitcnt vmcnt(0)
	global_atomic_cmpswap_x2 v[6:7], v0, v[9:12], s[44:45] offset:24 glc
	s_waitcnt vmcnt(0)
	buffer_wbinvl1_vol
	v_cmp_ne_u64_e32 vcc, v[6:7], v[11:12]
	s_and_saveexec_b64 s[16:17], vcc
	s_cbranch_execz .LBB10_423
; %bb.420:
	s_mov_b64 s[18:19], 0
.LBB10_421:                             ; =>This Inner Loop Header: Depth=1
	s_sleep 1
	global_load_dwordx2 v[1:2], v0, s[44:45] offset:40
	global_load_dwordx2 v[9:10], v0, s[44:45]
	v_mov_b32_e32 v12, v7
	v_mov_b32_e32 v11, v6
	s_waitcnt vmcnt(1)
	v_and_b32_e32 v1, v1, v11
	s_waitcnt vmcnt(0)
	v_mad_u64_u32 v[6:7], s[20:21], v1, 24, v[9:10]
	v_and_b32_e32 v2, v2, v12
	v_mov_b32_e32 v1, v7
	v_mad_u64_u32 v[1:2], s[20:21], v2, 24, v[1:2]
	v_mov_b32_e32 v7, v1
	global_load_dwordx2 v[9:10], v[6:7], off glc
	s_waitcnt vmcnt(0)
	global_atomic_cmpswap_x2 v[6:7], v0, v[9:12], s[44:45] offset:24 glc
	s_waitcnt vmcnt(0)
	buffer_wbinvl1_vol
	v_cmp_eq_u64_e32 vcc, v[6:7], v[11:12]
	s_or_b64 s[18:19], vcc, s[18:19]
	s_andn2_b64 exec, exec, s[18:19]
	s_cbranch_execnz .LBB10_421
; %bb.422:
	s_or_b64 exec, exec, s[18:19]
.LBB10_423:
	s_or_b64 exec, exec, s[16:17]
.LBB10_424:
	s_or_b64 exec, exec, s[10:11]
	v_mov_b32_e32 v10, 0
	global_load_dwordx2 v[11:12], v10, s[44:45] offset:40
	global_load_dwordx4 v[0:3], v10, s[44:45]
	v_readfirstlane_b32 s10, v6
	v_readfirstlane_b32 s11, v7
	s_mov_b64 s[16:17], exec
	s_waitcnt vmcnt(1)
	v_readfirstlane_b32 s18, v11
	v_readfirstlane_b32 s19, v12
	s_and_b64 s[18:19], s[10:11], s[18:19]
	s_mul_i32 s15, s19, 24
	s_mul_hi_u32 s20, s18, 24
	s_mul_i32 s21, s18, 24
	s_add_i32 s15, s20, s15
	v_mov_b32_e32 v7, s15
	s_waitcnt vmcnt(0)
	v_add_co_u32_e32 v6, vcc, s21, v0
	v_addc_co_u32_e32 v7, vcc, v1, v7, vcc
	s_and_saveexec_b64 s[20:21], s[4:5]
	s_cbranch_execz .LBB10_426
; %bb.425:
	v_mov_b32_e32 v11, s16
	v_mov_b32_e32 v12, s17
	;; [unrolled: 1-line block ×4, first 2 shown]
	global_store_dwordx4 v[6:7], v[11:14], off offset:8
.LBB10_426:
	s_or_b64 exec, exec, s[20:21]
	s_lshl_b64 s[16:17], s[18:19], 12
	v_mov_b32_e32 v9, s17
	v_add_co_u32_e32 v2, vcc, s16, v2
	v_addc_co_u32_e32 v3, vcc, v3, v9, vcc
	s_mov_b32 s16, 0
	v_mov_b32_e32 v9, 33
	v_mov_b32_e32 v11, v10
	;; [unrolled: 1-line block ×3, first 2 shown]
	v_readfirstlane_b32 s20, v2
	v_readfirstlane_b32 s21, v3
	v_add_co_u32_e32 v13, vcc, v2, v50
	s_mov_b32 s17, s16
	s_mov_b32 s18, s16
	;; [unrolled: 1-line block ×3, first 2 shown]
	s_nop 0
	global_store_dwordx4 v50, v[9:12], s[20:21]
	v_addc_co_u32_e32 v14, vcc, 0, v3, vcc
	v_mov_b32_e32 v9, s16
	v_mov_b32_e32 v10, s17
	;; [unrolled: 1-line block ×4, first 2 shown]
	global_store_dwordx4 v50, v[9:12], s[20:21] offset:16
	global_store_dwordx4 v50, v[9:12], s[20:21] offset:32
	;; [unrolled: 1-line block ×3, first 2 shown]
	s_and_saveexec_b64 s[16:17], s[4:5]
	s_cbranch_execz .LBB10_434
; %bb.427:
	v_mov_b32_e32 v11, 0
	global_load_dwordx2 v[17:18], v11, s[44:45] offset:32 glc
	global_load_dwordx2 v[2:3], v11, s[44:45] offset:40
	v_mov_b32_e32 v15, s10
	v_mov_b32_e32 v16, s11
	s_waitcnt vmcnt(0)
	v_readfirstlane_b32 s18, v2
	v_readfirstlane_b32 s19, v3
	s_and_b64 s[18:19], s[18:19], s[10:11]
	s_mul_i32 s15, s19, 24
	s_mul_hi_u32 s19, s18, 24
	s_mul_i32 s18, s18, 24
	s_add_i32 s15, s19, s15
	v_mov_b32_e32 v2, s15
	v_add_co_u32_e32 v9, vcc, s18, v0
	v_addc_co_u32_e32 v10, vcc, v1, v2, vcc
	global_store_dwordx2 v[9:10], v[17:18], off
	s_waitcnt vmcnt(0)
	global_atomic_cmpswap_x2 v[2:3], v11, v[15:18], s[44:45] offset:32 glc
	s_waitcnt vmcnt(0)
	v_cmp_ne_u64_e32 vcc, v[2:3], v[17:18]
	s_and_saveexec_b64 s[18:19], vcc
	s_cbranch_execz .LBB10_430
; %bb.428:
	s_mov_b64 s[20:21], 0
.LBB10_429:                             ; =>This Inner Loop Header: Depth=1
	s_sleep 1
	global_store_dwordx2 v[9:10], v[2:3], off
	v_mov_b32_e32 v0, s10
	v_mov_b32_e32 v1, s11
	s_waitcnt vmcnt(0)
	global_atomic_cmpswap_x2 v[0:1], v11, v[0:3], s[44:45] offset:32 glc
	s_waitcnt vmcnt(0)
	v_cmp_eq_u64_e32 vcc, v[0:1], v[2:3]
	v_mov_b32_e32 v3, v1
	s_or_b64 s[20:21], vcc, s[20:21]
	v_mov_b32_e32 v2, v0
	s_andn2_b64 exec, exec, s[20:21]
	s_cbranch_execnz .LBB10_429
.LBB10_430:
	s_or_b64 exec, exec, s[18:19]
	v_mov_b32_e32 v3, 0
	global_load_dwordx2 v[0:1], v3, s[44:45] offset:16
	s_mov_b64 s[18:19], exec
	v_mbcnt_lo_u32_b32 v2, s18, 0
	v_mbcnt_hi_u32_b32 v2, s19, v2
	v_cmp_eq_u32_e32 vcc, 0, v2
	s_and_saveexec_b64 s[20:21], vcc
	s_cbranch_execz .LBB10_432
; %bb.431:
	s_bcnt1_i32_b64 s15, s[18:19]
	v_mov_b32_e32 v2, s15
	s_waitcnt vmcnt(0)
	global_atomic_add_x2 v[0:1], v[2:3], off offset:8
.LBB10_432:
	s_or_b64 exec, exec, s[20:21]
	s_waitcnt vmcnt(0)
	global_load_dwordx2 v[2:3], v[0:1], off offset:16
	s_waitcnt vmcnt(0)
	v_cmp_eq_u64_e32 vcc, 0, v[2:3]
	s_cbranch_vccnz .LBB10_434
; %bb.433:
	global_load_dword v0, v[0:1], off offset:24
	v_mov_b32_e32 v1, 0
	s_waitcnt vmcnt(0)
	global_store_dwordx2 v[2:3], v[0:1], off
	v_and_b32_e32 v0, 0xffffff, v0
	v_readfirstlane_b32 m0, v0
	s_sendmsg sendmsg(MSG_INTERRUPT)
.LBB10_434:
	s_or_b64 exec, exec, s[16:17]
	s_branch .LBB10_438
.LBB10_435:                             ;   in Loop: Header=BB10_438 Depth=1
	s_or_b64 exec, exec, s[16:17]
	v_readfirstlane_b32 s15, v0
	s_cmp_eq_u32 s15, 0
	s_cbranch_scc1 .LBB10_437
; %bb.436:                              ;   in Loop: Header=BB10_438 Depth=1
	s_sleep 1
	s_cbranch_execnz .LBB10_438
	s_branch .LBB10_440
.LBB10_437:
	s_branch .LBB10_440
.LBB10_438:                             ; =>This Inner Loop Header: Depth=1
	v_mov_b32_e32 v0, 1
	s_and_saveexec_b64 s[16:17], s[4:5]
	s_cbranch_execz .LBB10_435
; %bb.439:                              ;   in Loop: Header=BB10_438 Depth=1
	global_load_dword v0, v[6:7], off offset:20 glc
	s_waitcnt vmcnt(0)
	buffer_wbinvl1_vol
	v_and_b32_e32 v0, 1, v0
	s_branch .LBB10_435
.LBB10_440:
	global_load_dwordx2 v[9:10], v[13:14], off
	s_and_saveexec_b64 s[16:17], s[4:5]
	s_cbranch_execz .LBB10_443
; %bb.441:
	v_mov_b32_e32 v11, 0
	global_load_dwordx2 v[2:3], v11, s[44:45] offset:40
	global_load_dwordx2 v[12:13], v11, s[44:45] offset:24 glc
	global_load_dwordx2 v[6:7], v11, s[44:45]
	v_mov_b32_e32 v1, s11
	s_mov_b64 s[4:5], 0
	s_waitcnt vmcnt(2)
	v_add_co_u32_e32 v14, vcc, 1, v2
	v_addc_co_u32_e32 v15, vcc, 0, v3, vcc
	v_add_co_u32_e32 v0, vcc, s10, v14
	v_addc_co_u32_e32 v1, vcc, v15, v1, vcc
	v_cmp_eq_u64_e32 vcc, 0, v[0:1]
	v_cndmask_b32_e32 v1, v1, v15, vcc
	v_cndmask_b32_e32 v0, v0, v14, vcc
	v_and_b32_e32 v3, v1, v3
	v_and_b32_e32 v2, v0, v2
	v_mul_lo_u32 v3, v3, 24
	v_mul_hi_u32 v14, v2, 24
	v_mul_lo_u32 v15, v2, 24
	s_waitcnt vmcnt(1)
	v_mov_b32_e32 v2, v12
	v_add_u32_e32 v3, v14, v3
	s_waitcnt vmcnt(0)
	v_add_co_u32_e32 v6, vcc, v6, v15
	v_addc_co_u32_e32 v7, vcc, v7, v3, vcc
	global_store_dwordx2 v[6:7], v[12:13], off
	v_mov_b32_e32 v3, v13
	s_waitcnt vmcnt(0)
	global_atomic_cmpswap_x2 v[2:3], v11, v[0:3], s[44:45] offset:24 glc
	s_waitcnt vmcnt(0)
	v_cmp_ne_u64_e32 vcc, v[2:3], v[12:13]
	s_and_b64 exec, exec, vcc
	s_cbranch_execz .LBB10_443
.LBB10_442:                             ; =>This Inner Loop Header: Depth=1
	s_sleep 1
	global_store_dwordx2 v[6:7], v[2:3], off
	s_waitcnt vmcnt(0)
	global_atomic_cmpswap_x2 v[12:13], v11, v[0:3], s[44:45] offset:24 glc
	s_waitcnt vmcnt(0)
	v_cmp_eq_u64_e32 vcc, v[12:13], v[2:3]
	v_mov_b32_e32 v2, v12
	s_or_b64 s[4:5], vcc, s[4:5]
	v_mov_b32_e32 v3, v13
	s_andn2_b64 exec, exec, s[4:5]
	s_cbranch_execnz .LBB10_442
.LBB10_443:
	s_or_b64 exec, exec, s[16:17]
	s_and_b64 vcc, exec, s[6:7]
	s_cbranch_vccz .LBB10_528
; %bb.444:
	s_waitcnt vmcnt(0)
	v_and_b32_e32 v33, 2, v9
	v_mov_b32_e32 v7, 0
	v_and_b32_e32 v0, -3, v9
	v_mov_b32_e32 v1, v10
	s_mov_b64 s[16:17], 3
	v_mov_b32_e32 v13, 2
	v_mov_b32_e32 v14, 1
	s_getpc_b64 s[10:11]
	s_add_u32 s10, s10, .str.7@rel32@lo+4
	s_addc_u32 s11, s11, .str.7@rel32@hi+12
	s_branch .LBB10_446
.LBB10_445:                             ;   in Loop: Header=BB10_446 Depth=1
	s_or_b64 exec, exec, s[22:23]
	s_sub_u32 s16, s16, s18
	s_subb_u32 s17, s17, s19
	s_add_u32 s10, s10, s18
	s_addc_u32 s11, s11, s19
	s_cmp_lg_u64 s[16:17], 0
	s_cbranch_scc0 .LBB10_527
.LBB10_446:                             ; =>This Loop Header: Depth=1
                                        ;     Child Loop BB10_449 Depth 2
                                        ;     Child Loop BB10_456 Depth 2
	;; [unrolled: 1-line block ×11, first 2 shown]
	v_cmp_lt_u64_e64 s[4:5], s[16:17], 56
	v_cmp_gt_u64_e64 s[20:21], s[16:17], 7
	s_and_b64 s[4:5], s[4:5], exec
	s_cselect_b32 s19, s17, 0
	s_cselect_b32 s18, s16, 56
	s_and_b64 vcc, exec, s[20:21]
	s_cbranch_vccnz .LBB10_451
; %bb.447:                              ;   in Loop: Header=BB10_446 Depth=1
	s_waitcnt vmcnt(0)
	v_mov_b32_e32 v2, 0
	s_cmp_eq_u64 s[16:17], 0
	v_mov_b32_e32 v3, 0
	s_mov_b64 s[4:5], 0
	s_cbranch_scc1 .LBB10_450
; %bb.448:                              ;   in Loop: Header=BB10_446 Depth=1
	v_mov_b32_e32 v2, 0
	s_lshl_b64 s[20:21], s[18:19], 3
	s_mov_b64 s[22:23], 0
	v_mov_b32_e32 v3, 0
	s_mov_b64 s[24:25], s[10:11]
.LBB10_449:                             ;   Parent Loop BB10_446 Depth=1
                                        ; =>  This Inner Loop Header: Depth=2
	global_load_ubyte v6, v7, s[24:25]
	s_waitcnt vmcnt(0)
	v_and_b32_e32 v6, 0xffff, v6
	v_lshlrev_b64 v[11:12], s22, v[6:7]
	s_add_u32 s22, s22, 8
	s_addc_u32 s23, s23, 0
	s_add_u32 s24, s24, 1
	s_addc_u32 s25, s25, 0
	v_or_b32_e32 v2, v11, v2
	s_cmp_lg_u32 s20, s22
	v_or_b32_e32 v3, v12, v3
	s_cbranch_scc1 .LBB10_449
.LBB10_450:                             ;   in Loop: Header=BB10_446 Depth=1
	s_mov_b32 s15, 0
	s_andn2_b64 vcc, exec, s[4:5]
	s_mov_b64 s[4:5], s[10:11]
	s_cbranch_vccz .LBB10_452
	s_branch .LBB10_453
.LBB10_451:                             ;   in Loop: Header=BB10_446 Depth=1
                                        ; implicit-def: $vgpr2_vgpr3
                                        ; implicit-def: $sgpr15
	s_mov_b64 s[4:5], s[10:11]
.LBB10_452:                             ;   in Loop: Header=BB10_446 Depth=1
	global_load_dwordx2 v[2:3], v7, s[10:11]
	s_add_i32 s15, s18, -8
	s_add_u32 s4, s10, 8
	s_addc_u32 s5, s11, 0
.LBB10_453:                             ;   in Loop: Header=BB10_446 Depth=1
	s_cmp_gt_u32 s15, 7
	s_cbranch_scc1 .LBB10_457
; %bb.454:                              ;   in Loop: Header=BB10_446 Depth=1
	s_cmp_eq_u32 s15, 0
	s_cbranch_scc1 .LBB10_458
; %bb.455:                              ;   in Loop: Header=BB10_446 Depth=1
	v_mov_b32_e32 v15, 0
	s_mov_b64 s[20:21], 0
	v_mov_b32_e32 v16, 0
	s_mov_b64 s[22:23], 0
.LBB10_456:                             ;   Parent Loop BB10_446 Depth=1
                                        ; =>  This Inner Loop Header: Depth=2
	s_add_u32 s24, s4, s22
	s_addc_u32 s25, s5, s23
	global_load_ubyte v6, v7, s[24:25]
	s_add_u32 s22, s22, 1
	s_addc_u32 s23, s23, 0
	s_waitcnt vmcnt(0)
	v_and_b32_e32 v6, 0xffff, v6
	v_lshlrev_b64 v[11:12], s20, v[6:7]
	s_add_u32 s20, s20, 8
	s_addc_u32 s21, s21, 0
	v_or_b32_e32 v15, v11, v15
	s_cmp_lg_u32 s15, s22
	v_or_b32_e32 v16, v12, v16
	s_cbranch_scc1 .LBB10_456
	s_branch .LBB10_459
.LBB10_457:                             ;   in Loop: Header=BB10_446 Depth=1
                                        ; implicit-def: $vgpr15_vgpr16
                                        ; implicit-def: $sgpr24
	s_branch .LBB10_460
.LBB10_458:                             ;   in Loop: Header=BB10_446 Depth=1
	v_mov_b32_e32 v15, 0
	v_mov_b32_e32 v16, 0
.LBB10_459:                             ;   in Loop: Header=BB10_446 Depth=1
	s_mov_b32 s24, 0
	s_cbranch_execnz .LBB10_461
.LBB10_460:                             ;   in Loop: Header=BB10_446 Depth=1
	global_load_dwordx2 v[15:16], v7, s[4:5]
	s_add_i32 s24, s15, -8
	s_add_u32 s4, s4, 8
	s_addc_u32 s5, s5, 0
.LBB10_461:                             ;   in Loop: Header=BB10_446 Depth=1
	s_cmp_gt_u32 s24, 7
	s_cbranch_scc1 .LBB10_465
; %bb.462:                              ;   in Loop: Header=BB10_446 Depth=1
	s_cmp_eq_u32 s24, 0
	s_cbranch_scc1 .LBB10_466
; %bb.463:                              ;   in Loop: Header=BB10_446 Depth=1
	v_mov_b32_e32 v17, 0
	s_mov_b64 s[20:21], 0
	v_mov_b32_e32 v18, 0
	s_mov_b64 s[22:23], 0
.LBB10_464:                             ;   Parent Loop BB10_446 Depth=1
                                        ; =>  This Inner Loop Header: Depth=2
	s_add_u32 s26, s4, s22
	s_addc_u32 s27, s5, s23
	global_load_ubyte v6, v7, s[26:27]
	s_add_u32 s22, s22, 1
	s_addc_u32 s23, s23, 0
	s_waitcnt vmcnt(0)
	v_and_b32_e32 v6, 0xffff, v6
	v_lshlrev_b64 v[11:12], s20, v[6:7]
	s_add_u32 s20, s20, 8
	s_addc_u32 s21, s21, 0
	v_or_b32_e32 v17, v11, v17
	s_cmp_lg_u32 s24, s22
	v_or_b32_e32 v18, v12, v18
	s_cbranch_scc1 .LBB10_464
	s_branch .LBB10_467
.LBB10_465:                             ;   in Loop: Header=BB10_446 Depth=1
                                        ; implicit-def: $sgpr15
	s_branch .LBB10_468
.LBB10_466:                             ;   in Loop: Header=BB10_446 Depth=1
	v_mov_b32_e32 v17, 0
	v_mov_b32_e32 v18, 0
.LBB10_467:                             ;   in Loop: Header=BB10_446 Depth=1
	s_mov_b32 s15, 0
	s_cbranch_execnz .LBB10_469
.LBB10_468:                             ;   in Loop: Header=BB10_446 Depth=1
	global_load_dwordx2 v[17:18], v7, s[4:5]
	s_add_i32 s15, s24, -8
	s_add_u32 s4, s4, 8
	s_addc_u32 s5, s5, 0
.LBB10_469:                             ;   in Loop: Header=BB10_446 Depth=1
	s_cmp_gt_u32 s15, 7
	s_cbranch_scc1 .LBB10_473
; %bb.470:                              ;   in Loop: Header=BB10_446 Depth=1
	s_cmp_eq_u32 s15, 0
	s_cbranch_scc1 .LBB10_474
; %bb.471:                              ;   in Loop: Header=BB10_446 Depth=1
	v_mov_b32_e32 v19, 0
	s_mov_b64 s[20:21], 0
	v_mov_b32_e32 v20, 0
	s_mov_b64 s[22:23], 0
.LBB10_472:                             ;   Parent Loop BB10_446 Depth=1
                                        ; =>  This Inner Loop Header: Depth=2
	s_add_u32 s24, s4, s22
	s_addc_u32 s25, s5, s23
	global_load_ubyte v6, v7, s[24:25]
	s_add_u32 s22, s22, 1
	s_addc_u32 s23, s23, 0
	s_waitcnt vmcnt(0)
	v_and_b32_e32 v6, 0xffff, v6
	v_lshlrev_b64 v[11:12], s20, v[6:7]
	s_add_u32 s20, s20, 8
	s_addc_u32 s21, s21, 0
	v_or_b32_e32 v19, v11, v19
	s_cmp_lg_u32 s15, s22
	v_or_b32_e32 v20, v12, v20
	s_cbranch_scc1 .LBB10_472
	s_branch .LBB10_475
.LBB10_473:                             ;   in Loop: Header=BB10_446 Depth=1
                                        ; implicit-def: $vgpr19_vgpr20
                                        ; implicit-def: $sgpr24
	s_branch .LBB10_476
.LBB10_474:                             ;   in Loop: Header=BB10_446 Depth=1
	v_mov_b32_e32 v19, 0
	v_mov_b32_e32 v20, 0
.LBB10_475:                             ;   in Loop: Header=BB10_446 Depth=1
	s_mov_b32 s24, 0
	s_cbranch_execnz .LBB10_477
.LBB10_476:                             ;   in Loop: Header=BB10_446 Depth=1
	global_load_dwordx2 v[19:20], v7, s[4:5]
	s_add_i32 s24, s15, -8
	s_add_u32 s4, s4, 8
	s_addc_u32 s5, s5, 0
.LBB10_477:                             ;   in Loop: Header=BB10_446 Depth=1
	s_cmp_gt_u32 s24, 7
	s_cbranch_scc1 .LBB10_481
; %bb.478:                              ;   in Loop: Header=BB10_446 Depth=1
	s_cmp_eq_u32 s24, 0
	s_cbranch_scc1 .LBB10_482
; %bb.479:                              ;   in Loop: Header=BB10_446 Depth=1
	v_mov_b32_e32 v21, 0
	s_mov_b64 s[20:21], 0
	v_mov_b32_e32 v22, 0
	s_mov_b64 s[22:23], 0
.LBB10_480:                             ;   Parent Loop BB10_446 Depth=1
                                        ; =>  This Inner Loop Header: Depth=2
	s_add_u32 s26, s4, s22
	s_addc_u32 s27, s5, s23
	global_load_ubyte v6, v7, s[26:27]
	s_add_u32 s22, s22, 1
	s_addc_u32 s23, s23, 0
	s_waitcnt vmcnt(0)
	v_and_b32_e32 v6, 0xffff, v6
	v_lshlrev_b64 v[11:12], s20, v[6:7]
	s_add_u32 s20, s20, 8
	s_addc_u32 s21, s21, 0
	v_or_b32_e32 v21, v11, v21
	s_cmp_lg_u32 s24, s22
	v_or_b32_e32 v22, v12, v22
	s_cbranch_scc1 .LBB10_480
	s_branch .LBB10_483
.LBB10_481:                             ;   in Loop: Header=BB10_446 Depth=1
                                        ; implicit-def: $sgpr15
	s_branch .LBB10_484
.LBB10_482:                             ;   in Loop: Header=BB10_446 Depth=1
	v_mov_b32_e32 v21, 0
	v_mov_b32_e32 v22, 0
.LBB10_483:                             ;   in Loop: Header=BB10_446 Depth=1
	s_mov_b32 s15, 0
	s_cbranch_execnz .LBB10_485
.LBB10_484:                             ;   in Loop: Header=BB10_446 Depth=1
	global_load_dwordx2 v[21:22], v7, s[4:5]
	s_add_i32 s15, s24, -8
	s_add_u32 s4, s4, 8
	s_addc_u32 s5, s5, 0
.LBB10_485:                             ;   in Loop: Header=BB10_446 Depth=1
	s_cmp_gt_u32 s15, 7
	s_cbranch_scc1 .LBB10_489
; %bb.486:                              ;   in Loop: Header=BB10_446 Depth=1
	s_cmp_eq_u32 s15, 0
	s_cbranch_scc1 .LBB10_490
; %bb.487:                              ;   in Loop: Header=BB10_446 Depth=1
	v_mov_b32_e32 v23, 0
	s_mov_b64 s[20:21], 0
	v_mov_b32_e32 v24, 0
	s_mov_b64 s[22:23], 0
.LBB10_488:                             ;   Parent Loop BB10_446 Depth=1
                                        ; =>  This Inner Loop Header: Depth=2
	s_add_u32 s24, s4, s22
	s_addc_u32 s25, s5, s23
	global_load_ubyte v6, v7, s[24:25]
	s_add_u32 s22, s22, 1
	s_addc_u32 s23, s23, 0
	s_waitcnt vmcnt(0)
	v_and_b32_e32 v6, 0xffff, v6
	v_lshlrev_b64 v[11:12], s20, v[6:7]
	s_add_u32 s20, s20, 8
	s_addc_u32 s21, s21, 0
	v_or_b32_e32 v23, v11, v23
	s_cmp_lg_u32 s15, s22
	v_or_b32_e32 v24, v12, v24
	s_cbranch_scc1 .LBB10_488
	s_branch .LBB10_491
.LBB10_489:                             ;   in Loop: Header=BB10_446 Depth=1
                                        ; implicit-def: $vgpr23_vgpr24
                                        ; implicit-def: $sgpr24
	s_branch .LBB10_492
.LBB10_490:                             ;   in Loop: Header=BB10_446 Depth=1
	v_mov_b32_e32 v23, 0
	v_mov_b32_e32 v24, 0
.LBB10_491:                             ;   in Loop: Header=BB10_446 Depth=1
	s_mov_b32 s24, 0
	s_cbranch_execnz .LBB10_493
.LBB10_492:                             ;   in Loop: Header=BB10_446 Depth=1
	global_load_dwordx2 v[23:24], v7, s[4:5]
	s_add_i32 s24, s15, -8
	s_add_u32 s4, s4, 8
	s_addc_u32 s5, s5, 0
.LBB10_493:                             ;   in Loop: Header=BB10_446 Depth=1
	s_cmp_gt_u32 s24, 7
	s_cbranch_scc1 .LBB10_497
; %bb.494:                              ;   in Loop: Header=BB10_446 Depth=1
	s_cmp_eq_u32 s24, 0
	s_cbranch_scc1 .LBB10_498
; %bb.495:                              ;   in Loop: Header=BB10_446 Depth=1
	v_mov_b32_e32 v25, 0
	s_mov_b64 s[20:21], 0
	v_mov_b32_e32 v26, 0
	s_mov_b64 s[22:23], s[4:5]
.LBB10_496:                             ;   Parent Loop BB10_446 Depth=1
                                        ; =>  This Inner Loop Header: Depth=2
	global_load_ubyte v6, v7, s[22:23]
	s_add_i32 s24, s24, -1
	s_waitcnt vmcnt(0)
	v_and_b32_e32 v6, 0xffff, v6
	v_lshlrev_b64 v[11:12], s20, v[6:7]
	s_add_u32 s20, s20, 8
	s_addc_u32 s21, s21, 0
	s_add_u32 s22, s22, 1
	s_addc_u32 s23, s23, 0
	v_or_b32_e32 v25, v11, v25
	s_cmp_lg_u32 s24, 0
	v_or_b32_e32 v26, v12, v26
	s_cbranch_scc1 .LBB10_496
	s_branch .LBB10_499
.LBB10_497:                             ;   in Loop: Header=BB10_446 Depth=1
	s_branch .LBB10_500
.LBB10_498:                             ;   in Loop: Header=BB10_446 Depth=1
	v_mov_b32_e32 v25, 0
	v_mov_b32_e32 v26, 0
.LBB10_499:                             ;   in Loop: Header=BB10_446 Depth=1
	s_cbranch_execnz .LBB10_501
.LBB10_500:                             ;   in Loop: Header=BB10_446 Depth=1
	global_load_dwordx2 v[25:26], v7, s[4:5]
.LBB10_501:                             ;   in Loop: Header=BB10_446 Depth=1
	v_readfirstlane_b32 s4, v51
	v_mov_b32_e32 v11, 0
	v_mov_b32_e32 v12, 0
	v_cmp_eq_u32_e64 s[4:5], s4, v51
	s_and_saveexec_b64 s[20:21], s[4:5]
	s_cbranch_execz .LBB10_507
; %bb.502:                              ;   in Loop: Header=BB10_446 Depth=1
	global_load_dwordx2 v[29:30], v7, s[44:45] offset:24 glc
	s_waitcnt vmcnt(0)
	buffer_wbinvl1_vol
	global_load_dwordx2 v[11:12], v7, s[44:45] offset:40
	global_load_dwordx2 v[27:28], v7, s[44:45]
	s_waitcnt vmcnt(1)
	v_and_b32_e32 v6, v11, v29
	v_and_b32_e32 v11, v12, v30
	v_mul_lo_u32 v11, v11, 24
	v_mul_hi_u32 v12, v6, 24
	v_mul_lo_u32 v6, v6, 24
	v_add_u32_e32 v12, v12, v11
	s_waitcnt vmcnt(0)
	v_add_co_u32_e32 v11, vcc, v27, v6
	v_addc_co_u32_e32 v12, vcc, v28, v12, vcc
	global_load_dwordx2 v[27:28], v[11:12], off glc
	s_waitcnt vmcnt(0)
	global_atomic_cmpswap_x2 v[11:12], v7, v[27:30], s[44:45] offset:24 glc
	s_waitcnt vmcnt(0)
	buffer_wbinvl1_vol
	v_cmp_ne_u64_e32 vcc, v[11:12], v[29:30]
	s_and_saveexec_b64 s[22:23], vcc
	s_cbranch_execz .LBB10_506
; %bb.503:                              ;   in Loop: Header=BB10_446 Depth=1
	s_mov_b64 s[24:25], 0
.LBB10_504:                             ;   Parent Loop BB10_446 Depth=1
                                        ; =>  This Inner Loop Header: Depth=2
	s_sleep 1
	global_load_dwordx2 v[27:28], v7, s[44:45] offset:40
	global_load_dwordx2 v[31:32], v7, s[44:45]
	v_mov_b32_e32 v30, v12
	v_mov_b32_e32 v29, v11
	s_waitcnt vmcnt(1)
	v_and_b32_e32 v6, v27, v29
	s_waitcnt vmcnt(0)
	v_mad_u64_u32 v[11:12], s[26:27], v6, 24, v[31:32]
	v_and_b32_e32 v27, v28, v30
	v_mov_b32_e32 v6, v12
	v_mad_u64_u32 v[27:28], s[26:27], v27, 24, v[6:7]
	v_mov_b32_e32 v12, v27
	global_load_dwordx2 v[27:28], v[11:12], off glc
	s_waitcnt vmcnt(0)
	global_atomic_cmpswap_x2 v[11:12], v7, v[27:30], s[44:45] offset:24 glc
	s_waitcnt vmcnt(0)
	buffer_wbinvl1_vol
	v_cmp_eq_u64_e32 vcc, v[11:12], v[29:30]
	s_or_b64 s[24:25], vcc, s[24:25]
	s_andn2_b64 exec, exec, s[24:25]
	s_cbranch_execnz .LBB10_504
; %bb.505:                              ;   in Loop: Header=BB10_446 Depth=1
	s_or_b64 exec, exec, s[24:25]
.LBB10_506:                             ;   in Loop: Header=BB10_446 Depth=1
	s_or_b64 exec, exec, s[22:23]
.LBB10_507:                             ;   in Loop: Header=BB10_446 Depth=1
	s_or_b64 exec, exec, s[20:21]
	global_load_dwordx2 v[31:32], v7, s[44:45] offset:40
	global_load_dwordx4 v[27:30], v7, s[44:45]
	v_readfirstlane_b32 s20, v11
	v_readfirstlane_b32 s21, v12
	s_mov_b64 s[22:23], exec
	s_waitcnt vmcnt(1)
	v_readfirstlane_b32 s24, v31
	v_readfirstlane_b32 s25, v32
	s_and_b64 s[24:25], s[20:21], s[24:25]
	s_mul_i32 s15, s25, 24
	s_mul_hi_u32 s26, s24, 24
	s_mul_i32 s27, s24, 24
	s_add_i32 s15, s26, s15
	v_mov_b32_e32 v6, s15
	s_waitcnt vmcnt(0)
	v_add_co_u32_e32 v31, vcc, s27, v27
	v_addc_co_u32_e32 v32, vcc, v28, v6, vcc
	s_and_saveexec_b64 s[26:27], s[4:5]
	s_cbranch_execz .LBB10_509
; %bb.508:                              ;   in Loop: Header=BB10_446 Depth=1
	v_mov_b32_e32 v11, s22
	v_mov_b32_e32 v12, s23
	global_store_dwordx4 v[31:32], v[11:14], off offset:8
.LBB10_509:                             ;   in Loop: Header=BB10_446 Depth=1
	s_or_b64 exec, exec, s[26:27]
	s_lshl_b64 s[22:23], s[24:25], 12
	v_mov_b32_e32 v6, s23
	v_add_co_u32_e32 v29, vcc, s22, v29
	v_addc_co_u32_e32 v30, vcc, v30, v6, vcc
	v_cmp_gt_u64_e64 vcc, s[16:17], 56
	v_or_b32_e32 v11, v0, v33
	s_lshl_b32 s15, s18, 2
	v_cndmask_b32_e32 v0, v11, v0, vcc
	s_add_i32 s15, s15, 28
	v_or_b32_e32 v6, 0, v1
	s_and_b32 s15, s15, 0x1e0
	v_and_b32_e32 v0, 0xffffff1f, v0
	v_cndmask_b32_e32 v1, v6, v1, vcc
	v_or_b32_e32 v0, s15, v0
	v_readfirstlane_b32 s22, v29
	v_readfirstlane_b32 s23, v30
	s_nop 4
	global_store_dwordx4 v50, v[0:3], s[22:23]
	global_store_dwordx4 v50, v[15:18], s[22:23] offset:16
	global_store_dwordx4 v50, v[19:22], s[22:23] offset:32
	;; [unrolled: 1-line block ×3, first 2 shown]
	s_and_saveexec_b64 s[22:23], s[4:5]
	s_cbranch_execz .LBB10_517
; %bb.510:                              ;   in Loop: Header=BB10_446 Depth=1
	global_load_dwordx2 v[17:18], v7, s[44:45] offset:32 glc
	global_load_dwordx2 v[0:1], v7, s[44:45] offset:40
	v_mov_b32_e32 v15, s20
	v_mov_b32_e32 v16, s21
	s_waitcnt vmcnt(0)
	v_readfirstlane_b32 s24, v0
	v_readfirstlane_b32 s25, v1
	s_and_b64 s[24:25], s[24:25], s[20:21]
	s_mul_i32 s15, s25, 24
	s_mul_hi_u32 s25, s24, 24
	s_mul_i32 s24, s24, 24
	s_add_i32 s15, s25, s15
	v_mov_b32_e32 v0, s15
	v_add_co_u32_e32 v11, vcc, s24, v27
	v_addc_co_u32_e32 v12, vcc, v28, v0, vcc
	global_store_dwordx2 v[11:12], v[17:18], off
	s_waitcnt vmcnt(0)
	global_atomic_cmpswap_x2 v[2:3], v7, v[15:18], s[44:45] offset:32 glc
	s_waitcnt vmcnt(0)
	v_cmp_ne_u64_e32 vcc, v[2:3], v[17:18]
	s_and_saveexec_b64 s[24:25], vcc
	s_cbranch_execz .LBB10_513
; %bb.511:                              ;   in Loop: Header=BB10_446 Depth=1
	s_mov_b64 s[26:27], 0
.LBB10_512:                             ;   Parent Loop BB10_446 Depth=1
                                        ; =>  This Inner Loop Header: Depth=2
	s_sleep 1
	global_store_dwordx2 v[11:12], v[2:3], off
	v_mov_b32_e32 v0, s20
	v_mov_b32_e32 v1, s21
	s_waitcnt vmcnt(0)
	global_atomic_cmpswap_x2 v[0:1], v7, v[0:3], s[44:45] offset:32 glc
	s_waitcnt vmcnt(0)
	v_cmp_eq_u64_e32 vcc, v[0:1], v[2:3]
	v_mov_b32_e32 v3, v1
	s_or_b64 s[26:27], vcc, s[26:27]
	v_mov_b32_e32 v2, v0
	s_andn2_b64 exec, exec, s[26:27]
	s_cbranch_execnz .LBB10_512
.LBB10_513:                             ;   in Loop: Header=BB10_446 Depth=1
	s_or_b64 exec, exec, s[24:25]
	global_load_dwordx2 v[0:1], v7, s[44:45] offset:16
	s_mov_b64 s[26:27], exec
	v_mbcnt_lo_u32_b32 v2, s26, 0
	v_mbcnt_hi_u32_b32 v2, s27, v2
	v_cmp_eq_u32_e32 vcc, 0, v2
	s_and_saveexec_b64 s[24:25], vcc
	s_cbranch_execz .LBB10_515
; %bb.514:                              ;   in Loop: Header=BB10_446 Depth=1
	s_bcnt1_i32_b64 s15, s[26:27]
	v_mov_b32_e32 v6, s15
	s_waitcnt vmcnt(0)
	global_atomic_add_x2 v[0:1], v[6:7], off offset:8
.LBB10_515:                             ;   in Loop: Header=BB10_446 Depth=1
	s_or_b64 exec, exec, s[24:25]
	s_waitcnt vmcnt(0)
	global_load_dwordx2 v[2:3], v[0:1], off offset:16
	s_waitcnt vmcnt(0)
	v_cmp_eq_u64_e32 vcc, 0, v[2:3]
	s_cbranch_vccnz .LBB10_517
; %bb.516:                              ;   in Loop: Header=BB10_446 Depth=1
	global_load_dword v6, v[0:1], off offset:24
	s_waitcnt vmcnt(0)
	v_and_b32_e32 v0, 0xffffff, v6
	v_readfirstlane_b32 m0, v0
	global_store_dwordx2 v[2:3], v[6:7], off
	s_sendmsg sendmsg(MSG_INTERRUPT)
.LBB10_517:                             ;   in Loop: Header=BB10_446 Depth=1
	s_or_b64 exec, exec, s[22:23]
	v_add_co_u32_e32 v0, vcc, v29, v50
	v_addc_co_u32_e32 v1, vcc, 0, v30, vcc
	s_branch .LBB10_521
.LBB10_518:                             ;   in Loop: Header=BB10_521 Depth=2
	s_or_b64 exec, exec, s[22:23]
	v_readfirstlane_b32 s15, v2
	s_cmp_eq_u32 s15, 0
	s_cbranch_scc1 .LBB10_520
; %bb.519:                              ;   in Loop: Header=BB10_521 Depth=2
	s_sleep 1
	s_cbranch_execnz .LBB10_521
	s_branch .LBB10_523
.LBB10_520:                             ;   in Loop: Header=BB10_446 Depth=1
	s_branch .LBB10_523
.LBB10_521:                             ;   Parent Loop BB10_446 Depth=1
                                        ; =>  This Inner Loop Header: Depth=2
	v_mov_b32_e32 v2, 1
	s_and_saveexec_b64 s[22:23], s[4:5]
	s_cbranch_execz .LBB10_518
; %bb.522:                              ;   in Loop: Header=BB10_521 Depth=2
	global_load_dword v2, v[31:32], off offset:20 glc
	s_waitcnt vmcnt(0)
	buffer_wbinvl1_vol
	v_and_b32_e32 v2, 1, v2
	s_branch .LBB10_518
.LBB10_523:                             ;   in Loop: Header=BB10_446 Depth=1
	global_load_dwordx4 v[0:3], v[0:1], off
	s_and_saveexec_b64 s[22:23], s[4:5]
	s_cbranch_execz .LBB10_445
; %bb.524:                              ;   in Loop: Header=BB10_446 Depth=1
	global_load_dwordx2 v[2:3], v7, s[44:45] offset:40
	global_load_dwordx2 v[11:12], v7, s[44:45] offset:24 glc
	global_load_dwordx2 v[18:19], v7, s[44:45]
	v_mov_b32_e32 v6, s21
	s_waitcnt vmcnt(2)
	v_add_co_u32_e32 v17, vcc, 1, v2
	v_addc_co_u32_e32 v20, vcc, 0, v3, vcc
	v_add_co_u32_e32 v15, vcc, s20, v17
	v_addc_co_u32_e32 v16, vcc, v20, v6, vcc
	v_cmp_eq_u64_e32 vcc, 0, v[15:16]
	v_cndmask_b32_e32 v16, v16, v20, vcc
	v_cndmask_b32_e32 v15, v15, v17, vcc
	v_and_b32_e32 v3, v16, v3
	v_and_b32_e32 v2, v15, v2
	v_mul_lo_u32 v3, v3, 24
	v_mul_hi_u32 v6, v2, 24
	v_mul_lo_u32 v2, v2, 24
	s_waitcnt vmcnt(1)
	v_mov_b32_e32 v17, v11
	v_add_u32_e32 v3, v6, v3
	s_waitcnt vmcnt(0)
	v_add_co_u32_e32 v2, vcc, v18, v2
	v_addc_co_u32_e32 v3, vcc, v19, v3, vcc
	global_store_dwordx2 v[2:3], v[11:12], off
	v_mov_b32_e32 v18, v12
	s_waitcnt vmcnt(0)
	global_atomic_cmpswap_x2 v[17:18], v7, v[15:18], s[44:45] offset:24 glc
	s_waitcnt vmcnt(0)
	v_cmp_ne_u64_e32 vcc, v[17:18], v[11:12]
	s_and_b64 exec, exec, vcc
	s_cbranch_execz .LBB10_445
; %bb.525:                              ;   in Loop: Header=BB10_446 Depth=1
	s_mov_b64 s[4:5], 0
.LBB10_526:                             ;   Parent Loop BB10_446 Depth=1
                                        ; =>  This Inner Loop Header: Depth=2
	s_sleep 1
	global_store_dwordx2 v[2:3], v[17:18], off
	s_waitcnt vmcnt(0)
	global_atomic_cmpswap_x2 v[11:12], v7, v[15:18], s[44:45] offset:24 glc
	s_waitcnt vmcnt(0)
	v_cmp_eq_u64_e32 vcc, v[11:12], v[17:18]
	v_mov_b32_e32 v18, v12
	s_or_b64 s[4:5], vcc, s[4:5]
	v_mov_b32_e32 v17, v11
	s_andn2_b64 exec, exec, s[4:5]
	s_cbranch_execnz .LBB10_526
	s_branch .LBB10_445
.LBB10_527:
	s_branch .LBB10_555
.LBB10_528:
                                        ; implicit-def: $vgpr0_vgpr1
	s_cbranch_execz .LBB10_555
; %bb.529:
	v_readfirstlane_b32 s4, v51
	v_mov_b32_e32 v6, 0
	v_mov_b32_e32 v7, 0
	v_cmp_eq_u32_e64 s[4:5], s4, v51
	s_and_saveexec_b64 s[10:11], s[4:5]
	s_cbranch_execz .LBB10_535
; %bb.530:
	s_waitcnt vmcnt(0)
	v_mov_b32_e32 v0, 0
	global_load_dwordx2 v[13:14], v0, s[44:45] offset:24 glc
	s_waitcnt vmcnt(0)
	buffer_wbinvl1_vol
	global_load_dwordx2 v[1:2], v0, s[44:45] offset:40
	global_load_dwordx2 v[6:7], v0, s[44:45]
	s_waitcnt vmcnt(1)
	v_and_b32_e32 v1, v1, v13
	v_and_b32_e32 v2, v2, v14
	v_mul_lo_u32 v2, v2, 24
	v_mul_hi_u32 v3, v1, 24
	v_mul_lo_u32 v1, v1, 24
	v_add_u32_e32 v2, v3, v2
	s_waitcnt vmcnt(0)
	v_add_co_u32_e32 v1, vcc, v6, v1
	v_addc_co_u32_e32 v2, vcc, v7, v2, vcc
	global_load_dwordx2 v[11:12], v[1:2], off glc
	s_waitcnt vmcnt(0)
	global_atomic_cmpswap_x2 v[6:7], v0, v[11:14], s[44:45] offset:24 glc
	s_waitcnt vmcnt(0)
	buffer_wbinvl1_vol
	v_cmp_ne_u64_e32 vcc, v[6:7], v[13:14]
	s_and_saveexec_b64 s[16:17], vcc
	s_cbranch_execz .LBB10_534
; %bb.531:
	s_mov_b64 s[18:19], 0
.LBB10_532:                             ; =>This Inner Loop Header: Depth=1
	s_sleep 1
	global_load_dwordx2 v[1:2], v0, s[44:45] offset:40
	global_load_dwordx2 v[11:12], v0, s[44:45]
	v_mov_b32_e32 v14, v7
	v_mov_b32_e32 v13, v6
	s_waitcnt vmcnt(1)
	v_and_b32_e32 v1, v1, v13
	s_waitcnt vmcnt(0)
	v_mad_u64_u32 v[6:7], s[20:21], v1, 24, v[11:12]
	v_and_b32_e32 v2, v2, v14
	v_mov_b32_e32 v1, v7
	v_mad_u64_u32 v[1:2], s[20:21], v2, 24, v[1:2]
	v_mov_b32_e32 v7, v1
	global_load_dwordx2 v[11:12], v[6:7], off glc
	s_waitcnt vmcnt(0)
	global_atomic_cmpswap_x2 v[6:7], v0, v[11:14], s[44:45] offset:24 glc
	s_waitcnt vmcnt(0)
	buffer_wbinvl1_vol
	v_cmp_eq_u64_e32 vcc, v[6:7], v[13:14]
	s_or_b64 s[18:19], vcc, s[18:19]
	s_andn2_b64 exec, exec, s[18:19]
	s_cbranch_execnz .LBB10_532
; %bb.533:
	s_or_b64 exec, exec, s[18:19]
.LBB10_534:
	s_or_b64 exec, exec, s[16:17]
.LBB10_535:
	s_or_b64 exec, exec, s[10:11]
	v_mov_b32_e32 v11, 0
	global_load_dwordx2 v[12:13], v11, s[44:45] offset:40
	global_load_dwordx4 v[0:3], v11, s[44:45]
	v_readfirstlane_b32 s10, v6
	v_readfirstlane_b32 s11, v7
	s_mov_b64 s[16:17], exec
	s_waitcnt vmcnt(1)
	v_readfirstlane_b32 s18, v12
	v_readfirstlane_b32 s19, v13
	s_and_b64 s[18:19], s[10:11], s[18:19]
	s_mul_i32 s15, s19, 24
	s_mul_hi_u32 s20, s18, 24
	s_mul_i32 s21, s18, 24
	s_add_i32 s15, s20, s15
	v_mov_b32_e32 v7, s15
	s_waitcnt vmcnt(0)
	v_add_co_u32_e32 v6, vcc, s21, v0
	v_addc_co_u32_e32 v7, vcc, v1, v7, vcc
	s_and_saveexec_b64 s[20:21], s[4:5]
	s_cbranch_execz .LBB10_537
; %bb.536:
	v_mov_b32_e32 v12, s16
	v_mov_b32_e32 v13, s17
	;; [unrolled: 1-line block ×4, first 2 shown]
	global_store_dwordx4 v[6:7], v[12:15], off offset:8
.LBB10_537:
	s_or_b64 exec, exec, s[20:21]
	s_lshl_b64 s[16:17], s[18:19], 12
	v_mov_b32_e32 v12, s17
	v_add_co_u32_e32 v2, vcc, s16, v2
	v_addc_co_u32_e32 v3, vcc, v3, v12, vcc
	s_movk_i32 s15, 0xff1f
	v_and_or_b32 v9, v9, s15, 32
	s_mov_b32 s16, 0
	v_mov_b32_e32 v12, v11
	v_readfirstlane_b32 s20, v2
	v_readfirstlane_b32 s21, v3
	v_add_co_u32_e32 v13, vcc, v2, v50
	s_mov_b32 s17, s16
	s_mov_b32 s18, s16
	;; [unrolled: 1-line block ×3, first 2 shown]
	s_nop 0
	global_store_dwordx4 v50, v[9:12], s[20:21]
	v_addc_co_u32_e32 v14, vcc, 0, v3, vcc
	v_mov_b32_e32 v9, s16
	v_mov_b32_e32 v10, s17
	;; [unrolled: 1-line block ×4, first 2 shown]
	global_store_dwordx4 v50, v[9:12], s[20:21] offset:16
	global_store_dwordx4 v50, v[9:12], s[20:21] offset:32
	;; [unrolled: 1-line block ×3, first 2 shown]
	s_and_saveexec_b64 s[16:17], s[4:5]
	s_cbranch_execz .LBB10_545
; %bb.538:
	v_mov_b32_e32 v11, 0
	global_load_dwordx2 v[17:18], v11, s[44:45] offset:32 glc
	global_load_dwordx2 v[2:3], v11, s[44:45] offset:40
	v_mov_b32_e32 v15, s10
	v_mov_b32_e32 v16, s11
	s_waitcnt vmcnt(0)
	v_readfirstlane_b32 s18, v2
	v_readfirstlane_b32 s19, v3
	s_and_b64 s[18:19], s[18:19], s[10:11]
	s_mul_i32 s15, s19, 24
	s_mul_hi_u32 s19, s18, 24
	s_mul_i32 s18, s18, 24
	s_add_i32 s15, s19, s15
	v_mov_b32_e32 v2, s15
	v_add_co_u32_e32 v9, vcc, s18, v0
	v_addc_co_u32_e32 v10, vcc, v1, v2, vcc
	global_store_dwordx2 v[9:10], v[17:18], off
	s_waitcnt vmcnt(0)
	global_atomic_cmpswap_x2 v[2:3], v11, v[15:18], s[44:45] offset:32 glc
	s_waitcnt vmcnt(0)
	v_cmp_ne_u64_e32 vcc, v[2:3], v[17:18]
	s_and_saveexec_b64 s[18:19], vcc
	s_cbranch_execz .LBB10_541
; %bb.539:
	s_mov_b64 s[20:21], 0
.LBB10_540:                             ; =>This Inner Loop Header: Depth=1
	s_sleep 1
	global_store_dwordx2 v[9:10], v[2:3], off
	v_mov_b32_e32 v0, s10
	v_mov_b32_e32 v1, s11
	s_waitcnt vmcnt(0)
	global_atomic_cmpswap_x2 v[0:1], v11, v[0:3], s[44:45] offset:32 glc
	s_waitcnt vmcnt(0)
	v_cmp_eq_u64_e32 vcc, v[0:1], v[2:3]
	v_mov_b32_e32 v3, v1
	s_or_b64 s[20:21], vcc, s[20:21]
	v_mov_b32_e32 v2, v0
	s_andn2_b64 exec, exec, s[20:21]
	s_cbranch_execnz .LBB10_540
.LBB10_541:
	s_or_b64 exec, exec, s[18:19]
	v_mov_b32_e32 v3, 0
	global_load_dwordx2 v[0:1], v3, s[44:45] offset:16
	s_mov_b64 s[18:19], exec
	v_mbcnt_lo_u32_b32 v2, s18, 0
	v_mbcnt_hi_u32_b32 v2, s19, v2
	v_cmp_eq_u32_e32 vcc, 0, v2
	s_and_saveexec_b64 s[20:21], vcc
	s_cbranch_execz .LBB10_543
; %bb.542:
	s_bcnt1_i32_b64 s15, s[18:19]
	v_mov_b32_e32 v2, s15
	s_waitcnt vmcnt(0)
	global_atomic_add_x2 v[0:1], v[2:3], off offset:8
.LBB10_543:
	s_or_b64 exec, exec, s[20:21]
	s_waitcnt vmcnt(0)
	global_load_dwordx2 v[2:3], v[0:1], off offset:16
	s_waitcnt vmcnt(0)
	v_cmp_eq_u64_e32 vcc, 0, v[2:3]
	s_cbranch_vccnz .LBB10_545
; %bb.544:
	global_load_dword v0, v[0:1], off offset:24
	v_mov_b32_e32 v1, 0
	s_waitcnt vmcnt(0)
	global_store_dwordx2 v[2:3], v[0:1], off
	v_and_b32_e32 v0, 0xffffff, v0
	v_readfirstlane_b32 m0, v0
	s_sendmsg sendmsg(MSG_INTERRUPT)
.LBB10_545:
	s_or_b64 exec, exec, s[16:17]
	s_branch .LBB10_549
.LBB10_546:                             ;   in Loop: Header=BB10_549 Depth=1
	s_or_b64 exec, exec, s[16:17]
	v_readfirstlane_b32 s15, v0
	s_cmp_eq_u32 s15, 0
	s_cbranch_scc1 .LBB10_548
; %bb.547:                              ;   in Loop: Header=BB10_549 Depth=1
	s_sleep 1
	s_cbranch_execnz .LBB10_549
	s_branch .LBB10_551
.LBB10_548:
	s_branch .LBB10_551
.LBB10_549:                             ; =>This Inner Loop Header: Depth=1
	v_mov_b32_e32 v0, 1
	s_and_saveexec_b64 s[16:17], s[4:5]
	s_cbranch_execz .LBB10_546
; %bb.550:                              ;   in Loop: Header=BB10_549 Depth=1
	global_load_dword v0, v[6:7], off offset:20 glc
	s_waitcnt vmcnt(0)
	buffer_wbinvl1_vol
	v_and_b32_e32 v0, 1, v0
	s_branch .LBB10_546
.LBB10_551:
	global_load_dwordx2 v[0:1], v[13:14], off
	s_and_saveexec_b64 s[16:17], s[4:5]
	s_cbranch_execz .LBB10_554
; %bb.552:
	v_mov_b32_e32 v6, 0
	global_load_dwordx2 v[2:3], v6, s[44:45] offset:40
	global_load_dwordx2 v[13:14], v6, s[44:45] offset:24 glc
	global_load_dwordx2 v[15:16], v6, s[44:45]
	v_mov_b32_e32 v7, s11
	s_mov_b64 s[4:5], 0
	s_waitcnt vmcnt(2)
	v_add_co_u32_e32 v11, vcc, 1, v2
	v_addc_co_u32_e32 v12, vcc, 0, v3, vcc
	v_add_co_u32_e32 v9, vcc, s10, v11
	v_addc_co_u32_e32 v10, vcc, v12, v7, vcc
	v_cmp_eq_u64_e32 vcc, 0, v[9:10]
	v_cndmask_b32_e32 v10, v10, v12, vcc
	v_cndmask_b32_e32 v9, v9, v11, vcc
	v_and_b32_e32 v3, v10, v3
	v_and_b32_e32 v2, v9, v2
	v_mul_lo_u32 v3, v3, 24
	v_mul_hi_u32 v7, v2, 24
	v_mul_lo_u32 v2, v2, 24
	s_waitcnt vmcnt(1)
	v_mov_b32_e32 v11, v13
	v_mov_b32_e32 v12, v14
	v_add_u32_e32 v3, v7, v3
	s_waitcnt vmcnt(0)
	v_add_co_u32_e32 v2, vcc, v15, v2
	v_addc_co_u32_e32 v3, vcc, v16, v3, vcc
	global_store_dwordx2 v[2:3], v[13:14], off
	s_waitcnt vmcnt(0)
	global_atomic_cmpswap_x2 v[11:12], v6, v[9:12], s[44:45] offset:24 glc
	s_waitcnt vmcnt(0)
	v_cmp_ne_u64_e32 vcc, v[11:12], v[13:14]
	s_and_b64 exec, exec, vcc
	s_cbranch_execz .LBB10_554
.LBB10_553:                             ; =>This Inner Loop Header: Depth=1
	s_sleep 1
	global_store_dwordx2 v[2:3], v[11:12], off
	s_waitcnt vmcnt(0)
	global_atomic_cmpswap_x2 v[13:14], v6, v[9:12], s[44:45] offset:24 glc
	s_waitcnt vmcnt(0)
	v_cmp_eq_u64_e32 vcc, v[13:14], v[11:12]
	v_mov_b32_e32 v11, v13
	s_or_b64 s[4:5], vcc, s[4:5]
	v_mov_b32_e32 v12, v14
	s_andn2_b64 exec, exec, s[4:5]
	s_cbranch_execnz .LBB10_553
.LBB10_554:
	s_or_b64 exec, exec, s[16:17]
.LBB10_555:
	s_getpc_b64 s[10:11]
	s_add_u32 s10, s10, .str.1@rel32@lo+4
	s_addc_u32 s11, s11, .str.1@rel32@hi+12
	s_cmp_lg_u64 s[10:11], 0
	s_cbranch_scc0 .LBB10_640
; %bb.556:
	s_waitcnt vmcnt(0)
	v_and_b32_e32 v13, -3, v0
	v_mov_b32_e32 v14, v1
	s_mov_b64 s[16:17], 0x4f
	v_mov_b32_e32 v3, 0
	v_mov_b32_e32 v11, 2
	v_mov_b32_e32 v12, 1
	s_branch .LBB10_558
.LBB10_557:                             ;   in Loop: Header=BB10_558 Depth=1
	s_or_b64 exec, exec, s[22:23]
	s_sub_u32 s16, s16, s18
	s_subb_u32 s17, s17, s19
	s_add_u32 s10, s10, s18
	s_addc_u32 s11, s11, s19
	s_cmp_lg_u64 s[16:17], 0
	s_cbranch_scc0 .LBB10_639
.LBB10_558:                             ; =>This Loop Header: Depth=1
                                        ;     Child Loop BB10_561 Depth 2
                                        ;     Child Loop BB10_568 Depth 2
	;; [unrolled: 1-line block ×11, first 2 shown]
	v_cmp_lt_u64_e64 s[4:5], s[16:17], 56
	v_cmp_gt_u64_e64 s[20:21], s[16:17], 7
	s_and_b64 s[4:5], s[4:5], exec
	s_cselect_b32 s19, s17, 0
	s_cselect_b32 s18, s16, 56
	s_and_b64 vcc, exec, s[20:21]
	s_cbranch_vccnz .LBB10_563
; %bb.559:                              ;   in Loop: Header=BB10_558 Depth=1
	s_waitcnt vmcnt(0)
	v_mov_b32_e32 v15, 0
	s_cmp_eq_u64 s[16:17], 0
	v_mov_b32_e32 v16, 0
	s_mov_b64 s[4:5], 0
	s_cbranch_scc1 .LBB10_562
; %bb.560:                              ;   in Loop: Header=BB10_558 Depth=1
	v_mov_b32_e32 v15, 0
	s_lshl_b64 s[20:21], s[18:19], 3
	s_mov_b64 s[22:23], 0
	v_mov_b32_e32 v16, 0
	s_mov_b64 s[24:25], s[10:11]
.LBB10_561:                             ;   Parent Loop BB10_558 Depth=1
                                        ; =>  This Inner Loop Header: Depth=2
	global_load_ubyte v2, v3, s[24:25]
	s_waitcnt vmcnt(0)
	v_and_b32_e32 v2, 0xffff, v2
	v_lshlrev_b64 v[6:7], s22, v[2:3]
	s_add_u32 s22, s22, 8
	s_addc_u32 s23, s23, 0
	s_add_u32 s24, s24, 1
	s_addc_u32 s25, s25, 0
	v_or_b32_e32 v15, v6, v15
	s_cmp_lg_u32 s20, s22
	v_or_b32_e32 v16, v7, v16
	s_cbranch_scc1 .LBB10_561
.LBB10_562:                             ;   in Loop: Header=BB10_558 Depth=1
	s_mov_b32 s15, 0
	s_andn2_b64 vcc, exec, s[4:5]
	s_mov_b64 s[4:5], s[10:11]
	s_cbranch_vccz .LBB10_564
	s_branch .LBB10_565
.LBB10_563:                             ;   in Loop: Header=BB10_558 Depth=1
                                        ; implicit-def: $sgpr15
	s_mov_b64 s[4:5], s[10:11]
.LBB10_564:                             ;   in Loop: Header=BB10_558 Depth=1
	global_load_dwordx2 v[15:16], v3, s[10:11]
	s_add_i32 s15, s18, -8
	s_add_u32 s4, s10, 8
	s_addc_u32 s5, s11, 0
.LBB10_565:                             ;   in Loop: Header=BB10_558 Depth=1
	s_cmp_gt_u32 s15, 7
	s_cbranch_scc1 .LBB10_569
; %bb.566:                              ;   in Loop: Header=BB10_558 Depth=1
	s_cmp_eq_u32 s15, 0
	s_cbranch_scc1 .LBB10_570
; %bb.567:                              ;   in Loop: Header=BB10_558 Depth=1
	v_mov_b32_e32 v17, 0
	s_mov_b64 s[20:21], 0
	v_mov_b32_e32 v18, 0
	s_mov_b64 s[22:23], 0
.LBB10_568:                             ;   Parent Loop BB10_558 Depth=1
                                        ; =>  This Inner Loop Header: Depth=2
	s_add_u32 s24, s4, s22
	s_addc_u32 s25, s5, s23
	global_load_ubyte v2, v3, s[24:25]
	s_add_u32 s22, s22, 1
	s_addc_u32 s23, s23, 0
	s_waitcnt vmcnt(0)
	v_and_b32_e32 v2, 0xffff, v2
	v_lshlrev_b64 v[6:7], s20, v[2:3]
	s_add_u32 s20, s20, 8
	s_addc_u32 s21, s21, 0
	v_or_b32_e32 v17, v6, v17
	s_cmp_lg_u32 s15, s22
	v_or_b32_e32 v18, v7, v18
	s_cbranch_scc1 .LBB10_568
	s_branch .LBB10_571
.LBB10_569:                             ;   in Loop: Header=BB10_558 Depth=1
                                        ; implicit-def: $vgpr17_vgpr18
                                        ; implicit-def: $sgpr24
	s_branch .LBB10_572
.LBB10_570:                             ;   in Loop: Header=BB10_558 Depth=1
	v_mov_b32_e32 v17, 0
	v_mov_b32_e32 v18, 0
.LBB10_571:                             ;   in Loop: Header=BB10_558 Depth=1
	s_mov_b32 s24, 0
	s_cbranch_execnz .LBB10_573
.LBB10_572:                             ;   in Loop: Header=BB10_558 Depth=1
	global_load_dwordx2 v[17:18], v3, s[4:5]
	s_add_i32 s24, s15, -8
	s_add_u32 s4, s4, 8
	s_addc_u32 s5, s5, 0
.LBB10_573:                             ;   in Loop: Header=BB10_558 Depth=1
	s_cmp_gt_u32 s24, 7
	s_cbranch_scc1 .LBB10_577
; %bb.574:                              ;   in Loop: Header=BB10_558 Depth=1
	s_cmp_eq_u32 s24, 0
	s_cbranch_scc1 .LBB10_578
; %bb.575:                              ;   in Loop: Header=BB10_558 Depth=1
	v_mov_b32_e32 v19, 0
	s_mov_b64 s[20:21], 0
	v_mov_b32_e32 v20, 0
	s_mov_b64 s[22:23], 0
.LBB10_576:                             ;   Parent Loop BB10_558 Depth=1
                                        ; =>  This Inner Loop Header: Depth=2
	s_add_u32 s26, s4, s22
	s_addc_u32 s27, s5, s23
	global_load_ubyte v2, v3, s[26:27]
	s_add_u32 s22, s22, 1
	s_addc_u32 s23, s23, 0
	s_waitcnt vmcnt(0)
	v_and_b32_e32 v2, 0xffff, v2
	v_lshlrev_b64 v[6:7], s20, v[2:3]
	s_add_u32 s20, s20, 8
	s_addc_u32 s21, s21, 0
	v_or_b32_e32 v19, v6, v19
	s_cmp_lg_u32 s24, s22
	v_or_b32_e32 v20, v7, v20
	s_cbranch_scc1 .LBB10_576
	s_branch .LBB10_579
.LBB10_577:                             ;   in Loop: Header=BB10_558 Depth=1
                                        ; implicit-def: $sgpr15
	s_branch .LBB10_580
.LBB10_578:                             ;   in Loop: Header=BB10_558 Depth=1
	v_mov_b32_e32 v19, 0
	v_mov_b32_e32 v20, 0
.LBB10_579:                             ;   in Loop: Header=BB10_558 Depth=1
	s_mov_b32 s15, 0
	s_cbranch_execnz .LBB10_581
.LBB10_580:                             ;   in Loop: Header=BB10_558 Depth=1
	global_load_dwordx2 v[19:20], v3, s[4:5]
	s_add_i32 s15, s24, -8
	s_add_u32 s4, s4, 8
	s_addc_u32 s5, s5, 0
.LBB10_581:                             ;   in Loop: Header=BB10_558 Depth=1
	s_cmp_gt_u32 s15, 7
	s_cbranch_scc1 .LBB10_585
; %bb.582:                              ;   in Loop: Header=BB10_558 Depth=1
	s_cmp_eq_u32 s15, 0
	s_cbranch_scc1 .LBB10_586
; %bb.583:                              ;   in Loop: Header=BB10_558 Depth=1
	v_mov_b32_e32 v21, 0
	s_mov_b64 s[20:21], 0
	v_mov_b32_e32 v22, 0
	s_mov_b64 s[22:23], 0
.LBB10_584:                             ;   Parent Loop BB10_558 Depth=1
                                        ; =>  This Inner Loop Header: Depth=2
	s_add_u32 s24, s4, s22
	s_addc_u32 s25, s5, s23
	global_load_ubyte v2, v3, s[24:25]
	s_add_u32 s22, s22, 1
	s_addc_u32 s23, s23, 0
	s_waitcnt vmcnt(0)
	v_and_b32_e32 v2, 0xffff, v2
	v_lshlrev_b64 v[6:7], s20, v[2:3]
	s_add_u32 s20, s20, 8
	s_addc_u32 s21, s21, 0
	v_or_b32_e32 v21, v6, v21
	s_cmp_lg_u32 s15, s22
	v_or_b32_e32 v22, v7, v22
	s_cbranch_scc1 .LBB10_584
	s_branch .LBB10_587
.LBB10_585:                             ;   in Loop: Header=BB10_558 Depth=1
                                        ; implicit-def: $vgpr21_vgpr22
                                        ; implicit-def: $sgpr24
	s_branch .LBB10_588
.LBB10_586:                             ;   in Loop: Header=BB10_558 Depth=1
	v_mov_b32_e32 v21, 0
	v_mov_b32_e32 v22, 0
.LBB10_587:                             ;   in Loop: Header=BB10_558 Depth=1
	s_mov_b32 s24, 0
	s_cbranch_execnz .LBB10_589
.LBB10_588:                             ;   in Loop: Header=BB10_558 Depth=1
	global_load_dwordx2 v[21:22], v3, s[4:5]
	s_add_i32 s24, s15, -8
	s_add_u32 s4, s4, 8
	s_addc_u32 s5, s5, 0
.LBB10_589:                             ;   in Loop: Header=BB10_558 Depth=1
	s_cmp_gt_u32 s24, 7
	s_cbranch_scc1 .LBB10_593
; %bb.590:                              ;   in Loop: Header=BB10_558 Depth=1
	s_cmp_eq_u32 s24, 0
	s_cbranch_scc1 .LBB10_594
; %bb.591:                              ;   in Loop: Header=BB10_558 Depth=1
	v_mov_b32_e32 v23, 0
	s_mov_b64 s[20:21], 0
	v_mov_b32_e32 v24, 0
	s_mov_b64 s[22:23], 0
.LBB10_592:                             ;   Parent Loop BB10_558 Depth=1
                                        ; =>  This Inner Loop Header: Depth=2
	s_add_u32 s26, s4, s22
	s_addc_u32 s27, s5, s23
	global_load_ubyte v2, v3, s[26:27]
	s_add_u32 s22, s22, 1
	s_addc_u32 s23, s23, 0
	s_waitcnt vmcnt(0)
	v_and_b32_e32 v2, 0xffff, v2
	v_lshlrev_b64 v[6:7], s20, v[2:3]
	s_add_u32 s20, s20, 8
	s_addc_u32 s21, s21, 0
	v_or_b32_e32 v23, v6, v23
	s_cmp_lg_u32 s24, s22
	v_or_b32_e32 v24, v7, v24
	s_cbranch_scc1 .LBB10_592
	s_branch .LBB10_595
.LBB10_593:                             ;   in Loop: Header=BB10_558 Depth=1
                                        ; implicit-def: $sgpr15
	s_branch .LBB10_596
.LBB10_594:                             ;   in Loop: Header=BB10_558 Depth=1
	v_mov_b32_e32 v23, 0
	v_mov_b32_e32 v24, 0
.LBB10_595:                             ;   in Loop: Header=BB10_558 Depth=1
	s_mov_b32 s15, 0
	s_cbranch_execnz .LBB10_597
.LBB10_596:                             ;   in Loop: Header=BB10_558 Depth=1
	global_load_dwordx2 v[23:24], v3, s[4:5]
	s_add_i32 s15, s24, -8
	s_add_u32 s4, s4, 8
	s_addc_u32 s5, s5, 0
.LBB10_597:                             ;   in Loop: Header=BB10_558 Depth=1
	s_cmp_gt_u32 s15, 7
	s_cbranch_scc1 .LBB10_601
; %bb.598:                              ;   in Loop: Header=BB10_558 Depth=1
	s_cmp_eq_u32 s15, 0
	s_cbranch_scc1 .LBB10_602
; %bb.599:                              ;   in Loop: Header=BB10_558 Depth=1
	v_mov_b32_e32 v25, 0
	s_mov_b64 s[20:21], 0
	v_mov_b32_e32 v26, 0
	s_mov_b64 s[22:23], 0
.LBB10_600:                             ;   Parent Loop BB10_558 Depth=1
                                        ; =>  This Inner Loop Header: Depth=2
	s_add_u32 s24, s4, s22
	s_addc_u32 s25, s5, s23
	global_load_ubyte v2, v3, s[24:25]
	s_add_u32 s22, s22, 1
	s_addc_u32 s23, s23, 0
	s_waitcnt vmcnt(0)
	v_and_b32_e32 v2, 0xffff, v2
	v_lshlrev_b64 v[6:7], s20, v[2:3]
	s_add_u32 s20, s20, 8
	s_addc_u32 s21, s21, 0
	v_or_b32_e32 v25, v6, v25
	s_cmp_lg_u32 s15, s22
	v_or_b32_e32 v26, v7, v26
	s_cbranch_scc1 .LBB10_600
	s_branch .LBB10_603
.LBB10_601:                             ;   in Loop: Header=BB10_558 Depth=1
                                        ; implicit-def: $vgpr25_vgpr26
                                        ; implicit-def: $sgpr24
	s_branch .LBB10_604
.LBB10_602:                             ;   in Loop: Header=BB10_558 Depth=1
	v_mov_b32_e32 v25, 0
	v_mov_b32_e32 v26, 0
.LBB10_603:                             ;   in Loop: Header=BB10_558 Depth=1
	s_mov_b32 s24, 0
	s_cbranch_execnz .LBB10_605
.LBB10_604:                             ;   in Loop: Header=BB10_558 Depth=1
	global_load_dwordx2 v[25:26], v3, s[4:5]
	s_add_i32 s24, s15, -8
	s_add_u32 s4, s4, 8
	s_addc_u32 s5, s5, 0
.LBB10_605:                             ;   in Loop: Header=BB10_558 Depth=1
	s_cmp_gt_u32 s24, 7
	s_cbranch_scc1 .LBB10_609
; %bb.606:                              ;   in Loop: Header=BB10_558 Depth=1
	s_cmp_eq_u32 s24, 0
	s_cbranch_scc1 .LBB10_610
; %bb.607:                              ;   in Loop: Header=BB10_558 Depth=1
	v_mov_b32_e32 v27, 0
	s_mov_b64 s[20:21], 0
	v_mov_b32_e32 v28, 0
	s_mov_b64 s[22:23], s[4:5]
.LBB10_608:                             ;   Parent Loop BB10_558 Depth=1
                                        ; =>  This Inner Loop Header: Depth=2
	global_load_ubyte v2, v3, s[22:23]
	s_add_i32 s24, s24, -1
	s_waitcnt vmcnt(0)
	v_and_b32_e32 v2, 0xffff, v2
	v_lshlrev_b64 v[6:7], s20, v[2:3]
	s_add_u32 s20, s20, 8
	s_addc_u32 s21, s21, 0
	s_add_u32 s22, s22, 1
	s_addc_u32 s23, s23, 0
	v_or_b32_e32 v27, v6, v27
	s_cmp_lg_u32 s24, 0
	v_or_b32_e32 v28, v7, v28
	s_cbranch_scc1 .LBB10_608
	s_branch .LBB10_611
.LBB10_609:                             ;   in Loop: Header=BB10_558 Depth=1
	s_branch .LBB10_612
.LBB10_610:                             ;   in Loop: Header=BB10_558 Depth=1
	v_mov_b32_e32 v27, 0
	v_mov_b32_e32 v28, 0
.LBB10_611:                             ;   in Loop: Header=BB10_558 Depth=1
	s_cbranch_execnz .LBB10_613
.LBB10_612:                             ;   in Loop: Header=BB10_558 Depth=1
	global_load_dwordx2 v[27:28], v3, s[4:5]
.LBB10_613:                             ;   in Loop: Header=BB10_558 Depth=1
	v_readfirstlane_b32 s4, v51
	v_mov_b32_e32 v6, 0
	v_mov_b32_e32 v7, 0
	v_cmp_eq_u32_e64 s[4:5], s4, v51
	s_and_saveexec_b64 s[20:21], s[4:5]
	s_cbranch_execz .LBB10_619
; %bb.614:                              ;   in Loop: Header=BB10_558 Depth=1
	global_load_dwordx2 v[31:32], v3, s[44:45] offset:24 glc
	s_waitcnt vmcnt(0)
	buffer_wbinvl1_vol
	global_load_dwordx2 v[6:7], v3, s[44:45] offset:40
	global_load_dwordx2 v[9:10], v3, s[44:45]
	s_waitcnt vmcnt(1)
	v_and_b32_e32 v2, v6, v31
	v_and_b32_e32 v6, v7, v32
	v_mul_lo_u32 v6, v6, 24
	v_mul_hi_u32 v7, v2, 24
	v_mul_lo_u32 v2, v2, 24
	v_add_u32_e32 v7, v7, v6
	s_waitcnt vmcnt(0)
	v_add_co_u32_e32 v6, vcc, v9, v2
	v_addc_co_u32_e32 v7, vcc, v10, v7, vcc
	global_load_dwordx2 v[29:30], v[6:7], off glc
	s_waitcnt vmcnt(0)
	global_atomic_cmpswap_x2 v[6:7], v3, v[29:32], s[44:45] offset:24 glc
	s_waitcnt vmcnt(0)
	buffer_wbinvl1_vol
	v_cmp_ne_u64_e32 vcc, v[6:7], v[31:32]
	s_and_saveexec_b64 s[22:23], vcc
	s_cbranch_execz .LBB10_618
; %bb.615:                              ;   in Loop: Header=BB10_558 Depth=1
	s_mov_b64 s[24:25], 0
.LBB10_616:                             ;   Parent Loop BB10_558 Depth=1
                                        ; =>  This Inner Loop Header: Depth=2
	s_sleep 1
	global_load_dwordx2 v[9:10], v3, s[44:45] offset:40
	global_load_dwordx2 v[29:30], v3, s[44:45]
	v_mov_b32_e32 v32, v7
	v_mov_b32_e32 v31, v6
	s_waitcnt vmcnt(1)
	v_and_b32_e32 v2, v9, v31
	s_waitcnt vmcnt(0)
	v_mad_u64_u32 v[6:7], s[26:27], v2, 24, v[29:30]
	v_and_b32_e32 v9, v10, v32
	v_mov_b32_e32 v2, v7
	v_mad_u64_u32 v[9:10], s[26:27], v9, 24, v[2:3]
	v_mov_b32_e32 v7, v9
	global_load_dwordx2 v[29:30], v[6:7], off glc
	s_waitcnt vmcnt(0)
	global_atomic_cmpswap_x2 v[6:7], v3, v[29:32], s[44:45] offset:24 glc
	s_waitcnt vmcnt(0)
	buffer_wbinvl1_vol
	v_cmp_eq_u64_e32 vcc, v[6:7], v[31:32]
	s_or_b64 s[24:25], vcc, s[24:25]
	s_andn2_b64 exec, exec, s[24:25]
	s_cbranch_execnz .LBB10_616
; %bb.617:                              ;   in Loop: Header=BB10_558 Depth=1
	s_or_b64 exec, exec, s[24:25]
.LBB10_618:                             ;   in Loop: Header=BB10_558 Depth=1
	s_or_b64 exec, exec, s[22:23]
.LBB10_619:                             ;   in Loop: Header=BB10_558 Depth=1
	s_or_b64 exec, exec, s[20:21]
	global_load_dwordx2 v[9:10], v3, s[44:45] offset:40
	global_load_dwordx4 v[29:32], v3, s[44:45]
	v_readfirstlane_b32 s20, v6
	v_readfirstlane_b32 s21, v7
	s_mov_b64 s[22:23], exec
	s_waitcnt vmcnt(1)
	v_readfirstlane_b32 s24, v9
	v_readfirstlane_b32 s25, v10
	s_and_b64 s[24:25], s[20:21], s[24:25]
	s_mul_i32 s15, s25, 24
	s_mul_hi_u32 s26, s24, 24
	s_mul_i32 s27, s24, 24
	s_add_i32 s15, s26, s15
	v_mov_b32_e32 v2, s15
	s_waitcnt vmcnt(0)
	v_add_co_u32_e32 v6, vcc, s27, v29
	v_addc_co_u32_e32 v7, vcc, v30, v2, vcc
	s_and_saveexec_b64 s[26:27], s[4:5]
	s_cbranch_execz .LBB10_621
; %bb.620:                              ;   in Loop: Header=BB10_558 Depth=1
	v_mov_b32_e32 v9, s22
	v_mov_b32_e32 v10, s23
	global_store_dwordx4 v[6:7], v[9:12], off offset:8
.LBB10_621:                             ;   in Loop: Header=BB10_558 Depth=1
	s_or_b64 exec, exec, s[26:27]
	s_lshl_b64 s[22:23], s[24:25], 12
	v_mov_b32_e32 v2, s23
	v_add_co_u32_e32 v31, vcc, s22, v31
	v_addc_co_u32_e32 v32, vcc, v32, v2, vcc
	v_cmp_gt_u64_e64 vcc, s[16:17], 56
	v_or_b32_e32 v2, 2, v13
	s_lshl_b32 s15, s18, 2
	v_cndmask_b32_e32 v2, v2, v13, vcc
	s_add_i32 s15, s15, 28
	s_and_b32 s15, s15, 0x1e0
	v_and_b32_e32 v2, 0xffffff1f, v2
	v_or_b32_e32 v13, s15, v2
	v_readfirstlane_b32 s22, v31
	v_readfirstlane_b32 s23, v32
	s_nop 4
	global_store_dwordx4 v50, v[13:16], s[22:23]
	global_store_dwordx4 v50, v[17:20], s[22:23] offset:16
	global_store_dwordx4 v50, v[21:24], s[22:23] offset:32
	;; [unrolled: 1-line block ×3, first 2 shown]
	s_and_saveexec_b64 s[22:23], s[4:5]
	s_cbranch_execz .LBB10_629
; %bb.622:                              ;   in Loop: Header=BB10_558 Depth=1
	global_load_dwordx2 v[17:18], v3, s[44:45] offset:32 glc
	global_load_dwordx2 v[9:10], v3, s[44:45] offset:40
	v_mov_b32_e32 v15, s20
	v_mov_b32_e32 v16, s21
	s_waitcnt vmcnt(0)
	v_readfirstlane_b32 s24, v9
	v_readfirstlane_b32 s25, v10
	s_and_b64 s[24:25], s[24:25], s[20:21]
	s_mul_i32 s15, s25, 24
	s_mul_hi_u32 s25, s24, 24
	s_mul_i32 s24, s24, 24
	s_add_i32 s15, s25, s15
	v_mov_b32_e32 v2, s15
	v_add_co_u32_e32 v9, vcc, s24, v29
	v_addc_co_u32_e32 v10, vcc, v30, v2, vcc
	global_store_dwordx2 v[9:10], v[17:18], off
	s_waitcnt vmcnt(0)
	global_atomic_cmpswap_x2 v[15:16], v3, v[15:18], s[44:45] offset:32 glc
	s_waitcnt vmcnt(0)
	v_cmp_ne_u64_e32 vcc, v[15:16], v[17:18]
	s_and_saveexec_b64 s[24:25], vcc
	s_cbranch_execz .LBB10_625
; %bb.623:                              ;   in Loop: Header=BB10_558 Depth=1
	s_mov_b64 s[26:27], 0
.LBB10_624:                             ;   Parent Loop BB10_558 Depth=1
                                        ; =>  This Inner Loop Header: Depth=2
	s_sleep 1
	global_store_dwordx2 v[9:10], v[15:16], off
	v_mov_b32_e32 v13, s20
	v_mov_b32_e32 v14, s21
	s_waitcnt vmcnt(0)
	global_atomic_cmpswap_x2 v[13:14], v3, v[13:16], s[44:45] offset:32 glc
	s_waitcnt vmcnt(0)
	v_cmp_eq_u64_e32 vcc, v[13:14], v[15:16]
	v_mov_b32_e32 v16, v14
	s_or_b64 s[26:27], vcc, s[26:27]
	v_mov_b32_e32 v15, v13
	s_andn2_b64 exec, exec, s[26:27]
	s_cbranch_execnz .LBB10_624
.LBB10_625:                             ;   in Loop: Header=BB10_558 Depth=1
	s_or_b64 exec, exec, s[24:25]
	global_load_dwordx2 v[9:10], v3, s[44:45] offset:16
	s_mov_b64 s[26:27], exec
	v_mbcnt_lo_u32_b32 v2, s26, 0
	v_mbcnt_hi_u32_b32 v2, s27, v2
	v_cmp_eq_u32_e32 vcc, 0, v2
	s_and_saveexec_b64 s[24:25], vcc
	s_cbranch_execz .LBB10_627
; %bb.626:                              ;   in Loop: Header=BB10_558 Depth=1
	s_bcnt1_i32_b64 s15, s[26:27]
	v_mov_b32_e32 v2, s15
	s_waitcnt vmcnt(0)
	global_atomic_add_x2 v[9:10], v[2:3], off offset:8
.LBB10_627:                             ;   in Loop: Header=BB10_558 Depth=1
	s_or_b64 exec, exec, s[24:25]
	s_waitcnt vmcnt(0)
	global_load_dwordx2 v[13:14], v[9:10], off offset:16
	s_waitcnt vmcnt(0)
	v_cmp_eq_u64_e32 vcc, 0, v[13:14]
	s_cbranch_vccnz .LBB10_629
; %bb.628:                              ;   in Loop: Header=BB10_558 Depth=1
	global_load_dword v2, v[9:10], off offset:24
	s_waitcnt vmcnt(0)
	global_store_dwordx2 v[13:14], v[2:3], off
	v_and_b32_e32 v2, 0xffffff, v2
	v_readfirstlane_b32 m0, v2
	s_sendmsg sendmsg(MSG_INTERRUPT)
.LBB10_629:                             ;   in Loop: Header=BB10_558 Depth=1
	s_or_b64 exec, exec, s[22:23]
	v_add_co_u32_e32 v9, vcc, v31, v50
	v_addc_co_u32_e32 v10, vcc, 0, v32, vcc
	s_branch .LBB10_633
.LBB10_630:                             ;   in Loop: Header=BB10_633 Depth=2
	s_or_b64 exec, exec, s[22:23]
	v_readfirstlane_b32 s15, v2
	s_cmp_eq_u32 s15, 0
	s_cbranch_scc1 .LBB10_632
; %bb.631:                              ;   in Loop: Header=BB10_633 Depth=2
	s_sleep 1
	s_cbranch_execnz .LBB10_633
	s_branch .LBB10_635
.LBB10_632:                             ;   in Loop: Header=BB10_558 Depth=1
	s_branch .LBB10_635
.LBB10_633:                             ;   Parent Loop BB10_558 Depth=1
                                        ; =>  This Inner Loop Header: Depth=2
	v_mov_b32_e32 v2, 1
	s_and_saveexec_b64 s[22:23], s[4:5]
	s_cbranch_execz .LBB10_630
; %bb.634:                              ;   in Loop: Header=BB10_633 Depth=2
	global_load_dword v2, v[6:7], off offset:20 glc
	s_waitcnt vmcnt(0)
	buffer_wbinvl1_vol
	v_and_b32_e32 v2, 1, v2
	s_branch .LBB10_630
.LBB10_635:                             ;   in Loop: Header=BB10_558 Depth=1
	global_load_dwordx4 v[13:16], v[9:10], off
	s_and_saveexec_b64 s[22:23], s[4:5]
	s_cbranch_execz .LBB10_557
; %bb.636:                              ;   in Loop: Header=BB10_558 Depth=1
	global_load_dwordx2 v[6:7], v3, s[44:45] offset:40
	global_load_dwordx2 v[9:10], v3, s[44:45] offset:24 glc
	global_load_dwordx2 v[18:19], v3, s[44:45]
	v_mov_b32_e32 v2, s21
	s_waitcnt vmcnt(2)
	v_add_co_u32_e32 v17, vcc, 1, v6
	v_addc_co_u32_e32 v20, vcc, 0, v7, vcc
	v_add_co_u32_e32 v15, vcc, s20, v17
	v_addc_co_u32_e32 v16, vcc, v20, v2, vcc
	v_cmp_eq_u64_e32 vcc, 0, v[15:16]
	v_cndmask_b32_e32 v16, v16, v20, vcc
	v_cndmask_b32_e32 v15, v15, v17, vcc
	v_and_b32_e32 v2, v16, v7
	v_and_b32_e32 v6, v15, v6
	v_mul_lo_u32 v2, v2, 24
	v_mul_hi_u32 v7, v6, 24
	v_mul_lo_u32 v6, v6, 24
	s_waitcnt vmcnt(1)
	v_mov_b32_e32 v17, v9
	v_add_u32_e32 v2, v7, v2
	s_waitcnt vmcnt(0)
	v_add_co_u32_e32 v6, vcc, v18, v6
	v_addc_co_u32_e32 v7, vcc, v19, v2, vcc
	global_store_dwordx2 v[6:7], v[9:10], off
	v_mov_b32_e32 v18, v10
	s_waitcnt vmcnt(0)
	global_atomic_cmpswap_x2 v[17:18], v3, v[15:18], s[44:45] offset:24 glc
	s_waitcnt vmcnt(0)
	v_cmp_ne_u64_e32 vcc, v[17:18], v[9:10]
	s_and_b64 exec, exec, vcc
	s_cbranch_execz .LBB10_557
; %bb.637:                              ;   in Loop: Header=BB10_558 Depth=1
	s_mov_b64 s[4:5], 0
.LBB10_638:                             ;   Parent Loop BB10_558 Depth=1
                                        ; =>  This Inner Loop Header: Depth=2
	s_sleep 1
	global_store_dwordx2 v[6:7], v[17:18], off
	s_waitcnt vmcnt(0)
	global_atomic_cmpswap_x2 v[9:10], v3, v[15:18], s[44:45] offset:24 glc
	s_waitcnt vmcnt(0)
	v_cmp_eq_u64_e32 vcc, v[9:10], v[17:18]
	v_mov_b32_e32 v18, v10
	s_or_b64 s[4:5], vcc, s[4:5]
	v_mov_b32_e32 v17, v9
	s_andn2_b64 exec, exec, s[4:5]
	s_cbranch_execnz .LBB10_638
	s_branch .LBB10_557
.LBB10_639:
	s_branch .LBB10_667
.LBB10_640:
	s_cbranch_execz .LBB10_667
; %bb.641:
	v_readfirstlane_b32 s4, v51
	v_mov_b32_e32 v6, 0
	v_mov_b32_e32 v7, 0
	v_cmp_eq_u32_e64 s[4:5], s4, v51
	s_and_saveexec_b64 s[10:11], s[4:5]
	s_cbranch_execz .LBB10_647
; %bb.642:
	s_waitcnt vmcnt(0)
	v_mov_b32_e32 v2, 0
	global_load_dwordx2 v[11:12], v2, s[44:45] offset:24 glc
	s_waitcnt vmcnt(0)
	buffer_wbinvl1_vol
	global_load_dwordx2 v[6:7], v2, s[44:45] offset:40
	global_load_dwordx2 v[9:10], v2, s[44:45]
	s_waitcnt vmcnt(1)
	v_and_b32_e32 v3, v6, v11
	v_and_b32_e32 v6, v7, v12
	v_mul_lo_u32 v6, v6, 24
	v_mul_hi_u32 v7, v3, 24
	v_mul_lo_u32 v3, v3, 24
	v_add_u32_e32 v7, v7, v6
	s_waitcnt vmcnt(0)
	v_add_co_u32_e32 v6, vcc, v9, v3
	v_addc_co_u32_e32 v7, vcc, v10, v7, vcc
	global_load_dwordx2 v[9:10], v[6:7], off glc
	s_waitcnt vmcnt(0)
	global_atomic_cmpswap_x2 v[6:7], v2, v[9:12], s[44:45] offset:24 glc
	s_waitcnt vmcnt(0)
	buffer_wbinvl1_vol
	v_cmp_ne_u64_e32 vcc, v[6:7], v[11:12]
	s_and_saveexec_b64 s[16:17], vcc
	s_cbranch_execz .LBB10_646
; %bb.643:
	s_mov_b64 s[18:19], 0
.LBB10_644:                             ; =>This Inner Loop Header: Depth=1
	s_sleep 1
	global_load_dwordx2 v[9:10], v2, s[44:45] offset:40
	global_load_dwordx2 v[13:14], v2, s[44:45]
	v_mov_b32_e32 v12, v7
	v_mov_b32_e32 v11, v6
	s_waitcnt vmcnt(1)
	v_and_b32_e32 v3, v9, v11
	s_waitcnt vmcnt(0)
	v_mad_u64_u32 v[6:7], s[20:21], v3, 24, v[13:14]
	v_and_b32_e32 v9, v10, v12
	v_mov_b32_e32 v3, v7
	v_mad_u64_u32 v[9:10], s[20:21], v9, 24, v[3:4]
	v_mov_b32_e32 v7, v9
	global_load_dwordx2 v[9:10], v[6:7], off glc
	s_waitcnt vmcnt(0)
	global_atomic_cmpswap_x2 v[6:7], v2, v[9:12], s[44:45] offset:24 glc
	s_waitcnt vmcnt(0)
	buffer_wbinvl1_vol
	v_cmp_eq_u64_e32 vcc, v[6:7], v[11:12]
	s_or_b64 s[18:19], vcc, s[18:19]
	s_andn2_b64 exec, exec, s[18:19]
	s_cbranch_execnz .LBB10_644
; %bb.645:
	s_or_b64 exec, exec, s[18:19]
.LBB10_646:
	s_or_b64 exec, exec, s[16:17]
.LBB10_647:
	s_or_b64 exec, exec, s[10:11]
	s_waitcnt vmcnt(0)
	v_mov_b32_e32 v2, 0
	global_load_dwordx2 v[13:14], v2, s[44:45] offset:40
	global_load_dwordx4 v[9:12], v2, s[44:45]
	v_readfirstlane_b32 s10, v6
	v_readfirstlane_b32 s11, v7
	s_mov_b64 s[16:17], exec
	s_waitcnt vmcnt(1)
	v_readfirstlane_b32 s18, v13
	v_readfirstlane_b32 s19, v14
	s_and_b64 s[18:19], s[10:11], s[18:19]
	s_mul_i32 s15, s19, 24
	s_mul_hi_u32 s20, s18, 24
	s_mul_i32 s21, s18, 24
	s_add_i32 s15, s20, s15
	v_mov_b32_e32 v3, s15
	s_waitcnt vmcnt(0)
	v_add_co_u32_e32 v6, vcc, s21, v9
	v_addc_co_u32_e32 v7, vcc, v10, v3, vcc
	s_and_saveexec_b64 s[20:21], s[4:5]
	s_cbranch_execz .LBB10_649
; %bb.648:
	v_mov_b32_e32 v13, s16
	v_mov_b32_e32 v14, s17
	;; [unrolled: 1-line block ×4, first 2 shown]
	global_store_dwordx4 v[6:7], v[13:16], off offset:8
.LBB10_649:
	s_or_b64 exec, exec, s[20:21]
	s_lshl_b64 s[16:17], s[18:19], 12
	v_mov_b32_e32 v3, s17
	v_add_co_u32_e32 v11, vcc, s16, v11
	v_addc_co_u32_e32 v12, vcc, v12, v3, vcc
	s_movk_i32 s15, 0xff1d
	v_and_or_b32 v0, v0, s15, 34
	s_mov_b32 s16, 0
	v_mov_b32_e32 v3, v2
	v_readfirstlane_b32 s20, v11
	v_readfirstlane_b32 s21, v12
	s_mov_b32 s17, s16
	s_mov_b32 s18, s16
	;; [unrolled: 1-line block ×3, first 2 shown]
	s_nop 1
	global_store_dwordx4 v50, v[0:3], s[20:21]
	s_nop 0
	v_mov_b32_e32 v0, s16
	v_mov_b32_e32 v1, s17
	;; [unrolled: 1-line block ×4, first 2 shown]
	global_store_dwordx4 v50, v[0:3], s[20:21] offset:16
	global_store_dwordx4 v50, v[0:3], s[20:21] offset:32
	;; [unrolled: 1-line block ×3, first 2 shown]
	s_and_saveexec_b64 s[16:17], s[4:5]
	s_cbranch_execz .LBB10_657
; %bb.650:
	v_mov_b32_e32 v11, 0
	global_load_dwordx2 v[14:15], v11, s[44:45] offset:32 glc
	global_load_dwordx2 v[0:1], v11, s[44:45] offset:40
	v_mov_b32_e32 v12, s10
	v_mov_b32_e32 v13, s11
	s_waitcnt vmcnt(0)
	v_readfirstlane_b32 s18, v0
	v_readfirstlane_b32 s19, v1
	s_and_b64 s[18:19], s[18:19], s[10:11]
	s_mul_i32 s15, s19, 24
	s_mul_hi_u32 s19, s18, 24
	s_mul_i32 s18, s18, 24
	s_add_i32 s15, s19, s15
	v_mov_b32_e32 v0, s15
	v_add_co_u32_e32 v9, vcc, s18, v9
	v_addc_co_u32_e32 v10, vcc, v10, v0, vcc
	global_store_dwordx2 v[9:10], v[14:15], off
	s_waitcnt vmcnt(0)
	global_atomic_cmpswap_x2 v[2:3], v11, v[12:15], s[44:45] offset:32 glc
	s_waitcnt vmcnt(0)
	v_cmp_ne_u64_e32 vcc, v[2:3], v[14:15]
	s_and_saveexec_b64 s[18:19], vcc
	s_cbranch_execz .LBB10_653
; %bb.651:
	s_mov_b64 s[20:21], 0
.LBB10_652:                             ; =>This Inner Loop Header: Depth=1
	s_sleep 1
	global_store_dwordx2 v[9:10], v[2:3], off
	v_mov_b32_e32 v0, s10
	v_mov_b32_e32 v1, s11
	s_waitcnt vmcnt(0)
	global_atomic_cmpswap_x2 v[0:1], v11, v[0:3], s[44:45] offset:32 glc
	s_waitcnt vmcnt(0)
	v_cmp_eq_u64_e32 vcc, v[0:1], v[2:3]
	v_mov_b32_e32 v3, v1
	s_or_b64 s[20:21], vcc, s[20:21]
	v_mov_b32_e32 v2, v0
	s_andn2_b64 exec, exec, s[20:21]
	s_cbranch_execnz .LBB10_652
.LBB10_653:
	s_or_b64 exec, exec, s[18:19]
	v_mov_b32_e32 v3, 0
	global_load_dwordx2 v[0:1], v3, s[44:45] offset:16
	s_mov_b64 s[18:19], exec
	v_mbcnt_lo_u32_b32 v2, s18, 0
	v_mbcnt_hi_u32_b32 v2, s19, v2
	v_cmp_eq_u32_e32 vcc, 0, v2
	s_and_saveexec_b64 s[20:21], vcc
	s_cbranch_execz .LBB10_655
; %bb.654:
	s_bcnt1_i32_b64 s15, s[18:19]
	v_mov_b32_e32 v2, s15
	s_waitcnt vmcnt(0)
	global_atomic_add_x2 v[0:1], v[2:3], off offset:8
.LBB10_655:
	s_or_b64 exec, exec, s[20:21]
	s_waitcnt vmcnt(0)
	global_load_dwordx2 v[2:3], v[0:1], off offset:16
	s_waitcnt vmcnt(0)
	v_cmp_eq_u64_e32 vcc, 0, v[2:3]
	s_cbranch_vccnz .LBB10_657
; %bb.656:
	global_load_dword v0, v[0:1], off offset:24
	v_mov_b32_e32 v1, 0
	s_waitcnt vmcnt(0)
	global_store_dwordx2 v[2:3], v[0:1], off
	v_and_b32_e32 v0, 0xffffff, v0
	v_readfirstlane_b32 m0, v0
	s_sendmsg sendmsg(MSG_INTERRUPT)
.LBB10_657:
	s_or_b64 exec, exec, s[16:17]
	s_branch .LBB10_661
.LBB10_658:                             ;   in Loop: Header=BB10_661 Depth=1
	s_or_b64 exec, exec, s[16:17]
	v_readfirstlane_b32 s15, v0
	s_cmp_eq_u32 s15, 0
	s_cbranch_scc1 .LBB10_660
; %bb.659:                              ;   in Loop: Header=BB10_661 Depth=1
	s_sleep 1
	s_cbranch_execnz .LBB10_661
	s_branch .LBB10_663
.LBB10_660:
	s_branch .LBB10_663
.LBB10_661:                             ; =>This Inner Loop Header: Depth=1
	v_mov_b32_e32 v0, 1
	s_and_saveexec_b64 s[16:17], s[4:5]
	s_cbranch_execz .LBB10_658
; %bb.662:                              ;   in Loop: Header=BB10_661 Depth=1
	global_load_dword v0, v[6:7], off offset:20 glc
	s_waitcnt vmcnt(0)
	buffer_wbinvl1_vol
	v_and_b32_e32 v0, 1, v0
	s_branch .LBB10_658
.LBB10_663:
	s_and_saveexec_b64 s[16:17], s[4:5]
	s_cbranch_execz .LBB10_666
; %bb.664:
	v_mov_b32_e32 v9, 0
	global_load_dwordx2 v[2:3], v9, s[44:45] offset:40
	global_load_dwordx2 v[10:11], v9, s[44:45] offset:24 glc
	global_load_dwordx2 v[6:7], v9, s[44:45]
	v_mov_b32_e32 v1, s11
	s_mov_b64 s[4:5], 0
	s_waitcnt vmcnt(2)
	v_add_co_u32_e32 v12, vcc, 1, v2
	v_addc_co_u32_e32 v13, vcc, 0, v3, vcc
	v_add_co_u32_e32 v0, vcc, s10, v12
	v_addc_co_u32_e32 v1, vcc, v13, v1, vcc
	v_cmp_eq_u64_e32 vcc, 0, v[0:1]
	v_cndmask_b32_e32 v1, v1, v13, vcc
	v_cndmask_b32_e32 v0, v0, v12, vcc
	v_and_b32_e32 v3, v1, v3
	v_and_b32_e32 v2, v0, v2
	v_mul_lo_u32 v3, v3, 24
	v_mul_hi_u32 v12, v2, 24
	v_mul_lo_u32 v13, v2, 24
	s_waitcnt vmcnt(1)
	v_mov_b32_e32 v2, v10
	v_add_u32_e32 v3, v12, v3
	s_waitcnt vmcnt(0)
	v_add_co_u32_e32 v6, vcc, v6, v13
	v_addc_co_u32_e32 v7, vcc, v7, v3, vcc
	global_store_dwordx2 v[6:7], v[10:11], off
	v_mov_b32_e32 v3, v11
	s_waitcnt vmcnt(0)
	global_atomic_cmpswap_x2 v[2:3], v9, v[0:3], s[44:45] offset:24 glc
	s_waitcnt vmcnt(0)
	v_cmp_ne_u64_e32 vcc, v[2:3], v[10:11]
	s_and_b64 exec, exec, vcc
	s_cbranch_execz .LBB10_666
.LBB10_665:                             ; =>This Inner Loop Header: Depth=1
	s_sleep 1
	global_store_dwordx2 v[6:7], v[2:3], off
	s_waitcnt vmcnt(0)
	global_atomic_cmpswap_x2 v[10:11], v9, v[0:3], s[44:45] offset:24 glc
	s_waitcnt vmcnt(0)
	v_cmp_eq_u64_e32 vcc, v[10:11], v[2:3]
	v_mov_b32_e32 v2, v10
	s_or_b64 s[4:5], vcc, s[4:5]
	v_mov_b32_e32 v3, v11
	s_andn2_b64 exec, exec, s[4:5]
	s_cbranch_execnz .LBB10_665
.LBB10_666:
	s_or_b64 exec, exec, s[16:17]
.LBB10_667:
	v_readfirstlane_b32 s4, v51
	v_mov_b32_e32 v6, 0
	v_mov_b32_e32 v7, 0
	v_cmp_eq_u32_e64 s[4:5], s4, v51
	s_and_saveexec_b64 s[10:11], s[4:5]
	s_cbranch_execz .LBB10_673
; %bb.668:
	s_waitcnt vmcnt(0)
	v_mov_b32_e32 v0, 0
	global_load_dwordx2 v[11:12], v0, s[44:45] offset:24 glc
	s_waitcnt vmcnt(0)
	buffer_wbinvl1_vol
	global_load_dwordx2 v[1:2], v0, s[44:45] offset:40
	global_load_dwordx2 v[6:7], v0, s[44:45]
	s_waitcnt vmcnt(1)
	v_and_b32_e32 v1, v1, v11
	v_and_b32_e32 v2, v2, v12
	v_mul_lo_u32 v2, v2, 24
	v_mul_hi_u32 v3, v1, 24
	v_mul_lo_u32 v1, v1, 24
	v_add_u32_e32 v2, v3, v2
	s_waitcnt vmcnt(0)
	v_add_co_u32_e32 v1, vcc, v6, v1
	v_addc_co_u32_e32 v2, vcc, v7, v2, vcc
	global_load_dwordx2 v[9:10], v[1:2], off glc
	s_waitcnt vmcnt(0)
	global_atomic_cmpswap_x2 v[6:7], v0, v[9:12], s[44:45] offset:24 glc
	s_waitcnt vmcnt(0)
	buffer_wbinvl1_vol
	v_cmp_ne_u64_e32 vcc, v[6:7], v[11:12]
	s_and_saveexec_b64 s[16:17], vcc
	s_cbranch_execz .LBB10_672
; %bb.669:
	s_mov_b64 s[18:19], 0
.LBB10_670:                             ; =>This Inner Loop Header: Depth=1
	s_sleep 1
	global_load_dwordx2 v[1:2], v0, s[44:45] offset:40
	global_load_dwordx2 v[9:10], v0, s[44:45]
	v_mov_b32_e32 v12, v7
	v_mov_b32_e32 v11, v6
	s_waitcnt vmcnt(1)
	v_and_b32_e32 v1, v1, v11
	s_waitcnt vmcnt(0)
	v_mad_u64_u32 v[6:7], s[20:21], v1, 24, v[9:10]
	v_and_b32_e32 v2, v2, v12
	v_mov_b32_e32 v1, v7
	v_mad_u64_u32 v[1:2], s[20:21], v2, 24, v[1:2]
	v_mov_b32_e32 v7, v1
	global_load_dwordx2 v[9:10], v[6:7], off glc
	s_waitcnt vmcnt(0)
	global_atomic_cmpswap_x2 v[6:7], v0, v[9:12], s[44:45] offset:24 glc
	s_waitcnt vmcnt(0)
	buffer_wbinvl1_vol
	v_cmp_eq_u64_e32 vcc, v[6:7], v[11:12]
	s_or_b64 s[18:19], vcc, s[18:19]
	s_andn2_b64 exec, exec, s[18:19]
	s_cbranch_execnz .LBB10_670
; %bb.671:
	s_or_b64 exec, exec, s[18:19]
.LBB10_672:
	s_or_b64 exec, exec, s[16:17]
.LBB10_673:
	s_or_b64 exec, exec, s[10:11]
	s_waitcnt vmcnt(0)
	v_mov_b32_e32 v10, 0
	global_load_dwordx2 v[11:12], v10, s[44:45] offset:40
	global_load_dwordx4 v[0:3], v10, s[44:45]
	v_readfirstlane_b32 s10, v6
	v_readfirstlane_b32 s11, v7
	s_mov_b64 s[16:17], exec
	s_waitcnt vmcnt(1)
	v_readfirstlane_b32 s18, v11
	v_readfirstlane_b32 s19, v12
	s_and_b64 s[18:19], s[10:11], s[18:19]
	s_mul_i32 s15, s19, 24
	s_mul_hi_u32 s20, s18, 24
	s_mul_i32 s21, s18, 24
	s_add_i32 s15, s20, s15
	v_mov_b32_e32 v7, s15
	s_waitcnt vmcnt(0)
	v_add_co_u32_e32 v6, vcc, s21, v0
	v_addc_co_u32_e32 v7, vcc, v1, v7, vcc
	s_and_saveexec_b64 s[20:21], s[4:5]
	s_cbranch_execz .LBB10_675
; %bb.674:
	v_mov_b32_e32 v11, s16
	v_mov_b32_e32 v12, s17
	;; [unrolled: 1-line block ×4, first 2 shown]
	global_store_dwordx4 v[6:7], v[11:14], off offset:8
.LBB10_675:
	s_or_b64 exec, exec, s[20:21]
	s_lshl_b64 s[16:17], s[18:19], 12
	v_mov_b32_e32 v9, s17
	v_add_co_u32_e32 v2, vcc, s16, v2
	v_addc_co_u32_e32 v3, vcc, v3, v9, vcc
	s_mov_b32 s16, 0
	v_mov_b32_e32 v9, 33
	v_mov_b32_e32 v11, v10
	;; [unrolled: 1-line block ×3, first 2 shown]
	v_readfirstlane_b32 s20, v2
	v_readfirstlane_b32 s21, v3
	v_add_co_u32_e32 v13, vcc, v2, v50
	s_mov_b32 s17, s16
	s_mov_b32 s18, s16
	s_mov_b32 s19, s16
	s_nop 0
	global_store_dwordx4 v50, v[9:12], s[20:21]
	v_addc_co_u32_e32 v14, vcc, 0, v3, vcc
	v_mov_b32_e32 v9, s16
	v_mov_b32_e32 v10, s17
	;; [unrolled: 1-line block ×4, first 2 shown]
	global_store_dwordx4 v50, v[9:12], s[20:21] offset:16
	global_store_dwordx4 v50, v[9:12], s[20:21] offset:32
	;; [unrolled: 1-line block ×3, first 2 shown]
	s_and_saveexec_b64 s[16:17], s[4:5]
	s_cbranch_execz .LBB10_683
; %bb.676:
	v_mov_b32_e32 v11, 0
	global_load_dwordx2 v[17:18], v11, s[44:45] offset:32 glc
	global_load_dwordx2 v[2:3], v11, s[44:45] offset:40
	v_mov_b32_e32 v15, s10
	v_mov_b32_e32 v16, s11
	s_waitcnt vmcnt(0)
	v_readfirstlane_b32 s18, v2
	v_readfirstlane_b32 s19, v3
	s_and_b64 s[18:19], s[18:19], s[10:11]
	s_mul_i32 s15, s19, 24
	s_mul_hi_u32 s19, s18, 24
	s_mul_i32 s18, s18, 24
	s_add_i32 s15, s19, s15
	v_mov_b32_e32 v2, s15
	v_add_co_u32_e32 v9, vcc, s18, v0
	v_addc_co_u32_e32 v10, vcc, v1, v2, vcc
	global_store_dwordx2 v[9:10], v[17:18], off
	s_waitcnt vmcnt(0)
	global_atomic_cmpswap_x2 v[2:3], v11, v[15:18], s[44:45] offset:32 glc
	s_waitcnt vmcnt(0)
	v_cmp_ne_u64_e32 vcc, v[2:3], v[17:18]
	s_and_saveexec_b64 s[18:19], vcc
	s_cbranch_execz .LBB10_679
; %bb.677:
	s_mov_b64 s[20:21], 0
.LBB10_678:                             ; =>This Inner Loop Header: Depth=1
	s_sleep 1
	global_store_dwordx2 v[9:10], v[2:3], off
	v_mov_b32_e32 v0, s10
	v_mov_b32_e32 v1, s11
	s_waitcnt vmcnt(0)
	global_atomic_cmpswap_x2 v[0:1], v11, v[0:3], s[44:45] offset:32 glc
	s_waitcnt vmcnt(0)
	v_cmp_eq_u64_e32 vcc, v[0:1], v[2:3]
	v_mov_b32_e32 v3, v1
	s_or_b64 s[20:21], vcc, s[20:21]
	v_mov_b32_e32 v2, v0
	s_andn2_b64 exec, exec, s[20:21]
	s_cbranch_execnz .LBB10_678
.LBB10_679:
	s_or_b64 exec, exec, s[18:19]
	v_mov_b32_e32 v3, 0
	global_load_dwordx2 v[0:1], v3, s[44:45] offset:16
	s_mov_b64 s[18:19], exec
	v_mbcnt_lo_u32_b32 v2, s18, 0
	v_mbcnt_hi_u32_b32 v2, s19, v2
	v_cmp_eq_u32_e32 vcc, 0, v2
	s_and_saveexec_b64 s[20:21], vcc
	s_cbranch_execz .LBB10_681
; %bb.680:
	s_bcnt1_i32_b64 s15, s[18:19]
	v_mov_b32_e32 v2, s15
	s_waitcnt vmcnt(0)
	global_atomic_add_x2 v[0:1], v[2:3], off offset:8
.LBB10_681:
	s_or_b64 exec, exec, s[20:21]
	s_waitcnt vmcnt(0)
	global_load_dwordx2 v[2:3], v[0:1], off offset:16
	s_waitcnt vmcnt(0)
	v_cmp_eq_u64_e32 vcc, 0, v[2:3]
	s_cbranch_vccnz .LBB10_683
; %bb.682:
	global_load_dword v0, v[0:1], off offset:24
	v_mov_b32_e32 v1, 0
	s_waitcnt vmcnt(0)
	global_store_dwordx2 v[2:3], v[0:1], off
	v_and_b32_e32 v0, 0xffffff, v0
	v_readfirstlane_b32 m0, v0
	s_sendmsg sendmsg(MSG_INTERRUPT)
.LBB10_683:
	s_or_b64 exec, exec, s[16:17]
	s_branch .LBB10_687
.LBB10_684:                             ;   in Loop: Header=BB10_687 Depth=1
	s_or_b64 exec, exec, s[16:17]
	v_readfirstlane_b32 s15, v0
	s_cmp_eq_u32 s15, 0
	s_cbranch_scc1 .LBB10_686
; %bb.685:                              ;   in Loop: Header=BB10_687 Depth=1
	s_sleep 1
	s_cbranch_execnz .LBB10_687
	s_branch .LBB10_689
.LBB10_686:
	s_branch .LBB10_689
.LBB10_687:                             ; =>This Inner Loop Header: Depth=1
	v_mov_b32_e32 v0, 1
	s_and_saveexec_b64 s[16:17], s[4:5]
	s_cbranch_execz .LBB10_684
; %bb.688:                              ;   in Loop: Header=BB10_687 Depth=1
	global_load_dword v0, v[6:7], off offset:20 glc
	s_waitcnt vmcnt(0)
	buffer_wbinvl1_vol
	v_and_b32_e32 v0, 1, v0
	s_branch .LBB10_684
.LBB10_689:
	global_load_dwordx2 v[0:1], v[13:14], off
	s_and_saveexec_b64 s[16:17], s[4:5]
	s_cbranch_execz .LBB10_692
; %bb.690:
	v_mov_b32_e32 v6, 0
	global_load_dwordx2 v[2:3], v6, s[44:45] offset:40
	global_load_dwordx2 v[13:14], v6, s[44:45] offset:24 glc
	global_load_dwordx2 v[15:16], v6, s[44:45]
	v_mov_b32_e32 v7, s11
	s_mov_b64 s[4:5], 0
	s_waitcnt vmcnt(2)
	v_add_co_u32_e32 v11, vcc, 1, v2
	v_addc_co_u32_e32 v12, vcc, 0, v3, vcc
	v_add_co_u32_e32 v9, vcc, s10, v11
	v_addc_co_u32_e32 v10, vcc, v12, v7, vcc
	v_cmp_eq_u64_e32 vcc, 0, v[9:10]
	v_cndmask_b32_e32 v10, v10, v12, vcc
	v_cndmask_b32_e32 v9, v9, v11, vcc
	v_and_b32_e32 v3, v10, v3
	v_and_b32_e32 v2, v9, v2
	v_mul_lo_u32 v3, v3, 24
	v_mul_hi_u32 v7, v2, 24
	v_mul_lo_u32 v2, v2, 24
	s_waitcnt vmcnt(1)
	v_mov_b32_e32 v11, v13
	v_mov_b32_e32 v12, v14
	v_add_u32_e32 v3, v7, v3
	s_waitcnt vmcnt(0)
	v_add_co_u32_e32 v2, vcc, v15, v2
	v_addc_co_u32_e32 v3, vcc, v16, v3, vcc
	global_store_dwordx2 v[2:3], v[13:14], off
	s_waitcnt vmcnt(0)
	global_atomic_cmpswap_x2 v[11:12], v6, v[9:12], s[44:45] offset:24 glc
	s_waitcnt vmcnt(0)
	v_cmp_ne_u64_e32 vcc, v[11:12], v[13:14]
	s_and_b64 exec, exec, vcc
	s_cbranch_execz .LBB10_692
.LBB10_691:                             ; =>This Inner Loop Header: Depth=1
	s_sleep 1
	global_store_dwordx2 v[2:3], v[11:12], off
	s_waitcnt vmcnt(0)
	global_atomic_cmpswap_x2 v[13:14], v6, v[9:12], s[44:45] offset:24 glc
	s_waitcnt vmcnt(0)
	v_cmp_eq_u64_e32 vcc, v[13:14], v[11:12]
	v_mov_b32_e32 v11, v13
	s_or_b64 s[4:5], vcc, s[4:5]
	v_mov_b32_e32 v12, v14
	s_andn2_b64 exec, exec, s[4:5]
	s_cbranch_execnz .LBB10_691
.LBB10_692:
	s_or_b64 exec, exec, s[16:17]
	s_and_b64 vcc, exec, s[46:47]
	s_cbranch_vccz .LBB10_777
; %bb.693:
	s_waitcnt vmcnt(0)
	v_and_b32_e32 v35, 2, v0
	v_mov_b32_e32 v3, 0
	v_and_b32_e32 v9, -3, v0
	v_mov_b32_e32 v10, v1
	s_mov_b64 s[16:17], 3
	v_mov_b32_e32 v13, 2
	v_mov_b32_e32 v14, 1
	s_getpc_b64 s[10:11]
	s_add_u32 s10, s10, .str.8@rel32@lo+4
	s_addc_u32 s11, s11, .str.8@rel32@hi+12
	s_branch .LBB10_695
.LBB10_694:                             ;   in Loop: Header=BB10_695 Depth=1
	s_or_b64 exec, exec, s[22:23]
	s_sub_u32 s16, s16, s18
	s_subb_u32 s17, s17, s19
	s_add_u32 s10, s10, s18
	s_addc_u32 s11, s11, s19
	s_cmp_lg_u64 s[16:17], 0
	s_cbranch_scc0 .LBB10_776
.LBB10_695:                             ; =>This Loop Header: Depth=1
                                        ;     Child Loop BB10_698 Depth 2
                                        ;     Child Loop BB10_705 Depth 2
	;; [unrolled: 1-line block ×11, first 2 shown]
	v_cmp_lt_u64_e64 s[4:5], s[16:17], 56
	v_cmp_gt_u64_e64 s[20:21], s[16:17], 7
	s_and_b64 s[4:5], s[4:5], exec
	s_cselect_b32 s19, s17, 0
	s_cselect_b32 s18, s16, 56
	s_and_b64 vcc, exec, s[20:21]
	s_cbranch_vccnz .LBB10_700
; %bb.696:                              ;   in Loop: Header=BB10_695 Depth=1
	v_mov_b32_e32 v17, 0
	s_cmp_eq_u64 s[16:17], 0
	v_mov_b32_e32 v18, 0
	s_mov_b64 s[4:5], 0
	s_cbranch_scc1 .LBB10_699
; %bb.697:                              ;   in Loop: Header=BB10_695 Depth=1
	v_mov_b32_e32 v17, 0
	s_lshl_b64 s[20:21], s[18:19], 3
	s_mov_b64 s[22:23], 0
	v_mov_b32_e32 v18, 0
	s_mov_b64 s[24:25], s[10:11]
.LBB10_698:                             ;   Parent Loop BB10_695 Depth=1
                                        ; =>  This Inner Loop Header: Depth=2
	global_load_ubyte v2, v3, s[24:25]
	s_waitcnt vmcnt(0)
	v_and_b32_e32 v2, 0xffff, v2
	v_lshlrev_b64 v[6:7], s22, v[2:3]
	s_add_u32 s22, s22, 8
	s_addc_u32 s23, s23, 0
	s_add_u32 s24, s24, 1
	s_addc_u32 s25, s25, 0
	v_or_b32_e32 v17, v6, v17
	s_cmp_lg_u32 s20, s22
	v_or_b32_e32 v18, v7, v18
	s_cbranch_scc1 .LBB10_698
.LBB10_699:                             ;   in Loop: Header=BB10_695 Depth=1
	s_mov_b32 s15, 0
	s_andn2_b64 vcc, exec, s[4:5]
	s_mov_b64 s[4:5], s[10:11]
	s_cbranch_vccz .LBB10_701
	s_branch .LBB10_702
.LBB10_700:                             ;   in Loop: Header=BB10_695 Depth=1
                                        ; implicit-def: $vgpr17_vgpr18
                                        ; implicit-def: $sgpr15
	s_mov_b64 s[4:5], s[10:11]
.LBB10_701:                             ;   in Loop: Header=BB10_695 Depth=1
	global_load_dwordx2 v[17:18], v3, s[10:11]
	s_add_i32 s15, s18, -8
	s_add_u32 s4, s10, 8
	s_addc_u32 s5, s11, 0
.LBB10_702:                             ;   in Loop: Header=BB10_695 Depth=1
	s_cmp_gt_u32 s15, 7
	s_cbranch_scc1 .LBB10_706
; %bb.703:                              ;   in Loop: Header=BB10_695 Depth=1
	s_cmp_eq_u32 s15, 0
	s_cbranch_scc1 .LBB10_707
; %bb.704:                              ;   in Loop: Header=BB10_695 Depth=1
	v_mov_b32_e32 v19, 0
	s_mov_b64 s[20:21], 0
	v_mov_b32_e32 v20, 0
	s_mov_b64 s[22:23], 0
.LBB10_705:                             ;   Parent Loop BB10_695 Depth=1
                                        ; =>  This Inner Loop Header: Depth=2
	s_add_u32 s24, s4, s22
	s_addc_u32 s25, s5, s23
	global_load_ubyte v2, v3, s[24:25]
	s_add_u32 s22, s22, 1
	s_addc_u32 s23, s23, 0
	s_waitcnt vmcnt(0)
	v_and_b32_e32 v2, 0xffff, v2
	v_lshlrev_b64 v[6:7], s20, v[2:3]
	s_add_u32 s20, s20, 8
	s_addc_u32 s21, s21, 0
	v_or_b32_e32 v19, v6, v19
	s_cmp_lg_u32 s15, s22
	v_or_b32_e32 v20, v7, v20
	s_cbranch_scc1 .LBB10_705
	s_branch .LBB10_708
.LBB10_706:                             ;   in Loop: Header=BB10_695 Depth=1
                                        ; implicit-def: $vgpr19_vgpr20
                                        ; implicit-def: $sgpr24
	s_branch .LBB10_709
.LBB10_707:                             ;   in Loop: Header=BB10_695 Depth=1
	v_mov_b32_e32 v19, 0
	v_mov_b32_e32 v20, 0
.LBB10_708:                             ;   in Loop: Header=BB10_695 Depth=1
	s_mov_b32 s24, 0
	s_cbranch_execnz .LBB10_710
.LBB10_709:                             ;   in Loop: Header=BB10_695 Depth=1
	global_load_dwordx2 v[19:20], v3, s[4:5]
	s_add_i32 s24, s15, -8
	s_add_u32 s4, s4, 8
	s_addc_u32 s5, s5, 0
.LBB10_710:                             ;   in Loop: Header=BB10_695 Depth=1
	s_cmp_gt_u32 s24, 7
	s_cbranch_scc1 .LBB10_714
; %bb.711:                              ;   in Loop: Header=BB10_695 Depth=1
	s_cmp_eq_u32 s24, 0
	s_cbranch_scc1 .LBB10_715
; %bb.712:                              ;   in Loop: Header=BB10_695 Depth=1
	v_mov_b32_e32 v21, 0
	s_mov_b64 s[20:21], 0
	v_mov_b32_e32 v22, 0
	s_mov_b64 s[22:23], 0
.LBB10_713:                             ;   Parent Loop BB10_695 Depth=1
                                        ; =>  This Inner Loop Header: Depth=2
	s_add_u32 s26, s4, s22
	s_addc_u32 s27, s5, s23
	global_load_ubyte v2, v3, s[26:27]
	s_add_u32 s22, s22, 1
	s_addc_u32 s23, s23, 0
	s_waitcnt vmcnt(0)
	v_and_b32_e32 v2, 0xffff, v2
	v_lshlrev_b64 v[6:7], s20, v[2:3]
	s_add_u32 s20, s20, 8
	s_addc_u32 s21, s21, 0
	v_or_b32_e32 v21, v6, v21
	s_cmp_lg_u32 s24, s22
	v_or_b32_e32 v22, v7, v22
	s_cbranch_scc1 .LBB10_713
	s_branch .LBB10_716
.LBB10_714:                             ;   in Loop: Header=BB10_695 Depth=1
                                        ; implicit-def: $sgpr15
	s_branch .LBB10_717
.LBB10_715:                             ;   in Loop: Header=BB10_695 Depth=1
	v_mov_b32_e32 v21, 0
	v_mov_b32_e32 v22, 0
.LBB10_716:                             ;   in Loop: Header=BB10_695 Depth=1
	s_mov_b32 s15, 0
	s_cbranch_execnz .LBB10_718
.LBB10_717:                             ;   in Loop: Header=BB10_695 Depth=1
	global_load_dwordx2 v[21:22], v3, s[4:5]
	s_add_i32 s15, s24, -8
	s_add_u32 s4, s4, 8
	s_addc_u32 s5, s5, 0
.LBB10_718:                             ;   in Loop: Header=BB10_695 Depth=1
	s_cmp_gt_u32 s15, 7
	s_cbranch_scc1 .LBB10_722
; %bb.719:                              ;   in Loop: Header=BB10_695 Depth=1
	s_cmp_eq_u32 s15, 0
	s_cbranch_scc1 .LBB10_723
; %bb.720:                              ;   in Loop: Header=BB10_695 Depth=1
	v_mov_b32_e32 v23, 0
	s_mov_b64 s[20:21], 0
	v_mov_b32_e32 v24, 0
	s_mov_b64 s[22:23], 0
.LBB10_721:                             ;   Parent Loop BB10_695 Depth=1
                                        ; =>  This Inner Loop Header: Depth=2
	s_add_u32 s24, s4, s22
	s_addc_u32 s25, s5, s23
	global_load_ubyte v2, v3, s[24:25]
	s_add_u32 s22, s22, 1
	s_addc_u32 s23, s23, 0
	s_waitcnt vmcnt(0)
	v_and_b32_e32 v2, 0xffff, v2
	v_lshlrev_b64 v[6:7], s20, v[2:3]
	s_add_u32 s20, s20, 8
	s_addc_u32 s21, s21, 0
	v_or_b32_e32 v23, v6, v23
	s_cmp_lg_u32 s15, s22
	v_or_b32_e32 v24, v7, v24
	s_cbranch_scc1 .LBB10_721
	s_branch .LBB10_724
.LBB10_722:                             ;   in Loop: Header=BB10_695 Depth=1
                                        ; implicit-def: $vgpr23_vgpr24
                                        ; implicit-def: $sgpr24
	s_branch .LBB10_725
.LBB10_723:                             ;   in Loop: Header=BB10_695 Depth=1
	v_mov_b32_e32 v23, 0
	v_mov_b32_e32 v24, 0
.LBB10_724:                             ;   in Loop: Header=BB10_695 Depth=1
	s_mov_b32 s24, 0
	s_cbranch_execnz .LBB10_726
.LBB10_725:                             ;   in Loop: Header=BB10_695 Depth=1
	global_load_dwordx2 v[23:24], v3, s[4:5]
	s_add_i32 s24, s15, -8
	s_add_u32 s4, s4, 8
	s_addc_u32 s5, s5, 0
.LBB10_726:                             ;   in Loop: Header=BB10_695 Depth=1
	s_cmp_gt_u32 s24, 7
	s_cbranch_scc1 .LBB10_730
; %bb.727:                              ;   in Loop: Header=BB10_695 Depth=1
	s_cmp_eq_u32 s24, 0
	s_cbranch_scc1 .LBB10_731
; %bb.728:                              ;   in Loop: Header=BB10_695 Depth=1
	v_mov_b32_e32 v25, 0
	s_mov_b64 s[20:21], 0
	v_mov_b32_e32 v26, 0
	s_mov_b64 s[22:23], 0
.LBB10_729:                             ;   Parent Loop BB10_695 Depth=1
                                        ; =>  This Inner Loop Header: Depth=2
	s_add_u32 s26, s4, s22
	s_addc_u32 s27, s5, s23
	global_load_ubyte v2, v3, s[26:27]
	s_add_u32 s22, s22, 1
	s_addc_u32 s23, s23, 0
	s_waitcnt vmcnt(0)
	v_and_b32_e32 v2, 0xffff, v2
	v_lshlrev_b64 v[6:7], s20, v[2:3]
	s_add_u32 s20, s20, 8
	s_addc_u32 s21, s21, 0
	v_or_b32_e32 v25, v6, v25
	s_cmp_lg_u32 s24, s22
	v_or_b32_e32 v26, v7, v26
	s_cbranch_scc1 .LBB10_729
	s_branch .LBB10_732
.LBB10_730:                             ;   in Loop: Header=BB10_695 Depth=1
                                        ; implicit-def: $sgpr15
	s_branch .LBB10_733
.LBB10_731:                             ;   in Loop: Header=BB10_695 Depth=1
	v_mov_b32_e32 v25, 0
	v_mov_b32_e32 v26, 0
.LBB10_732:                             ;   in Loop: Header=BB10_695 Depth=1
	s_mov_b32 s15, 0
	s_cbranch_execnz .LBB10_734
.LBB10_733:                             ;   in Loop: Header=BB10_695 Depth=1
	global_load_dwordx2 v[25:26], v3, s[4:5]
	s_add_i32 s15, s24, -8
	s_add_u32 s4, s4, 8
	s_addc_u32 s5, s5, 0
.LBB10_734:                             ;   in Loop: Header=BB10_695 Depth=1
	s_cmp_gt_u32 s15, 7
	s_cbranch_scc1 .LBB10_738
; %bb.735:                              ;   in Loop: Header=BB10_695 Depth=1
	s_cmp_eq_u32 s15, 0
	s_cbranch_scc1 .LBB10_739
; %bb.736:                              ;   in Loop: Header=BB10_695 Depth=1
	v_mov_b32_e32 v27, 0
	s_mov_b64 s[20:21], 0
	v_mov_b32_e32 v28, 0
	s_mov_b64 s[22:23], 0
.LBB10_737:                             ;   Parent Loop BB10_695 Depth=1
                                        ; =>  This Inner Loop Header: Depth=2
	s_add_u32 s24, s4, s22
	s_addc_u32 s25, s5, s23
	global_load_ubyte v2, v3, s[24:25]
	s_add_u32 s22, s22, 1
	s_addc_u32 s23, s23, 0
	s_waitcnt vmcnt(0)
	v_and_b32_e32 v2, 0xffff, v2
	v_lshlrev_b64 v[6:7], s20, v[2:3]
	s_add_u32 s20, s20, 8
	s_addc_u32 s21, s21, 0
	v_or_b32_e32 v27, v6, v27
	s_cmp_lg_u32 s15, s22
	v_or_b32_e32 v28, v7, v28
	s_cbranch_scc1 .LBB10_737
	s_branch .LBB10_740
.LBB10_738:                             ;   in Loop: Header=BB10_695 Depth=1
                                        ; implicit-def: $vgpr27_vgpr28
                                        ; implicit-def: $sgpr24
	s_branch .LBB10_741
.LBB10_739:                             ;   in Loop: Header=BB10_695 Depth=1
	v_mov_b32_e32 v27, 0
	v_mov_b32_e32 v28, 0
.LBB10_740:                             ;   in Loop: Header=BB10_695 Depth=1
	s_mov_b32 s24, 0
	s_cbranch_execnz .LBB10_742
.LBB10_741:                             ;   in Loop: Header=BB10_695 Depth=1
	global_load_dwordx2 v[27:28], v3, s[4:5]
	s_add_i32 s24, s15, -8
	s_add_u32 s4, s4, 8
	s_addc_u32 s5, s5, 0
.LBB10_742:                             ;   in Loop: Header=BB10_695 Depth=1
	s_cmp_gt_u32 s24, 7
	s_cbranch_scc1 .LBB10_746
; %bb.743:                              ;   in Loop: Header=BB10_695 Depth=1
	s_cmp_eq_u32 s24, 0
	s_cbranch_scc1 .LBB10_747
; %bb.744:                              ;   in Loop: Header=BB10_695 Depth=1
	v_mov_b32_e32 v29, 0
	s_mov_b64 s[20:21], 0
	v_mov_b32_e32 v30, 0
	s_mov_b64 s[22:23], s[4:5]
.LBB10_745:                             ;   Parent Loop BB10_695 Depth=1
                                        ; =>  This Inner Loop Header: Depth=2
	global_load_ubyte v2, v3, s[22:23]
	s_add_i32 s24, s24, -1
	s_waitcnt vmcnt(0)
	v_and_b32_e32 v2, 0xffff, v2
	v_lshlrev_b64 v[6:7], s20, v[2:3]
	s_add_u32 s20, s20, 8
	s_addc_u32 s21, s21, 0
	s_add_u32 s22, s22, 1
	s_addc_u32 s23, s23, 0
	v_or_b32_e32 v29, v6, v29
	s_cmp_lg_u32 s24, 0
	v_or_b32_e32 v30, v7, v30
	s_cbranch_scc1 .LBB10_745
	s_branch .LBB10_748
.LBB10_746:                             ;   in Loop: Header=BB10_695 Depth=1
	s_branch .LBB10_749
.LBB10_747:                             ;   in Loop: Header=BB10_695 Depth=1
	v_mov_b32_e32 v29, 0
	v_mov_b32_e32 v30, 0
.LBB10_748:                             ;   in Loop: Header=BB10_695 Depth=1
	s_cbranch_execnz .LBB10_750
.LBB10_749:                             ;   in Loop: Header=BB10_695 Depth=1
	global_load_dwordx2 v[29:30], v3, s[4:5]
.LBB10_750:                             ;   in Loop: Header=BB10_695 Depth=1
	v_readfirstlane_b32 s4, v51
	v_mov_b32_e32 v6, 0
	v_mov_b32_e32 v7, 0
	v_cmp_eq_u32_e64 s[4:5], s4, v51
	s_and_saveexec_b64 s[20:21], s[4:5]
	s_cbranch_execz .LBB10_756
; %bb.751:                              ;   in Loop: Header=BB10_695 Depth=1
	global_load_dwordx2 v[33:34], v3, s[44:45] offset:24 glc
	s_waitcnt vmcnt(0)
	buffer_wbinvl1_vol
	global_load_dwordx2 v[6:7], v3, s[44:45] offset:40
	global_load_dwordx2 v[11:12], v3, s[44:45]
	s_waitcnt vmcnt(1)
	v_and_b32_e32 v2, v6, v33
	v_and_b32_e32 v6, v7, v34
	v_mul_lo_u32 v6, v6, 24
	v_mul_hi_u32 v7, v2, 24
	v_mul_lo_u32 v2, v2, 24
	v_add_u32_e32 v7, v7, v6
	s_waitcnt vmcnt(0)
	v_add_co_u32_e32 v6, vcc, v11, v2
	v_addc_co_u32_e32 v7, vcc, v12, v7, vcc
	global_load_dwordx2 v[31:32], v[6:7], off glc
	s_waitcnt vmcnt(0)
	global_atomic_cmpswap_x2 v[6:7], v3, v[31:34], s[44:45] offset:24 glc
	s_waitcnt vmcnt(0)
	buffer_wbinvl1_vol
	v_cmp_ne_u64_e32 vcc, v[6:7], v[33:34]
	s_and_saveexec_b64 s[22:23], vcc
	s_cbranch_execz .LBB10_755
; %bb.752:                              ;   in Loop: Header=BB10_695 Depth=1
	s_mov_b64 s[24:25], 0
.LBB10_753:                             ;   Parent Loop BB10_695 Depth=1
                                        ; =>  This Inner Loop Header: Depth=2
	s_sleep 1
	global_load_dwordx2 v[11:12], v3, s[44:45] offset:40
	global_load_dwordx2 v[15:16], v3, s[44:45]
	v_mov_b32_e32 v34, v7
	v_mov_b32_e32 v33, v6
	s_waitcnt vmcnt(1)
	v_and_b32_e32 v2, v11, v33
	s_waitcnt vmcnt(0)
	v_mad_u64_u32 v[6:7], s[26:27], v2, 24, v[15:16]
	v_and_b32_e32 v11, v12, v34
	v_mov_b32_e32 v2, v7
	v_mad_u64_u32 v[11:12], s[26:27], v11, 24, v[2:3]
	v_mov_b32_e32 v7, v11
	global_load_dwordx2 v[31:32], v[6:7], off glc
	s_waitcnt vmcnt(0)
	global_atomic_cmpswap_x2 v[6:7], v3, v[31:34], s[44:45] offset:24 glc
	s_waitcnt vmcnt(0)
	buffer_wbinvl1_vol
	v_cmp_eq_u64_e32 vcc, v[6:7], v[33:34]
	s_or_b64 s[24:25], vcc, s[24:25]
	s_andn2_b64 exec, exec, s[24:25]
	s_cbranch_execnz .LBB10_753
; %bb.754:                              ;   in Loop: Header=BB10_695 Depth=1
	s_or_b64 exec, exec, s[24:25]
.LBB10_755:                             ;   in Loop: Header=BB10_695 Depth=1
	s_or_b64 exec, exec, s[22:23]
.LBB10_756:                             ;   in Loop: Header=BB10_695 Depth=1
	s_or_b64 exec, exec, s[20:21]
	global_load_dwordx2 v[11:12], v3, s[44:45] offset:40
	global_load_dwordx4 v[31:34], v3, s[44:45]
	v_readfirstlane_b32 s20, v6
	v_readfirstlane_b32 s21, v7
	s_mov_b64 s[22:23], exec
	s_waitcnt vmcnt(1)
	v_readfirstlane_b32 s24, v11
	v_readfirstlane_b32 s25, v12
	s_and_b64 s[24:25], s[20:21], s[24:25]
	s_mul_i32 s15, s25, 24
	s_mul_hi_u32 s26, s24, 24
	s_mul_i32 s27, s24, 24
	s_add_i32 s15, s26, s15
	v_mov_b32_e32 v2, s15
	s_waitcnt vmcnt(0)
	v_add_co_u32_e32 v6, vcc, s27, v31
	v_addc_co_u32_e32 v7, vcc, v32, v2, vcc
	s_and_saveexec_b64 s[26:27], s[4:5]
	s_cbranch_execz .LBB10_758
; %bb.757:                              ;   in Loop: Header=BB10_695 Depth=1
	v_mov_b32_e32 v11, s22
	v_mov_b32_e32 v12, s23
	global_store_dwordx4 v[6:7], v[11:14], off offset:8
.LBB10_758:                             ;   in Loop: Header=BB10_695 Depth=1
	s_or_b64 exec, exec, s[26:27]
	s_lshl_b64 s[22:23], s[24:25], 12
	v_mov_b32_e32 v2, s23
	v_add_co_u32_e32 v33, vcc, s22, v33
	v_addc_co_u32_e32 v34, vcc, v34, v2, vcc
	v_cmp_gt_u64_e64 vcc, s[16:17], 56
	v_or_b32_e32 v2, 0, v10
	v_or_b32_e32 v11, v9, v35
	s_lshl_b32 s15, s18, 2
	v_cndmask_b32_e32 v16, v2, v10, vcc
	v_cndmask_b32_e32 v2, v11, v9, vcc
	s_add_i32 s15, s15, 28
	s_and_b32 s15, s15, 0x1e0
	v_and_b32_e32 v2, 0xffffff1f, v2
	v_or_b32_e32 v15, s15, v2
	v_readfirstlane_b32 s22, v33
	v_readfirstlane_b32 s23, v34
	s_nop 4
	global_store_dwordx4 v50, v[15:18], s[22:23]
	global_store_dwordx4 v50, v[19:22], s[22:23] offset:16
	global_store_dwordx4 v50, v[23:26], s[22:23] offset:32
	;; [unrolled: 1-line block ×3, first 2 shown]
	s_and_saveexec_b64 s[22:23], s[4:5]
	s_cbranch_execz .LBB10_766
; %bb.759:                              ;   in Loop: Header=BB10_695 Depth=1
	global_load_dwordx2 v[19:20], v3, s[44:45] offset:32 glc
	global_load_dwordx2 v[9:10], v3, s[44:45] offset:40
	v_mov_b32_e32 v17, s20
	v_mov_b32_e32 v18, s21
	s_waitcnt vmcnt(0)
	v_readfirstlane_b32 s24, v9
	v_readfirstlane_b32 s25, v10
	s_and_b64 s[24:25], s[24:25], s[20:21]
	s_mul_i32 s15, s25, 24
	s_mul_hi_u32 s25, s24, 24
	s_mul_i32 s24, s24, 24
	s_add_i32 s15, s25, s15
	v_mov_b32_e32 v2, s15
	v_add_co_u32_e32 v15, vcc, s24, v31
	v_addc_co_u32_e32 v16, vcc, v32, v2, vcc
	global_store_dwordx2 v[15:16], v[19:20], off
	s_waitcnt vmcnt(0)
	global_atomic_cmpswap_x2 v[11:12], v3, v[17:20], s[44:45] offset:32 glc
	s_waitcnt vmcnt(0)
	v_cmp_ne_u64_e32 vcc, v[11:12], v[19:20]
	s_and_saveexec_b64 s[24:25], vcc
	s_cbranch_execz .LBB10_762
; %bb.760:                              ;   in Loop: Header=BB10_695 Depth=1
	s_mov_b64 s[26:27], 0
.LBB10_761:                             ;   Parent Loop BB10_695 Depth=1
                                        ; =>  This Inner Loop Header: Depth=2
	s_sleep 1
	global_store_dwordx2 v[15:16], v[11:12], off
	v_mov_b32_e32 v9, s20
	v_mov_b32_e32 v10, s21
	s_waitcnt vmcnt(0)
	global_atomic_cmpswap_x2 v[9:10], v3, v[9:12], s[44:45] offset:32 glc
	s_waitcnt vmcnt(0)
	v_cmp_eq_u64_e32 vcc, v[9:10], v[11:12]
	v_mov_b32_e32 v12, v10
	s_or_b64 s[26:27], vcc, s[26:27]
	v_mov_b32_e32 v11, v9
	s_andn2_b64 exec, exec, s[26:27]
	s_cbranch_execnz .LBB10_761
.LBB10_762:                             ;   in Loop: Header=BB10_695 Depth=1
	s_or_b64 exec, exec, s[24:25]
	global_load_dwordx2 v[9:10], v3, s[44:45] offset:16
	s_mov_b64 s[26:27], exec
	v_mbcnt_lo_u32_b32 v2, s26, 0
	v_mbcnt_hi_u32_b32 v2, s27, v2
	v_cmp_eq_u32_e32 vcc, 0, v2
	s_and_saveexec_b64 s[24:25], vcc
	s_cbranch_execz .LBB10_764
; %bb.763:                              ;   in Loop: Header=BB10_695 Depth=1
	s_bcnt1_i32_b64 s15, s[26:27]
	v_mov_b32_e32 v2, s15
	s_waitcnt vmcnt(0)
	global_atomic_add_x2 v[9:10], v[2:3], off offset:8
.LBB10_764:                             ;   in Loop: Header=BB10_695 Depth=1
	s_or_b64 exec, exec, s[24:25]
	s_waitcnt vmcnt(0)
	global_load_dwordx2 v[11:12], v[9:10], off offset:16
	s_waitcnt vmcnt(0)
	v_cmp_eq_u64_e32 vcc, 0, v[11:12]
	s_cbranch_vccnz .LBB10_766
; %bb.765:                              ;   in Loop: Header=BB10_695 Depth=1
	global_load_dword v2, v[9:10], off offset:24
	s_waitcnt vmcnt(0)
	global_store_dwordx2 v[11:12], v[2:3], off
	v_and_b32_e32 v2, 0xffffff, v2
	v_readfirstlane_b32 m0, v2
	s_sendmsg sendmsg(MSG_INTERRUPT)
.LBB10_766:                             ;   in Loop: Header=BB10_695 Depth=1
	s_or_b64 exec, exec, s[22:23]
	v_add_co_u32_e32 v9, vcc, v33, v50
	v_addc_co_u32_e32 v10, vcc, 0, v34, vcc
	s_branch .LBB10_770
.LBB10_767:                             ;   in Loop: Header=BB10_770 Depth=2
	s_or_b64 exec, exec, s[22:23]
	v_readfirstlane_b32 s15, v2
	s_cmp_eq_u32 s15, 0
	s_cbranch_scc1 .LBB10_769
; %bb.768:                              ;   in Loop: Header=BB10_770 Depth=2
	s_sleep 1
	s_cbranch_execnz .LBB10_770
	s_branch .LBB10_772
.LBB10_769:                             ;   in Loop: Header=BB10_695 Depth=1
	s_branch .LBB10_772
.LBB10_770:                             ;   Parent Loop BB10_695 Depth=1
                                        ; =>  This Inner Loop Header: Depth=2
	v_mov_b32_e32 v2, 1
	s_and_saveexec_b64 s[22:23], s[4:5]
	s_cbranch_execz .LBB10_767
; %bb.771:                              ;   in Loop: Header=BB10_770 Depth=2
	global_load_dword v2, v[6:7], off offset:20 glc
	s_waitcnt vmcnt(0)
	buffer_wbinvl1_vol
	v_and_b32_e32 v2, 1, v2
	s_branch .LBB10_767
.LBB10_772:                             ;   in Loop: Header=BB10_695 Depth=1
	global_load_dwordx4 v[9:12], v[9:10], off
	s_and_saveexec_b64 s[22:23], s[4:5]
	s_cbranch_execz .LBB10_694
; %bb.773:                              ;   in Loop: Header=BB10_695 Depth=1
	global_load_dwordx2 v[6:7], v3, s[44:45] offset:40
	global_load_dwordx2 v[11:12], v3, s[44:45] offset:24 glc
	global_load_dwordx2 v[18:19], v3, s[44:45]
	v_mov_b32_e32 v2, s21
	s_waitcnt vmcnt(2)
	v_add_co_u32_e32 v17, vcc, 1, v6
	v_addc_co_u32_e32 v20, vcc, 0, v7, vcc
	v_add_co_u32_e32 v15, vcc, s20, v17
	v_addc_co_u32_e32 v16, vcc, v20, v2, vcc
	v_cmp_eq_u64_e32 vcc, 0, v[15:16]
	v_cndmask_b32_e32 v16, v16, v20, vcc
	v_cndmask_b32_e32 v15, v15, v17, vcc
	v_and_b32_e32 v2, v16, v7
	v_and_b32_e32 v6, v15, v6
	v_mul_lo_u32 v2, v2, 24
	v_mul_hi_u32 v7, v6, 24
	v_mul_lo_u32 v6, v6, 24
	s_waitcnt vmcnt(1)
	v_mov_b32_e32 v17, v11
	v_add_u32_e32 v2, v7, v2
	s_waitcnt vmcnt(0)
	v_add_co_u32_e32 v6, vcc, v18, v6
	v_addc_co_u32_e32 v7, vcc, v19, v2, vcc
	global_store_dwordx2 v[6:7], v[11:12], off
	v_mov_b32_e32 v18, v12
	s_waitcnt vmcnt(0)
	global_atomic_cmpswap_x2 v[17:18], v3, v[15:18], s[44:45] offset:24 glc
	s_waitcnt vmcnt(0)
	v_cmp_ne_u64_e32 vcc, v[17:18], v[11:12]
	s_and_b64 exec, exec, vcc
	s_cbranch_execz .LBB10_694
; %bb.774:                              ;   in Loop: Header=BB10_695 Depth=1
	s_mov_b64 s[4:5], 0
.LBB10_775:                             ;   Parent Loop BB10_695 Depth=1
                                        ; =>  This Inner Loop Header: Depth=2
	s_sleep 1
	global_store_dwordx2 v[6:7], v[17:18], off
	s_waitcnt vmcnt(0)
	global_atomic_cmpswap_x2 v[11:12], v3, v[15:18], s[44:45] offset:24 glc
	s_waitcnt vmcnt(0)
	v_cmp_eq_u64_e32 vcc, v[11:12], v[17:18]
	v_mov_b32_e32 v18, v12
	s_or_b64 s[4:5], vcc, s[4:5]
	v_mov_b32_e32 v17, v11
	s_andn2_b64 exec, exec, s[4:5]
	s_cbranch_execnz .LBB10_775
	s_branch .LBB10_694
.LBB10_776:
	s_branch .LBB10_804
.LBB10_777:
                                        ; implicit-def: $vgpr9_vgpr10
	s_cbranch_execz .LBB10_804
; %bb.778:
	v_readfirstlane_b32 s4, v51
	v_mov_b32_e32 v6, 0
	v_mov_b32_e32 v7, 0
	v_cmp_eq_u32_e64 s[4:5], s4, v51
	s_and_saveexec_b64 s[10:11], s[4:5]
	s_cbranch_execz .LBB10_784
; %bb.779:
	v_mov_b32_e32 v2, 0
	global_load_dwordx2 v[11:12], v2, s[44:45] offset:24 glc
	s_waitcnt vmcnt(0)
	buffer_wbinvl1_vol
	global_load_dwordx2 v[6:7], v2, s[44:45] offset:40
	global_load_dwordx2 v[9:10], v2, s[44:45]
	s_waitcnt vmcnt(1)
	v_and_b32_e32 v3, v6, v11
	v_and_b32_e32 v6, v7, v12
	v_mul_lo_u32 v6, v6, 24
	v_mul_hi_u32 v7, v3, 24
	v_mul_lo_u32 v3, v3, 24
	v_add_u32_e32 v7, v7, v6
	s_waitcnt vmcnt(0)
	v_add_co_u32_e32 v6, vcc, v9, v3
	v_addc_co_u32_e32 v7, vcc, v10, v7, vcc
	global_load_dwordx2 v[9:10], v[6:7], off glc
	s_waitcnt vmcnt(0)
	global_atomic_cmpswap_x2 v[6:7], v2, v[9:12], s[44:45] offset:24 glc
	s_waitcnt vmcnt(0)
	buffer_wbinvl1_vol
	v_cmp_ne_u64_e32 vcc, v[6:7], v[11:12]
	s_and_saveexec_b64 s[16:17], vcc
	s_cbranch_execz .LBB10_783
; %bb.780:
	s_mov_b64 s[18:19], 0
.LBB10_781:                             ; =>This Inner Loop Header: Depth=1
	s_sleep 1
	global_load_dwordx2 v[9:10], v2, s[44:45] offset:40
	global_load_dwordx2 v[13:14], v2, s[44:45]
	v_mov_b32_e32 v12, v7
	v_mov_b32_e32 v11, v6
	s_waitcnt vmcnt(1)
	v_and_b32_e32 v3, v9, v11
	s_waitcnt vmcnt(0)
	v_mad_u64_u32 v[6:7], s[20:21], v3, 24, v[13:14]
	v_and_b32_e32 v9, v10, v12
	v_mov_b32_e32 v3, v7
	v_mad_u64_u32 v[9:10], s[20:21], v9, 24, v[3:4]
	v_mov_b32_e32 v7, v9
	global_load_dwordx2 v[9:10], v[6:7], off glc
	s_waitcnt vmcnt(0)
	global_atomic_cmpswap_x2 v[6:7], v2, v[9:12], s[44:45] offset:24 glc
	s_waitcnt vmcnt(0)
	buffer_wbinvl1_vol
	v_cmp_eq_u64_e32 vcc, v[6:7], v[11:12]
	s_or_b64 s[18:19], vcc, s[18:19]
	s_andn2_b64 exec, exec, s[18:19]
	s_cbranch_execnz .LBB10_781
; %bb.782:
	s_or_b64 exec, exec, s[18:19]
.LBB10_783:
	s_or_b64 exec, exec, s[16:17]
.LBB10_784:
	s_or_b64 exec, exec, s[10:11]
	v_mov_b32_e32 v2, 0
	global_load_dwordx2 v[13:14], v2, s[44:45] offset:40
	global_load_dwordx4 v[9:12], v2, s[44:45]
	v_readfirstlane_b32 s10, v6
	v_readfirstlane_b32 s11, v7
	s_mov_b64 s[16:17], exec
	s_waitcnt vmcnt(1)
	v_readfirstlane_b32 s18, v13
	v_readfirstlane_b32 s19, v14
	s_and_b64 s[18:19], s[10:11], s[18:19]
	s_mul_i32 s15, s19, 24
	s_mul_hi_u32 s20, s18, 24
	s_mul_i32 s21, s18, 24
	s_add_i32 s15, s20, s15
	v_mov_b32_e32 v3, s15
	s_waitcnt vmcnt(0)
	v_add_co_u32_e32 v6, vcc, s21, v9
	v_addc_co_u32_e32 v7, vcc, v10, v3, vcc
	s_and_saveexec_b64 s[20:21], s[4:5]
	s_cbranch_execz .LBB10_786
; %bb.785:
	v_mov_b32_e32 v13, s16
	v_mov_b32_e32 v14, s17
	;; [unrolled: 1-line block ×4, first 2 shown]
	global_store_dwordx4 v[6:7], v[13:16], off offset:8
.LBB10_786:
	s_or_b64 exec, exec, s[20:21]
	s_lshl_b64 s[16:17], s[18:19], 12
	v_mov_b32_e32 v3, s17
	v_add_co_u32_e32 v13, vcc, s16, v11
	v_addc_co_u32_e32 v14, vcc, v12, v3, vcc
	s_movk_i32 s15, 0xff1f
	v_and_or_b32 v0, v0, s15, 32
	s_mov_b32 s16, 0
	v_mov_b32_e32 v3, v2
	v_readfirstlane_b32 s20, v13
	v_readfirstlane_b32 s21, v14
	v_add_co_u32_e32 v11, vcc, v13, v50
	s_mov_b32 s17, s16
	s_mov_b32 s18, s16
	;; [unrolled: 1-line block ×3, first 2 shown]
	s_nop 0
	global_store_dwordx4 v50, v[0:3], s[20:21]
	v_addc_co_u32_e32 v12, vcc, 0, v14, vcc
	v_mov_b32_e32 v0, s16
	v_mov_b32_e32 v1, s17
	;; [unrolled: 1-line block ×4, first 2 shown]
	global_store_dwordx4 v50, v[0:3], s[20:21] offset:16
	global_store_dwordx4 v50, v[0:3], s[20:21] offset:32
	;; [unrolled: 1-line block ×3, first 2 shown]
	s_and_saveexec_b64 s[16:17], s[4:5]
	s_cbranch_execz .LBB10_794
; %bb.787:
	v_mov_b32_e32 v13, 0
	global_load_dwordx2 v[16:17], v13, s[44:45] offset:32 glc
	global_load_dwordx2 v[0:1], v13, s[44:45] offset:40
	v_mov_b32_e32 v14, s10
	v_mov_b32_e32 v15, s11
	s_waitcnt vmcnt(0)
	v_readfirstlane_b32 s18, v0
	v_readfirstlane_b32 s19, v1
	s_and_b64 s[18:19], s[18:19], s[10:11]
	s_mul_i32 s15, s19, 24
	s_mul_hi_u32 s19, s18, 24
	s_mul_i32 s18, s18, 24
	s_add_i32 s15, s19, s15
	v_mov_b32_e32 v0, s15
	v_add_co_u32_e32 v9, vcc, s18, v9
	v_addc_co_u32_e32 v10, vcc, v10, v0, vcc
	global_store_dwordx2 v[9:10], v[16:17], off
	s_waitcnt vmcnt(0)
	global_atomic_cmpswap_x2 v[2:3], v13, v[14:17], s[44:45] offset:32 glc
	s_waitcnt vmcnt(0)
	v_cmp_ne_u64_e32 vcc, v[2:3], v[16:17]
	s_and_saveexec_b64 s[18:19], vcc
	s_cbranch_execz .LBB10_790
; %bb.788:
	s_mov_b64 s[20:21], 0
.LBB10_789:                             ; =>This Inner Loop Header: Depth=1
	s_sleep 1
	global_store_dwordx2 v[9:10], v[2:3], off
	v_mov_b32_e32 v0, s10
	v_mov_b32_e32 v1, s11
	s_waitcnt vmcnt(0)
	global_atomic_cmpswap_x2 v[0:1], v13, v[0:3], s[44:45] offset:32 glc
	s_waitcnt vmcnt(0)
	v_cmp_eq_u64_e32 vcc, v[0:1], v[2:3]
	v_mov_b32_e32 v3, v1
	s_or_b64 s[20:21], vcc, s[20:21]
	v_mov_b32_e32 v2, v0
	s_andn2_b64 exec, exec, s[20:21]
	s_cbranch_execnz .LBB10_789
.LBB10_790:
	s_or_b64 exec, exec, s[18:19]
	v_mov_b32_e32 v3, 0
	global_load_dwordx2 v[0:1], v3, s[44:45] offset:16
	s_mov_b64 s[18:19], exec
	v_mbcnt_lo_u32_b32 v2, s18, 0
	v_mbcnt_hi_u32_b32 v2, s19, v2
	v_cmp_eq_u32_e32 vcc, 0, v2
	s_and_saveexec_b64 s[20:21], vcc
	s_cbranch_execz .LBB10_792
; %bb.791:
	s_bcnt1_i32_b64 s15, s[18:19]
	v_mov_b32_e32 v2, s15
	s_waitcnt vmcnt(0)
	global_atomic_add_x2 v[0:1], v[2:3], off offset:8
.LBB10_792:
	s_or_b64 exec, exec, s[20:21]
	s_waitcnt vmcnt(0)
	global_load_dwordx2 v[2:3], v[0:1], off offset:16
	s_waitcnt vmcnt(0)
	v_cmp_eq_u64_e32 vcc, 0, v[2:3]
	s_cbranch_vccnz .LBB10_794
; %bb.793:
	global_load_dword v0, v[0:1], off offset:24
	v_mov_b32_e32 v1, 0
	s_waitcnt vmcnt(0)
	global_store_dwordx2 v[2:3], v[0:1], off
	v_and_b32_e32 v0, 0xffffff, v0
	v_readfirstlane_b32 m0, v0
	s_sendmsg sendmsg(MSG_INTERRUPT)
.LBB10_794:
	s_or_b64 exec, exec, s[16:17]
	s_branch .LBB10_798
.LBB10_795:                             ;   in Loop: Header=BB10_798 Depth=1
	s_or_b64 exec, exec, s[16:17]
	v_readfirstlane_b32 s15, v0
	s_cmp_eq_u32 s15, 0
	s_cbranch_scc1 .LBB10_797
; %bb.796:                              ;   in Loop: Header=BB10_798 Depth=1
	s_sleep 1
	s_cbranch_execnz .LBB10_798
	s_branch .LBB10_800
.LBB10_797:
	s_branch .LBB10_800
.LBB10_798:                             ; =>This Inner Loop Header: Depth=1
	v_mov_b32_e32 v0, 1
	s_and_saveexec_b64 s[16:17], s[4:5]
	s_cbranch_execz .LBB10_795
; %bb.799:                              ;   in Loop: Header=BB10_798 Depth=1
	global_load_dword v0, v[6:7], off offset:20 glc
	s_waitcnt vmcnt(0)
	buffer_wbinvl1_vol
	v_and_b32_e32 v0, 1, v0
	s_branch .LBB10_795
.LBB10_800:
	global_load_dwordx2 v[9:10], v[11:12], off
	s_and_saveexec_b64 s[16:17], s[4:5]
	s_cbranch_execz .LBB10_803
; %bb.801:
	v_mov_b32_e32 v11, 0
	global_load_dwordx2 v[2:3], v11, s[44:45] offset:40
	global_load_dwordx2 v[12:13], v11, s[44:45] offset:24 glc
	global_load_dwordx2 v[6:7], v11, s[44:45]
	v_mov_b32_e32 v1, s11
	s_mov_b64 s[4:5], 0
	s_waitcnt vmcnt(2)
	v_add_co_u32_e32 v14, vcc, 1, v2
	v_addc_co_u32_e32 v15, vcc, 0, v3, vcc
	v_add_co_u32_e32 v0, vcc, s10, v14
	v_addc_co_u32_e32 v1, vcc, v15, v1, vcc
	v_cmp_eq_u64_e32 vcc, 0, v[0:1]
	v_cndmask_b32_e32 v1, v1, v15, vcc
	v_cndmask_b32_e32 v0, v0, v14, vcc
	v_and_b32_e32 v3, v1, v3
	v_and_b32_e32 v2, v0, v2
	v_mul_lo_u32 v3, v3, 24
	v_mul_hi_u32 v14, v2, 24
	v_mul_lo_u32 v15, v2, 24
	s_waitcnt vmcnt(1)
	v_mov_b32_e32 v2, v12
	v_add_u32_e32 v3, v14, v3
	s_waitcnt vmcnt(0)
	v_add_co_u32_e32 v6, vcc, v6, v15
	v_addc_co_u32_e32 v7, vcc, v7, v3, vcc
	global_store_dwordx2 v[6:7], v[12:13], off
	v_mov_b32_e32 v3, v13
	s_waitcnt vmcnt(0)
	global_atomic_cmpswap_x2 v[2:3], v11, v[0:3], s[44:45] offset:24 glc
	s_waitcnt vmcnt(0)
	v_cmp_ne_u64_e32 vcc, v[2:3], v[12:13]
	s_and_b64 exec, exec, vcc
	s_cbranch_execz .LBB10_803
.LBB10_802:                             ; =>This Inner Loop Header: Depth=1
	s_sleep 1
	global_store_dwordx2 v[6:7], v[2:3], off
	s_waitcnt vmcnt(0)
	global_atomic_cmpswap_x2 v[12:13], v11, v[0:3], s[44:45] offset:24 glc
	s_waitcnt vmcnt(0)
	v_cmp_eq_u64_e32 vcc, v[12:13], v[2:3]
	v_mov_b32_e32 v2, v12
	s_or_b64 s[4:5], vcc, s[4:5]
	v_mov_b32_e32 v3, v13
	s_andn2_b64 exec, exec, s[4:5]
	s_cbranch_execnz .LBB10_802
.LBB10_803:
	s_or_b64 exec, exec, s[16:17]
.LBB10_804:
	v_readfirstlane_b32 s4, v51
	v_mov_b32_e32 v6, 0
	v_mov_b32_e32 v7, 0
	v_cmp_eq_u32_e64 s[4:5], s4, v51
	s_and_saveexec_b64 s[10:11], s[4:5]
	s_cbranch_execz .LBB10_810
; %bb.805:
	s_waitcnt vmcnt(0)
	v_mov_b32_e32 v0, 0
	global_load_dwordx2 v[13:14], v0, s[44:45] offset:24 glc
	s_waitcnt vmcnt(0)
	buffer_wbinvl1_vol
	global_load_dwordx2 v[1:2], v0, s[44:45] offset:40
	global_load_dwordx2 v[6:7], v0, s[44:45]
	s_waitcnt vmcnt(1)
	v_and_b32_e32 v1, v1, v13
	v_and_b32_e32 v2, v2, v14
	v_mul_lo_u32 v2, v2, 24
	v_mul_hi_u32 v3, v1, 24
	v_mul_lo_u32 v1, v1, 24
	v_add_u32_e32 v2, v3, v2
	s_waitcnt vmcnt(0)
	v_add_co_u32_e32 v1, vcc, v6, v1
	v_addc_co_u32_e32 v2, vcc, v7, v2, vcc
	global_load_dwordx2 v[11:12], v[1:2], off glc
	s_waitcnt vmcnt(0)
	global_atomic_cmpswap_x2 v[6:7], v0, v[11:14], s[44:45] offset:24 glc
	s_waitcnt vmcnt(0)
	buffer_wbinvl1_vol
	v_cmp_ne_u64_e32 vcc, v[6:7], v[13:14]
	s_and_saveexec_b64 s[16:17], vcc
	s_cbranch_execz .LBB10_809
; %bb.806:
	s_mov_b64 s[18:19], 0
.LBB10_807:                             ; =>This Inner Loop Header: Depth=1
	s_sleep 1
	global_load_dwordx2 v[1:2], v0, s[44:45] offset:40
	global_load_dwordx2 v[11:12], v0, s[44:45]
	v_mov_b32_e32 v14, v7
	v_mov_b32_e32 v13, v6
	s_waitcnt vmcnt(1)
	v_and_b32_e32 v1, v1, v13
	s_waitcnt vmcnt(0)
	v_mad_u64_u32 v[6:7], s[20:21], v1, 24, v[11:12]
	v_and_b32_e32 v2, v2, v14
	v_mov_b32_e32 v1, v7
	v_mad_u64_u32 v[1:2], s[20:21], v2, 24, v[1:2]
	v_mov_b32_e32 v7, v1
	global_load_dwordx2 v[11:12], v[6:7], off glc
	s_waitcnt vmcnt(0)
	global_atomic_cmpswap_x2 v[6:7], v0, v[11:14], s[44:45] offset:24 glc
	s_waitcnt vmcnt(0)
	buffer_wbinvl1_vol
	v_cmp_eq_u64_e32 vcc, v[6:7], v[13:14]
	s_or_b64 s[18:19], vcc, s[18:19]
	s_andn2_b64 exec, exec, s[18:19]
	s_cbranch_execnz .LBB10_807
; %bb.808:
	s_or_b64 exec, exec, s[18:19]
.LBB10_809:
	s_or_b64 exec, exec, s[16:17]
.LBB10_810:
	s_or_b64 exec, exec, s[10:11]
	s_waitcnt vmcnt(0)
	v_mov_b32_e32 v12, 0
	global_load_dwordx2 v[13:14], v12, s[44:45] offset:40
	global_load_dwordx4 v[0:3], v12, s[44:45]
	v_readfirstlane_b32 s10, v6
	v_readfirstlane_b32 s11, v7
	s_mov_b64 s[16:17], exec
	s_waitcnt vmcnt(1)
	v_readfirstlane_b32 s18, v13
	v_readfirstlane_b32 s19, v14
	s_and_b64 s[18:19], s[10:11], s[18:19]
	s_mul_i32 s15, s19, 24
	s_mul_hi_u32 s20, s18, 24
	s_mul_i32 s21, s18, 24
	s_add_i32 s15, s20, s15
	v_mov_b32_e32 v7, s15
	s_waitcnt vmcnt(0)
	v_add_co_u32_e32 v6, vcc, s21, v0
	v_addc_co_u32_e32 v7, vcc, v1, v7, vcc
	s_and_saveexec_b64 s[20:21], s[4:5]
	s_cbranch_execz .LBB10_812
; %bb.811:
	v_mov_b32_e32 v13, s16
	v_mov_b32_e32 v14, s17
	;; [unrolled: 1-line block ×4, first 2 shown]
	global_store_dwordx4 v[6:7], v[13:16], off offset:8
.LBB10_812:
	s_or_b64 exec, exec, s[20:21]
	s_lshl_b64 s[16:17], s[18:19], 12
	v_mov_b32_e32 v11, s17
	v_add_co_u32_e32 v2, vcc, s16, v2
	v_addc_co_u32_e32 v3, vcc, v3, v11, vcc
	s_movk_i32 s15, 0xff1d
	v_and_or_b32 v9, v9, s15, 34
	s_mov_b32 s16, 0
	v_mov_b32_e32 v11, 58
	v_readfirstlane_b32 s20, v2
	v_readfirstlane_b32 s21, v3
	s_mov_b32 s17, s16
	s_mov_b32 s18, s16
	;; [unrolled: 1-line block ×3, first 2 shown]
	s_nop 1
	global_store_dwordx4 v50, v[9:12], s[20:21]
	s_nop 0
	v_mov_b32_e32 v9, s16
	v_mov_b32_e32 v10, s17
	v_mov_b32_e32 v11, s18
	v_mov_b32_e32 v12, s19
	global_store_dwordx4 v50, v[9:12], s[20:21] offset:16
	global_store_dwordx4 v50, v[9:12], s[20:21] offset:32
	;; [unrolled: 1-line block ×3, first 2 shown]
	s_and_saveexec_b64 s[16:17], s[4:5]
	s_cbranch_execz .LBB10_820
; %bb.813:
	v_mov_b32_e32 v11, 0
	global_load_dwordx2 v[14:15], v11, s[44:45] offset:32 glc
	global_load_dwordx2 v[2:3], v11, s[44:45] offset:40
	v_mov_b32_e32 v12, s10
	v_mov_b32_e32 v13, s11
	s_waitcnt vmcnt(0)
	v_readfirstlane_b32 s18, v2
	v_readfirstlane_b32 s19, v3
	s_and_b64 s[18:19], s[18:19], s[10:11]
	s_mul_i32 s15, s19, 24
	s_mul_hi_u32 s19, s18, 24
	s_mul_i32 s18, s18, 24
	s_add_i32 s15, s19, s15
	v_mov_b32_e32 v2, s15
	v_add_co_u32_e32 v9, vcc, s18, v0
	v_addc_co_u32_e32 v10, vcc, v1, v2, vcc
	global_store_dwordx2 v[9:10], v[14:15], off
	s_waitcnt vmcnt(0)
	global_atomic_cmpswap_x2 v[2:3], v11, v[12:15], s[44:45] offset:32 glc
	s_waitcnt vmcnt(0)
	v_cmp_ne_u64_e32 vcc, v[2:3], v[14:15]
	s_and_saveexec_b64 s[18:19], vcc
	s_cbranch_execz .LBB10_816
; %bb.814:
	s_mov_b64 s[20:21], 0
.LBB10_815:                             ; =>This Inner Loop Header: Depth=1
	s_sleep 1
	global_store_dwordx2 v[9:10], v[2:3], off
	v_mov_b32_e32 v0, s10
	v_mov_b32_e32 v1, s11
	s_waitcnt vmcnt(0)
	global_atomic_cmpswap_x2 v[0:1], v11, v[0:3], s[44:45] offset:32 glc
	s_waitcnt vmcnt(0)
	v_cmp_eq_u64_e32 vcc, v[0:1], v[2:3]
	v_mov_b32_e32 v3, v1
	s_or_b64 s[20:21], vcc, s[20:21]
	v_mov_b32_e32 v2, v0
	s_andn2_b64 exec, exec, s[20:21]
	s_cbranch_execnz .LBB10_815
.LBB10_816:
	s_or_b64 exec, exec, s[18:19]
	v_mov_b32_e32 v3, 0
	global_load_dwordx2 v[0:1], v3, s[44:45] offset:16
	s_mov_b64 s[18:19], exec
	v_mbcnt_lo_u32_b32 v2, s18, 0
	v_mbcnt_hi_u32_b32 v2, s19, v2
	v_cmp_eq_u32_e32 vcc, 0, v2
	s_and_saveexec_b64 s[20:21], vcc
	s_cbranch_execz .LBB10_818
; %bb.817:
	s_bcnt1_i32_b64 s15, s[18:19]
	v_mov_b32_e32 v2, s15
	s_waitcnt vmcnt(0)
	global_atomic_add_x2 v[0:1], v[2:3], off offset:8
.LBB10_818:
	s_or_b64 exec, exec, s[20:21]
	s_waitcnt vmcnt(0)
	global_load_dwordx2 v[2:3], v[0:1], off offset:16
	s_waitcnt vmcnt(0)
	v_cmp_eq_u64_e32 vcc, 0, v[2:3]
	s_cbranch_vccnz .LBB10_820
; %bb.819:
	global_load_dword v0, v[0:1], off offset:24
	v_mov_b32_e32 v1, 0
	s_waitcnt vmcnt(0)
	global_store_dwordx2 v[2:3], v[0:1], off
	v_and_b32_e32 v0, 0xffffff, v0
	v_readfirstlane_b32 m0, v0
	s_sendmsg sendmsg(MSG_INTERRUPT)
.LBB10_820:
	s_or_b64 exec, exec, s[16:17]
	s_branch .LBB10_824
.LBB10_821:                             ;   in Loop: Header=BB10_824 Depth=1
	s_or_b64 exec, exec, s[16:17]
	v_readfirstlane_b32 s15, v0
	s_cmp_eq_u32 s15, 0
	s_cbranch_scc1 .LBB10_823
; %bb.822:                              ;   in Loop: Header=BB10_824 Depth=1
	s_sleep 1
	s_cbranch_execnz .LBB10_824
	s_branch .LBB10_826
.LBB10_823:
	s_branch .LBB10_826
.LBB10_824:                             ; =>This Inner Loop Header: Depth=1
	v_mov_b32_e32 v0, 1
	s_and_saveexec_b64 s[16:17], s[4:5]
	s_cbranch_execz .LBB10_821
; %bb.825:                              ;   in Loop: Header=BB10_824 Depth=1
	global_load_dword v0, v[6:7], off offset:20 glc
	s_waitcnt vmcnt(0)
	buffer_wbinvl1_vol
	v_and_b32_e32 v0, 1, v0
	s_branch .LBB10_821
.LBB10_826:
	s_and_saveexec_b64 s[16:17], s[4:5]
	s_cbranch_execz .LBB10_829
; %bb.827:
	v_mov_b32_e32 v9, 0
	global_load_dwordx2 v[2:3], v9, s[44:45] offset:40
	global_load_dwordx2 v[10:11], v9, s[44:45] offset:24 glc
	global_load_dwordx2 v[6:7], v9, s[44:45]
	v_mov_b32_e32 v1, s11
	s_mov_b64 s[4:5], 0
	s_waitcnt vmcnt(2)
	v_add_co_u32_e32 v12, vcc, 1, v2
	v_addc_co_u32_e32 v13, vcc, 0, v3, vcc
	v_add_co_u32_e32 v0, vcc, s10, v12
	v_addc_co_u32_e32 v1, vcc, v13, v1, vcc
	v_cmp_eq_u64_e32 vcc, 0, v[0:1]
	v_cndmask_b32_e32 v1, v1, v13, vcc
	v_cndmask_b32_e32 v0, v0, v12, vcc
	v_and_b32_e32 v3, v1, v3
	v_and_b32_e32 v2, v0, v2
	v_mul_lo_u32 v3, v3, 24
	v_mul_hi_u32 v12, v2, 24
	v_mul_lo_u32 v13, v2, 24
	s_waitcnt vmcnt(1)
	v_mov_b32_e32 v2, v10
	v_add_u32_e32 v3, v12, v3
	s_waitcnt vmcnt(0)
	v_add_co_u32_e32 v6, vcc, v6, v13
	v_addc_co_u32_e32 v7, vcc, v7, v3, vcc
	global_store_dwordx2 v[6:7], v[10:11], off
	v_mov_b32_e32 v3, v11
	s_waitcnt vmcnt(0)
	global_atomic_cmpswap_x2 v[2:3], v9, v[0:3], s[44:45] offset:24 glc
	s_waitcnt vmcnt(0)
	v_cmp_ne_u64_e32 vcc, v[2:3], v[10:11]
	s_and_b64 exec, exec, vcc
	s_cbranch_execz .LBB10_829
.LBB10_828:                             ; =>This Inner Loop Header: Depth=1
	s_sleep 1
	global_store_dwordx2 v[6:7], v[2:3], off
	s_waitcnt vmcnt(0)
	global_atomic_cmpswap_x2 v[10:11], v9, v[0:3], s[44:45] offset:24 glc
	s_waitcnt vmcnt(0)
	v_cmp_eq_u64_e32 vcc, v[10:11], v[2:3]
	v_mov_b32_e32 v2, v10
	s_or_b64 s[4:5], vcc, s[4:5]
	v_mov_b32_e32 v3, v11
	s_andn2_b64 exec, exec, s[4:5]
	s_cbranch_execnz .LBB10_828
.LBB10_829:
	s_or_b64 exec, exec, s[16:17]
	v_readfirstlane_b32 s4, v51
	v_mov_b32_e32 v6, 0
	v_mov_b32_e32 v7, 0
	v_cmp_eq_u32_e64 s[4:5], s4, v51
	s_and_saveexec_b64 s[10:11], s[4:5]
	s_cbranch_execz .LBB10_835
; %bb.830:
	v_mov_b32_e32 v0, 0
	global_load_dwordx2 v[11:12], v0, s[44:45] offset:24 glc
	s_waitcnt vmcnt(0)
	buffer_wbinvl1_vol
	global_load_dwordx2 v[1:2], v0, s[44:45] offset:40
	global_load_dwordx2 v[6:7], v0, s[44:45]
	s_waitcnt vmcnt(1)
	v_and_b32_e32 v1, v1, v11
	v_and_b32_e32 v2, v2, v12
	v_mul_lo_u32 v2, v2, 24
	v_mul_hi_u32 v3, v1, 24
	v_mul_lo_u32 v1, v1, 24
	v_add_u32_e32 v2, v3, v2
	s_waitcnt vmcnt(0)
	v_add_co_u32_e32 v1, vcc, v6, v1
	v_addc_co_u32_e32 v2, vcc, v7, v2, vcc
	global_load_dwordx2 v[9:10], v[1:2], off glc
	s_waitcnt vmcnt(0)
	global_atomic_cmpswap_x2 v[6:7], v0, v[9:12], s[44:45] offset:24 glc
	s_waitcnt vmcnt(0)
	buffer_wbinvl1_vol
	v_cmp_ne_u64_e32 vcc, v[6:7], v[11:12]
	s_and_saveexec_b64 s[16:17], vcc
	s_cbranch_execz .LBB10_834
; %bb.831:
	s_mov_b64 s[18:19], 0
.LBB10_832:                             ; =>This Inner Loop Header: Depth=1
	s_sleep 1
	global_load_dwordx2 v[1:2], v0, s[44:45] offset:40
	global_load_dwordx2 v[9:10], v0, s[44:45]
	v_mov_b32_e32 v12, v7
	v_mov_b32_e32 v11, v6
	s_waitcnt vmcnt(1)
	v_and_b32_e32 v1, v1, v11
	s_waitcnt vmcnt(0)
	v_mad_u64_u32 v[6:7], s[20:21], v1, 24, v[9:10]
	v_and_b32_e32 v2, v2, v12
	v_mov_b32_e32 v1, v7
	v_mad_u64_u32 v[1:2], s[20:21], v2, 24, v[1:2]
	v_mov_b32_e32 v7, v1
	global_load_dwordx2 v[9:10], v[6:7], off glc
	s_waitcnt vmcnt(0)
	global_atomic_cmpswap_x2 v[6:7], v0, v[9:12], s[44:45] offset:24 glc
	s_waitcnt vmcnt(0)
	buffer_wbinvl1_vol
	v_cmp_eq_u64_e32 vcc, v[6:7], v[11:12]
	s_or_b64 s[18:19], vcc, s[18:19]
	s_andn2_b64 exec, exec, s[18:19]
	s_cbranch_execnz .LBB10_832
; %bb.833:
	s_or_b64 exec, exec, s[18:19]
.LBB10_834:
	s_or_b64 exec, exec, s[16:17]
.LBB10_835:
	s_or_b64 exec, exec, s[10:11]
	v_mov_b32_e32 v10, 0
	global_load_dwordx2 v[11:12], v10, s[44:45] offset:40
	global_load_dwordx4 v[0:3], v10, s[44:45]
	v_readfirstlane_b32 s10, v6
	v_readfirstlane_b32 s11, v7
	s_mov_b64 s[16:17], exec
	s_waitcnt vmcnt(1)
	v_readfirstlane_b32 s18, v11
	v_readfirstlane_b32 s19, v12
	s_and_b64 s[18:19], s[10:11], s[18:19]
	s_mul_i32 s15, s19, 24
	s_mul_hi_u32 s20, s18, 24
	s_mul_i32 s21, s18, 24
	s_add_i32 s15, s20, s15
	v_mov_b32_e32 v7, s15
	s_waitcnt vmcnt(0)
	v_add_co_u32_e32 v6, vcc, s21, v0
	v_addc_co_u32_e32 v7, vcc, v1, v7, vcc
	s_and_saveexec_b64 s[20:21], s[4:5]
	s_cbranch_execz .LBB10_837
; %bb.836:
	v_mov_b32_e32 v11, s16
	v_mov_b32_e32 v12, s17
	;; [unrolled: 1-line block ×4, first 2 shown]
	global_store_dwordx4 v[6:7], v[11:14], off offset:8
.LBB10_837:
	s_or_b64 exec, exec, s[20:21]
	s_lshl_b64 s[16:17], s[18:19], 12
	v_mov_b32_e32 v9, s17
	v_add_co_u32_e32 v2, vcc, s16, v2
	v_addc_co_u32_e32 v3, vcc, v3, v9, vcc
	s_mov_b32 s16, 0
	v_mov_b32_e32 v9, 33
	v_mov_b32_e32 v11, v10
	;; [unrolled: 1-line block ×3, first 2 shown]
	v_readfirstlane_b32 s20, v2
	v_readfirstlane_b32 s21, v3
	v_add_co_u32_e32 v13, vcc, v2, v50
	s_mov_b32 s17, s16
	s_mov_b32 s18, s16
	;; [unrolled: 1-line block ×3, first 2 shown]
	s_nop 0
	global_store_dwordx4 v50, v[9:12], s[20:21]
	v_addc_co_u32_e32 v14, vcc, 0, v3, vcc
	v_mov_b32_e32 v9, s16
	v_mov_b32_e32 v10, s17
	;; [unrolled: 1-line block ×4, first 2 shown]
	global_store_dwordx4 v50, v[9:12], s[20:21] offset:16
	global_store_dwordx4 v50, v[9:12], s[20:21] offset:32
	;; [unrolled: 1-line block ×3, first 2 shown]
	s_and_saveexec_b64 s[16:17], s[4:5]
	s_cbranch_execz .LBB10_845
; %bb.838:
	v_mov_b32_e32 v11, 0
	global_load_dwordx2 v[17:18], v11, s[44:45] offset:32 glc
	global_load_dwordx2 v[2:3], v11, s[44:45] offset:40
	v_mov_b32_e32 v15, s10
	v_mov_b32_e32 v16, s11
	s_waitcnt vmcnt(0)
	v_readfirstlane_b32 s18, v2
	v_readfirstlane_b32 s19, v3
	s_and_b64 s[18:19], s[18:19], s[10:11]
	s_mul_i32 s15, s19, 24
	s_mul_hi_u32 s19, s18, 24
	s_mul_i32 s18, s18, 24
	s_add_i32 s15, s19, s15
	v_mov_b32_e32 v2, s15
	v_add_co_u32_e32 v9, vcc, s18, v0
	v_addc_co_u32_e32 v10, vcc, v1, v2, vcc
	global_store_dwordx2 v[9:10], v[17:18], off
	s_waitcnt vmcnt(0)
	global_atomic_cmpswap_x2 v[2:3], v11, v[15:18], s[44:45] offset:32 glc
	s_waitcnt vmcnt(0)
	v_cmp_ne_u64_e32 vcc, v[2:3], v[17:18]
	s_and_saveexec_b64 s[18:19], vcc
	s_cbranch_execz .LBB10_841
; %bb.839:
	s_mov_b64 s[20:21], 0
.LBB10_840:                             ; =>This Inner Loop Header: Depth=1
	s_sleep 1
	global_store_dwordx2 v[9:10], v[2:3], off
	v_mov_b32_e32 v0, s10
	v_mov_b32_e32 v1, s11
	s_waitcnt vmcnt(0)
	global_atomic_cmpswap_x2 v[0:1], v11, v[0:3], s[44:45] offset:32 glc
	s_waitcnt vmcnt(0)
	v_cmp_eq_u64_e32 vcc, v[0:1], v[2:3]
	v_mov_b32_e32 v3, v1
	s_or_b64 s[20:21], vcc, s[20:21]
	v_mov_b32_e32 v2, v0
	s_andn2_b64 exec, exec, s[20:21]
	s_cbranch_execnz .LBB10_840
.LBB10_841:
	s_or_b64 exec, exec, s[18:19]
	v_mov_b32_e32 v3, 0
	global_load_dwordx2 v[0:1], v3, s[44:45] offset:16
	s_mov_b64 s[18:19], exec
	v_mbcnt_lo_u32_b32 v2, s18, 0
	v_mbcnt_hi_u32_b32 v2, s19, v2
	v_cmp_eq_u32_e32 vcc, 0, v2
	s_and_saveexec_b64 s[20:21], vcc
	s_cbranch_execz .LBB10_843
; %bb.842:
	s_bcnt1_i32_b64 s15, s[18:19]
	v_mov_b32_e32 v2, s15
	s_waitcnt vmcnt(0)
	global_atomic_add_x2 v[0:1], v[2:3], off offset:8
.LBB10_843:
	s_or_b64 exec, exec, s[20:21]
	s_waitcnt vmcnt(0)
	global_load_dwordx2 v[2:3], v[0:1], off offset:16
	s_waitcnt vmcnt(0)
	v_cmp_eq_u64_e32 vcc, 0, v[2:3]
	s_cbranch_vccnz .LBB10_845
; %bb.844:
	global_load_dword v0, v[0:1], off offset:24
	v_mov_b32_e32 v1, 0
	s_waitcnt vmcnt(0)
	global_store_dwordx2 v[2:3], v[0:1], off
	v_and_b32_e32 v0, 0xffffff, v0
	v_readfirstlane_b32 m0, v0
	s_sendmsg sendmsg(MSG_INTERRUPT)
.LBB10_845:
	s_or_b64 exec, exec, s[16:17]
	s_branch .LBB10_849
.LBB10_846:                             ;   in Loop: Header=BB10_849 Depth=1
	s_or_b64 exec, exec, s[16:17]
	v_readfirstlane_b32 s15, v0
	s_cmp_eq_u32 s15, 0
	s_cbranch_scc1 .LBB10_848
; %bb.847:                              ;   in Loop: Header=BB10_849 Depth=1
	s_sleep 1
	s_cbranch_execnz .LBB10_849
	s_branch .LBB10_851
.LBB10_848:
	s_branch .LBB10_851
.LBB10_849:                             ; =>This Inner Loop Header: Depth=1
	v_mov_b32_e32 v0, 1
	s_and_saveexec_b64 s[16:17], s[4:5]
	s_cbranch_execz .LBB10_846
; %bb.850:                              ;   in Loop: Header=BB10_849 Depth=1
	global_load_dword v0, v[6:7], off offset:20 glc
	s_waitcnt vmcnt(0)
	buffer_wbinvl1_vol
	v_and_b32_e32 v0, 1, v0
	s_branch .LBB10_846
.LBB10_851:
	global_load_dwordx2 v[0:1], v[13:14], off
	s_and_saveexec_b64 s[16:17], s[4:5]
	s_cbranch_execz .LBB10_854
; %bb.852:
	v_mov_b32_e32 v6, 0
	global_load_dwordx2 v[2:3], v6, s[44:45] offset:40
	global_load_dwordx2 v[13:14], v6, s[44:45] offset:24 glc
	global_load_dwordx2 v[15:16], v6, s[44:45]
	v_mov_b32_e32 v7, s11
	s_mov_b64 s[4:5], 0
	s_waitcnt vmcnt(2)
	v_add_co_u32_e32 v11, vcc, 1, v2
	v_addc_co_u32_e32 v12, vcc, 0, v3, vcc
	v_add_co_u32_e32 v9, vcc, s10, v11
	v_addc_co_u32_e32 v10, vcc, v12, v7, vcc
	v_cmp_eq_u64_e32 vcc, 0, v[9:10]
	v_cndmask_b32_e32 v10, v10, v12, vcc
	v_cndmask_b32_e32 v9, v9, v11, vcc
	v_and_b32_e32 v3, v10, v3
	v_and_b32_e32 v2, v9, v2
	v_mul_lo_u32 v3, v3, 24
	v_mul_hi_u32 v7, v2, 24
	v_mul_lo_u32 v2, v2, 24
	s_waitcnt vmcnt(1)
	v_mov_b32_e32 v11, v13
	v_mov_b32_e32 v12, v14
	v_add_u32_e32 v3, v7, v3
	s_waitcnt vmcnt(0)
	v_add_co_u32_e32 v2, vcc, v15, v2
	v_addc_co_u32_e32 v3, vcc, v16, v3, vcc
	global_store_dwordx2 v[2:3], v[13:14], off
	s_waitcnt vmcnt(0)
	global_atomic_cmpswap_x2 v[11:12], v6, v[9:12], s[44:45] offset:24 glc
	s_waitcnt vmcnt(0)
	v_cmp_ne_u64_e32 vcc, v[11:12], v[13:14]
	s_and_b64 exec, exec, vcc
	s_cbranch_execz .LBB10_854
.LBB10_853:                             ; =>This Inner Loop Header: Depth=1
	s_sleep 1
	global_store_dwordx2 v[2:3], v[11:12], off
	s_waitcnt vmcnt(0)
	global_atomic_cmpswap_x2 v[13:14], v6, v[9:12], s[44:45] offset:24 glc
	s_waitcnt vmcnt(0)
	v_cmp_eq_u64_e32 vcc, v[13:14], v[11:12]
	v_mov_b32_e32 v11, v13
	s_or_b64 s[4:5], vcc, s[4:5]
	v_mov_b32_e32 v12, v14
	s_andn2_b64 exec, exec, s[4:5]
	s_cbranch_execnz .LBB10_853
.LBB10_854:
	s_or_b64 exec, exec, s[16:17]
	s_getpc_b64 s[10:11]
	s_add_u32 s10, s10, .str.9@rel32@lo+4
	s_addc_u32 s11, s11, .str.9@rel32@hi+12
	s_cmp_lg_u64 s[10:11], 0
	s_cbranch_scc0 .LBB10_939
; %bb.855:
	s_waitcnt vmcnt(0)
	v_and_b32_e32 v35, 2, v0
	v_mov_b32_e32 v3, 0
	v_and_b32_e32 v9, -3, v0
	v_mov_b32_e32 v10, v1
	s_mov_b64 s[16:17], 4
	v_mov_b32_e32 v13, 2
	v_mov_b32_e32 v14, 1
	s_branch .LBB10_857
.LBB10_856:                             ;   in Loop: Header=BB10_857 Depth=1
	s_or_b64 exec, exec, s[22:23]
	s_sub_u32 s16, s16, s18
	s_subb_u32 s17, s17, s19
	s_add_u32 s10, s10, s18
	s_addc_u32 s11, s11, s19
	s_cmp_lg_u64 s[16:17], 0
	s_cbranch_scc0 .LBB10_938
.LBB10_857:                             ; =>This Loop Header: Depth=1
                                        ;     Child Loop BB10_860 Depth 2
                                        ;     Child Loop BB10_867 Depth 2
                                        ;     Child Loop BB10_875 Depth 2
                                        ;     Child Loop BB10_883 Depth 2
                                        ;     Child Loop BB10_891 Depth 2
                                        ;     Child Loop BB10_899 Depth 2
                                        ;     Child Loop BB10_907 Depth 2
                                        ;     Child Loop BB10_915 Depth 2
                                        ;     Child Loop BB10_923 Depth 2
                                        ;     Child Loop BB10_932 Depth 2
                                        ;     Child Loop BB10_937 Depth 2
	v_cmp_lt_u64_e64 s[4:5], s[16:17], 56
	v_cmp_gt_u64_e64 s[20:21], s[16:17], 7
	s_and_b64 s[4:5], s[4:5], exec
	s_cselect_b32 s19, s17, 0
	s_cselect_b32 s18, s16, 56
	s_and_b64 vcc, exec, s[20:21]
	s_cbranch_vccnz .LBB10_862
; %bb.858:                              ;   in Loop: Header=BB10_857 Depth=1
	v_mov_b32_e32 v17, 0
	s_cmp_eq_u64 s[16:17], 0
	v_mov_b32_e32 v18, 0
	s_mov_b64 s[4:5], 0
	s_cbranch_scc1 .LBB10_861
; %bb.859:                              ;   in Loop: Header=BB10_857 Depth=1
	v_mov_b32_e32 v17, 0
	s_lshl_b64 s[20:21], s[18:19], 3
	s_mov_b64 s[22:23], 0
	v_mov_b32_e32 v18, 0
	s_mov_b64 s[24:25], s[10:11]
.LBB10_860:                             ;   Parent Loop BB10_857 Depth=1
                                        ; =>  This Inner Loop Header: Depth=2
	global_load_ubyte v2, v3, s[24:25]
	s_waitcnt vmcnt(0)
	v_and_b32_e32 v2, 0xffff, v2
	v_lshlrev_b64 v[6:7], s22, v[2:3]
	s_add_u32 s22, s22, 8
	s_addc_u32 s23, s23, 0
	s_add_u32 s24, s24, 1
	s_addc_u32 s25, s25, 0
	v_or_b32_e32 v17, v6, v17
	s_cmp_lg_u32 s20, s22
	v_or_b32_e32 v18, v7, v18
	s_cbranch_scc1 .LBB10_860
.LBB10_861:                             ;   in Loop: Header=BB10_857 Depth=1
	s_mov_b32 s15, 0
	s_andn2_b64 vcc, exec, s[4:5]
	s_mov_b64 s[4:5], s[10:11]
	s_cbranch_vccz .LBB10_863
	s_branch .LBB10_864
.LBB10_862:                             ;   in Loop: Header=BB10_857 Depth=1
                                        ; implicit-def: $vgpr17_vgpr18
                                        ; implicit-def: $sgpr15
	s_mov_b64 s[4:5], s[10:11]
.LBB10_863:                             ;   in Loop: Header=BB10_857 Depth=1
	global_load_dwordx2 v[17:18], v3, s[10:11]
	s_add_i32 s15, s18, -8
	s_add_u32 s4, s10, 8
	s_addc_u32 s5, s11, 0
.LBB10_864:                             ;   in Loop: Header=BB10_857 Depth=1
	s_cmp_gt_u32 s15, 7
	s_cbranch_scc1 .LBB10_868
; %bb.865:                              ;   in Loop: Header=BB10_857 Depth=1
	s_cmp_eq_u32 s15, 0
	s_cbranch_scc1 .LBB10_869
; %bb.866:                              ;   in Loop: Header=BB10_857 Depth=1
	v_mov_b32_e32 v19, 0
	s_mov_b64 s[20:21], 0
	v_mov_b32_e32 v20, 0
	s_mov_b64 s[22:23], 0
.LBB10_867:                             ;   Parent Loop BB10_857 Depth=1
                                        ; =>  This Inner Loop Header: Depth=2
	s_add_u32 s24, s4, s22
	s_addc_u32 s25, s5, s23
	global_load_ubyte v2, v3, s[24:25]
	s_add_u32 s22, s22, 1
	s_addc_u32 s23, s23, 0
	s_waitcnt vmcnt(0)
	v_and_b32_e32 v2, 0xffff, v2
	v_lshlrev_b64 v[6:7], s20, v[2:3]
	s_add_u32 s20, s20, 8
	s_addc_u32 s21, s21, 0
	v_or_b32_e32 v19, v6, v19
	s_cmp_lg_u32 s15, s22
	v_or_b32_e32 v20, v7, v20
	s_cbranch_scc1 .LBB10_867
	s_branch .LBB10_870
.LBB10_868:                             ;   in Loop: Header=BB10_857 Depth=1
                                        ; implicit-def: $vgpr19_vgpr20
                                        ; implicit-def: $sgpr24
	s_branch .LBB10_871
.LBB10_869:                             ;   in Loop: Header=BB10_857 Depth=1
	v_mov_b32_e32 v19, 0
	v_mov_b32_e32 v20, 0
.LBB10_870:                             ;   in Loop: Header=BB10_857 Depth=1
	s_mov_b32 s24, 0
	s_cbranch_execnz .LBB10_872
.LBB10_871:                             ;   in Loop: Header=BB10_857 Depth=1
	global_load_dwordx2 v[19:20], v3, s[4:5]
	s_add_i32 s24, s15, -8
	s_add_u32 s4, s4, 8
	s_addc_u32 s5, s5, 0
.LBB10_872:                             ;   in Loop: Header=BB10_857 Depth=1
	s_cmp_gt_u32 s24, 7
	s_cbranch_scc1 .LBB10_876
; %bb.873:                              ;   in Loop: Header=BB10_857 Depth=1
	s_cmp_eq_u32 s24, 0
	s_cbranch_scc1 .LBB10_877
; %bb.874:                              ;   in Loop: Header=BB10_857 Depth=1
	v_mov_b32_e32 v21, 0
	s_mov_b64 s[20:21], 0
	v_mov_b32_e32 v22, 0
	s_mov_b64 s[22:23], 0
.LBB10_875:                             ;   Parent Loop BB10_857 Depth=1
                                        ; =>  This Inner Loop Header: Depth=2
	s_add_u32 s26, s4, s22
	s_addc_u32 s27, s5, s23
	global_load_ubyte v2, v3, s[26:27]
	s_add_u32 s22, s22, 1
	s_addc_u32 s23, s23, 0
	s_waitcnt vmcnt(0)
	v_and_b32_e32 v2, 0xffff, v2
	v_lshlrev_b64 v[6:7], s20, v[2:3]
	s_add_u32 s20, s20, 8
	s_addc_u32 s21, s21, 0
	v_or_b32_e32 v21, v6, v21
	s_cmp_lg_u32 s24, s22
	v_or_b32_e32 v22, v7, v22
	s_cbranch_scc1 .LBB10_875
	s_branch .LBB10_878
.LBB10_876:                             ;   in Loop: Header=BB10_857 Depth=1
                                        ; implicit-def: $sgpr15
	s_branch .LBB10_879
.LBB10_877:                             ;   in Loop: Header=BB10_857 Depth=1
	v_mov_b32_e32 v21, 0
	v_mov_b32_e32 v22, 0
.LBB10_878:                             ;   in Loop: Header=BB10_857 Depth=1
	s_mov_b32 s15, 0
	s_cbranch_execnz .LBB10_880
.LBB10_879:                             ;   in Loop: Header=BB10_857 Depth=1
	global_load_dwordx2 v[21:22], v3, s[4:5]
	s_add_i32 s15, s24, -8
	s_add_u32 s4, s4, 8
	s_addc_u32 s5, s5, 0
.LBB10_880:                             ;   in Loop: Header=BB10_857 Depth=1
	s_cmp_gt_u32 s15, 7
	s_cbranch_scc1 .LBB10_884
; %bb.881:                              ;   in Loop: Header=BB10_857 Depth=1
	s_cmp_eq_u32 s15, 0
	s_cbranch_scc1 .LBB10_885
; %bb.882:                              ;   in Loop: Header=BB10_857 Depth=1
	v_mov_b32_e32 v23, 0
	s_mov_b64 s[20:21], 0
	v_mov_b32_e32 v24, 0
	s_mov_b64 s[22:23], 0
.LBB10_883:                             ;   Parent Loop BB10_857 Depth=1
                                        ; =>  This Inner Loop Header: Depth=2
	s_add_u32 s24, s4, s22
	s_addc_u32 s25, s5, s23
	global_load_ubyte v2, v3, s[24:25]
	s_add_u32 s22, s22, 1
	s_addc_u32 s23, s23, 0
	s_waitcnt vmcnt(0)
	v_and_b32_e32 v2, 0xffff, v2
	v_lshlrev_b64 v[6:7], s20, v[2:3]
	s_add_u32 s20, s20, 8
	s_addc_u32 s21, s21, 0
	v_or_b32_e32 v23, v6, v23
	s_cmp_lg_u32 s15, s22
	v_or_b32_e32 v24, v7, v24
	s_cbranch_scc1 .LBB10_883
	s_branch .LBB10_886
.LBB10_884:                             ;   in Loop: Header=BB10_857 Depth=1
                                        ; implicit-def: $vgpr23_vgpr24
                                        ; implicit-def: $sgpr24
	s_branch .LBB10_887
.LBB10_885:                             ;   in Loop: Header=BB10_857 Depth=1
	v_mov_b32_e32 v23, 0
	v_mov_b32_e32 v24, 0
.LBB10_886:                             ;   in Loop: Header=BB10_857 Depth=1
	s_mov_b32 s24, 0
	s_cbranch_execnz .LBB10_888
.LBB10_887:                             ;   in Loop: Header=BB10_857 Depth=1
	global_load_dwordx2 v[23:24], v3, s[4:5]
	s_add_i32 s24, s15, -8
	s_add_u32 s4, s4, 8
	s_addc_u32 s5, s5, 0
.LBB10_888:                             ;   in Loop: Header=BB10_857 Depth=1
	s_cmp_gt_u32 s24, 7
	s_cbranch_scc1 .LBB10_892
; %bb.889:                              ;   in Loop: Header=BB10_857 Depth=1
	s_cmp_eq_u32 s24, 0
	s_cbranch_scc1 .LBB10_893
; %bb.890:                              ;   in Loop: Header=BB10_857 Depth=1
	v_mov_b32_e32 v25, 0
	s_mov_b64 s[20:21], 0
	v_mov_b32_e32 v26, 0
	s_mov_b64 s[22:23], 0
.LBB10_891:                             ;   Parent Loop BB10_857 Depth=1
                                        ; =>  This Inner Loop Header: Depth=2
	s_add_u32 s26, s4, s22
	s_addc_u32 s27, s5, s23
	global_load_ubyte v2, v3, s[26:27]
	s_add_u32 s22, s22, 1
	s_addc_u32 s23, s23, 0
	s_waitcnt vmcnt(0)
	v_and_b32_e32 v2, 0xffff, v2
	v_lshlrev_b64 v[6:7], s20, v[2:3]
	s_add_u32 s20, s20, 8
	s_addc_u32 s21, s21, 0
	v_or_b32_e32 v25, v6, v25
	s_cmp_lg_u32 s24, s22
	v_or_b32_e32 v26, v7, v26
	s_cbranch_scc1 .LBB10_891
	s_branch .LBB10_894
.LBB10_892:                             ;   in Loop: Header=BB10_857 Depth=1
                                        ; implicit-def: $sgpr15
	s_branch .LBB10_895
.LBB10_893:                             ;   in Loop: Header=BB10_857 Depth=1
	v_mov_b32_e32 v25, 0
	v_mov_b32_e32 v26, 0
.LBB10_894:                             ;   in Loop: Header=BB10_857 Depth=1
	s_mov_b32 s15, 0
	s_cbranch_execnz .LBB10_896
.LBB10_895:                             ;   in Loop: Header=BB10_857 Depth=1
	global_load_dwordx2 v[25:26], v3, s[4:5]
	s_add_i32 s15, s24, -8
	s_add_u32 s4, s4, 8
	s_addc_u32 s5, s5, 0
.LBB10_896:                             ;   in Loop: Header=BB10_857 Depth=1
	s_cmp_gt_u32 s15, 7
	s_cbranch_scc1 .LBB10_900
; %bb.897:                              ;   in Loop: Header=BB10_857 Depth=1
	s_cmp_eq_u32 s15, 0
	s_cbranch_scc1 .LBB10_901
; %bb.898:                              ;   in Loop: Header=BB10_857 Depth=1
	v_mov_b32_e32 v27, 0
	s_mov_b64 s[20:21], 0
	v_mov_b32_e32 v28, 0
	s_mov_b64 s[22:23], 0
.LBB10_899:                             ;   Parent Loop BB10_857 Depth=1
                                        ; =>  This Inner Loop Header: Depth=2
	s_add_u32 s24, s4, s22
	s_addc_u32 s25, s5, s23
	global_load_ubyte v2, v3, s[24:25]
	s_add_u32 s22, s22, 1
	s_addc_u32 s23, s23, 0
	s_waitcnt vmcnt(0)
	v_and_b32_e32 v2, 0xffff, v2
	v_lshlrev_b64 v[6:7], s20, v[2:3]
	s_add_u32 s20, s20, 8
	s_addc_u32 s21, s21, 0
	v_or_b32_e32 v27, v6, v27
	s_cmp_lg_u32 s15, s22
	v_or_b32_e32 v28, v7, v28
	s_cbranch_scc1 .LBB10_899
	s_branch .LBB10_902
.LBB10_900:                             ;   in Loop: Header=BB10_857 Depth=1
                                        ; implicit-def: $vgpr27_vgpr28
                                        ; implicit-def: $sgpr24
	s_branch .LBB10_903
.LBB10_901:                             ;   in Loop: Header=BB10_857 Depth=1
	v_mov_b32_e32 v27, 0
	v_mov_b32_e32 v28, 0
.LBB10_902:                             ;   in Loop: Header=BB10_857 Depth=1
	s_mov_b32 s24, 0
	s_cbranch_execnz .LBB10_904
.LBB10_903:                             ;   in Loop: Header=BB10_857 Depth=1
	global_load_dwordx2 v[27:28], v3, s[4:5]
	s_add_i32 s24, s15, -8
	s_add_u32 s4, s4, 8
	s_addc_u32 s5, s5, 0
.LBB10_904:                             ;   in Loop: Header=BB10_857 Depth=1
	s_cmp_gt_u32 s24, 7
	s_cbranch_scc1 .LBB10_908
; %bb.905:                              ;   in Loop: Header=BB10_857 Depth=1
	s_cmp_eq_u32 s24, 0
	s_cbranch_scc1 .LBB10_909
; %bb.906:                              ;   in Loop: Header=BB10_857 Depth=1
	v_mov_b32_e32 v29, 0
	s_mov_b64 s[20:21], 0
	v_mov_b32_e32 v30, 0
	s_mov_b64 s[22:23], s[4:5]
.LBB10_907:                             ;   Parent Loop BB10_857 Depth=1
                                        ; =>  This Inner Loop Header: Depth=2
	global_load_ubyte v2, v3, s[22:23]
	s_add_i32 s24, s24, -1
	s_waitcnt vmcnt(0)
	v_and_b32_e32 v2, 0xffff, v2
	v_lshlrev_b64 v[6:7], s20, v[2:3]
	s_add_u32 s20, s20, 8
	s_addc_u32 s21, s21, 0
	s_add_u32 s22, s22, 1
	s_addc_u32 s23, s23, 0
	v_or_b32_e32 v29, v6, v29
	s_cmp_lg_u32 s24, 0
	v_or_b32_e32 v30, v7, v30
	s_cbranch_scc1 .LBB10_907
	s_branch .LBB10_910
.LBB10_908:                             ;   in Loop: Header=BB10_857 Depth=1
	s_branch .LBB10_911
.LBB10_909:                             ;   in Loop: Header=BB10_857 Depth=1
	v_mov_b32_e32 v29, 0
	v_mov_b32_e32 v30, 0
.LBB10_910:                             ;   in Loop: Header=BB10_857 Depth=1
	s_cbranch_execnz .LBB10_912
.LBB10_911:                             ;   in Loop: Header=BB10_857 Depth=1
	global_load_dwordx2 v[29:30], v3, s[4:5]
.LBB10_912:                             ;   in Loop: Header=BB10_857 Depth=1
	v_readfirstlane_b32 s4, v51
	v_mov_b32_e32 v6, 0
	v_mov_b32_e32 v7, 0
	v_cmp_eq_u32_e64 s[4:5], s4, v51
	s_and_saveexec_b64 s[20:21], s[4:5]
	s_cbranch_execz .LBB10_918
; %bb.913:                              ;   in Loop: Header=BB10_857 Depth=1
	global_load_dwordx2 v[33:34], v3, s[44:45] offset:24 glc
	s_waitcnt vmcnt(0)
	buffer_wbinvl1_vol
	global_load_dwordx2 v[6:7], v3, s[44:45] offset:40
	global_load_dwordx2 v[11:12], v3, s[44:45]
	s_waitcnt vmcnt(1)
	v_and_b32_e32 v2, v6, v33
	v_and_b32_e32 v6, v7, v34
	v_mul_lo_u32 v6, v6, 24
	v_mul_hi_u32 v7, v2, 24
	v_mul_lo_u32 v2, v2, 24
	v_add_u32_e32 v7, v7, v6
	s_waitcnt vmcnt(0)
	v_add_co_u32_e32 v6, vcc, v11, v2
	v_addc_co_u32_e32 v7, vcc, v12, v7, vcc
	global_load_dwordx2 v[31:32], v[6:7], off glc
	s_waitcnt vmcnt(0)
	global_atomic_cmpswap_x2 v[6:7], v3, v[31:34], s[44:45] offset:24 glc
	s_waitcnt vmcnt(0)
	buffer_wbinvl1_vol
	v_cmp_ne_u64_e32 vcc, v[6:7], v[33:34]
	s_and_saveexec_b64 s[22:23], vcc
	s_cbranch_execz .LBB10_917
; %bb.914:                              ;   in Loop: Header=BB10_857 Depth=1
	s_mov_b64 s[24:25], 0
.LBB10_915:                             ;   Parent Loop BB10_857 Depth=1
                                        ; =>  This Inner Loop Header: Depth=2
	s_sleep 1
	global_load_dwordx2 v[11:12], v3, s[44:45] offset:40
	global_load_dwordx2 v[15:16], v3, s[44:45]
	v_mov_b32_e32 v34, v7
	v_mov_b32_e32 v33, v6
	s_waitcnt vmcnt(1)
	v_and_b32_e32 v2, v11, v33
	s_waitcnt vmcnt(0)
	v_mad_u64_u32 v[6:7], s[26:27], v2, 24, v[15:16]
	v_and_b32_e32 v11, v12, v34
	v_mov_b32_e32 v2, v7
	v_mad_u64_u32 v[11:12], s[26:27], v11, 24, v[2:3]
	v_mov_b32_e32 v7, v11
	global_load_dwordx2 v[31:32], v[6:7], off glc
	s_waitcnt vmcnt(0)
	global_atomic_cmpswap_x2 v[6:7], v3, v[31:34], s[44:45] offset:24 glc
	s_waitcnt vmcnt(0)
	buffer_wbinvl1_vol
	v_cmp_eq_u64_e32 vcc, v[6:7], v[33:34]
	s_or_b64 s[24:25], vcc, s[24:25]
	s_andn2_b64 exec, exec, s[24:25]
	s_cbranch_execnz .LBB10_915
; %bb.916:                              ;   in Loop: Header=BB10_857 Depth=1
	s_or_b64 exec, exec, s[24:25]
.LBB10_917:                             ;   in Loop: Header=BB10_857 Depth=1
	s_or_b64 exec, exec, s[22:23]
.LBB10_918:                             ;   in Loop: Header=BB10_857 Depth=1
	s_or_b64 exec, exec, s[20:21]
	global_load_dwordx2 v[11:12], v3, s[44:45] offset:40
	global_load_dwordx4 v[31:34], v3, s[44:45]
	v_readfirstlane_b32 s20, v6
	v_readfirstlane_b32 s21, v7
	s_mov_b64 s[22:23], exec
	s_waitcnt vmcnt(1)
	v_readfirstlane_b32 s24, v11
	v_readfirstlane_b32 s25, v12
	s_and_b64 s[24:25], s[20:21], s[24:25]
	s_mul_i32 s15, s25, 24
	s_mul_hi_u32 s26, s24, 24
	s_mul_i32 s27, s24, 24
	s_add_i32 s15, s26, s15
	v_mov_b32_e32 v2, s15
	s_waitcnt vmcnt(0)
	v_add_co_u32_e32 v6, vcc, s27, v31
	v_addc_co_u32_e32 v7, vcc, v32, v2, vcc
	s_and_saveexec_b64 s[26:27], s[4:5]
	s_cbranch_execz .LBB10_920
; %bb.919:                              ;   in Loop: Header=BB10_857 Depth=1
	v_mov_b32_e32 v11, s22
	v_mov_b32_e32 v12, s23
	global_store_dwordx4 v[6:7], v[11:14], off offset:8
.LBB10_920:                             ;   in Loop: Header=BB10_857 Depth=1
	s_or_b64 exec, exec, s[26:27]
	s_lshl_b64 s[22:23], s[24:25], 12
	v_mov_b32_e32 v2, s23
	v_add_co_u32_e32 v33, vcc, s22, v33
	v_addc_co_u32_e32 v34, vcc, v34, v2, vcc
	v_cmp_gt_u64_e64 vcc, s[16:17], 56
	v_or_b32_e32 v2, 0, v10
	v_or_b32_e32 v11, v9, v35
	s_lshl_b32 s15, s18, 2
	v_cndmask_b32_e32 v16, v2, v10, vcc
	v_cndmask_b32_e32 v2, v11, v9, vcc
	s_add_i32 s15, s15, 28
	s_and_b32 s15, s15, 0x1e0
	v_and_b32_e32 v2, 0xffffff1f, v2
	v_or_b32_e32 v15, s15, v2
	v_readfirstlane_b32 s22, v33
	v_readfirstlane_b32 s23, v34
	s_nop 4
	global_store_dwordx4 v50, v[15:18], s[22:23]
	global_store_dwordx4 v50, v[19:22], s[22:23] offset:16
	global_store_dwordx4 v50, v[23:26], s[22:23] offset:32
	;; [unrolled: 1-line block ×3, first 2 shown]
	s_and_saveexec_b64 s[22:23], s[4:5]
	s_cbranch_execz .LBB10_928
; %bb.921:                              ;   in Loop: Header=BB10_857 Depth=1
	global_load_dwordx2 v[19:20], v3, s[44:45] offset:32 glc
	global_load_dwordx2 v[9:10], v3, s[44:45] offset:40
	v_mov_b32_e32 v17, s20
	v_mov_b32_e32 v18, s21
	s_waitcnt vmcnt(0)
	v_readfirstlane_b32 s24, v9
	v_readfirstlane_b32 s25, v10
	s_and_b64 s[24:25], s[24:25], s[20:21]
	s_mul_i32 s15, s25, 24
	s_mul_hi_u32 s25, s24, 24
	s_mul_i32 s24, s24, 24
	s_add_i32 s15, s25, s15
	v_mov_b32_e32 v2, s15
	v_add_co_u32_e32 v15, vcc, s24, v31
	v_addc_co_u32_e32 v16, vcc, v32, v2, vcc
	global_store_dwordx2 v[15:16], v[19:20], off
	s_waitcnt vmcnt(0)
	global_atomic_cmpswap_x2 v[11:12], v3, v[17:20], s[44:45] offset:32 glc
	s_waitcnt vmcnt(0)
	v_cmp_ne_u64_e32 vcc, v[11:12], v[19:20]
	s_and_saveexec_b64 s[24:25], vcc
	s_cbranch_execz .LBB10_924
; %bb.922:                              ;   in Loop: Header=BB10_857 Depth=1
	s_mov_b64 s[26:27], 0
.LBB10_923:                             ;   Parent Loop BB10_857 Depth=1
                                        ; =>  This Inner Loop Header: Depth=2
	s_sleep 1
	global_store_dwordx2 v[15:16], v[11:12], off
	v_mov_b32_e32 v9, s20
	v_mov_b32_e32 v10, s21
	s_waitcnt vmcnt(0)
	global_atomic_cmpswap_x2 v[9:10], v3, v[9:12], s[44:45] offset:32 glc
	s_waitcnt vmcnt(0)
	v_cmp_eq_u64_e32 vcc, v[9:10], v[11:12]
	v_mov_b32_e32 v12, v10
	s_or_b64 s[26:27], vcc, s[26:27]
	v_mov_b32_e32 v11, v9
	s_andn2_b64 exec, exec, s[26:27]
	s_cbranch_execnz .LBB10_923
.LBB10_924:                             ;   in Loop: Header=BB10_857 Depth=1
	s_or_b64 exec, exec, s[24:25]
	global_load_dwordx2 v[9:10], v3, s[44:45] offset:16
	s_mov_b64 s[26:27], exec
	v_mbcnt_lo_u32_b32 v2, s26, 0
	v_mbcnt_hi_u32_b32 v2, s27, v2
	v_cmp_eq_u32_e32 vcc, 0, v2
	s_and_saveexec_b64 s[24:25], vcc
	s_cbranch_execz .LBB10_926
; %bb.925:                              ;   in Loop: Header=BB10_857 Depth=1
	s_bcnt1_i32_b64 s15, s[26:27]
	v_mov_b32_e32 v2, s15
	s_waitcnt vmcnt(0)
	global_atomic_add_x2 v[9:10], v[2:3], off offset:8
.LBB10_926:                             ;   in Loop: Header=BB10_857 Depth=1
	s_or_b64 exec, exec, s[24:25]
	s_waitcnt vmcnt(0)
	global_load_dwordx2 v[11:12], v[9:10], off offset:16
	s_waitcnt vmcnt(0)
	v_cmp_eq_u64_e32 vcc, 0, v[11:12]
	s_cbranch_vccnz .LBB10_928
; %bb.927:                              ;   in Loop: Header=BB10_857 Depth=1
	global_load_dword v2, v[9:10], off offset:24
	s_waitcnt vmcnt(0)
	global_store_dwordx2 v[11:12], v[2:3], off
	v_and_b32_e32 v2, 0xffffff, v2
	v_readfirstlane_b32 m0, v2
	s_sendmsg sendmsg(MSG_INTERRUPT)
.LBB10_928:                             ;   in Loop: Header=BB10_857 Depth=1
	s_or_b64 exec, exec, s[22:23]
	v_add_co_u32_e32 v9, vcc, v33, v50
	v_addc_co_u32_e32 v10, vcc, 0, v34, vcc
	s_branch .LBB10_932
.LBB10_929:                             ;   in Loop: Header=BB10_932 Depth=2
	s_or_b64 exec, exec, s[22:23]
	v_readfirstlane_b32 s15, v2
	s_cmp_eq_u32 s15, 0
	s_cbranch_scc1 .LBB10_931
; %bb.930:                              ;   in Loop: Header=BB10_932 Depth=2
	s_sleep 1
	s_cbranch_execnz .LBB10_932
	s_branch .LBB10_934
.LBB10_931:                             ;   in Loop: Header=BB10_857 Depth=1
	s_branch .LBB10_934
.LBB10_932:                             ;   Parent Loop BB10_857 Depth=1
                                        ; =>  This Inner Loop Header: Depth=2
	v_mov_b32_e32 v2, 1
	s_and_saveexec_b64 s[22:23], s[4:5]
	s_cbranch_execz .LBB10_929
; %bb.933:                              ;   in Loop: Header=BB10_932 Depth=2
	global_load_dword v2, v[6:7], off offset:20 glc
	s_waitcnt vmcnt(0)
	buffer_wbinvl1_vol
	v_and_b32_e32 v2, 1, v2
	s_branch .LBB10_929
.LBB10_934:                             ;   in Loop: Header=BB10_857 Depth=1
	global_load_dwordx4 v[9:12], v[9:10], off
	s_and_saveexec_b64 s[22:23], s[4:5]
	s_cbranch_execz .LBB10_856
; %bb.935:                              ;   in Loop: Header=BB10_857 Depth=1
	global_load_dwordx2 v[6:7], v3, s[44:45] offset:40
	global_load_dwordx2 v[11:12], v3, s[44:45] offset:24 glc
	global_load_dwordx2 v[18:19], v3, s[44:45]
	v_mov_b32_e32 v2, s21
	s_waitcnt vmcnt(2)
	v_add_co_u32_e32 v17, vcc, 1, v6
	v_addc_co_u32_e32 v20, vcc, 0, v7, vcc
	v_add_co_u32_e32 v15, vcc, s20, v17
	v_addc_co_u32_e32 v16, vcc, v20, v2, vcc
	v_cmp_eq_u64_e32 vcc, 0, v[15:16]
	v_cndmask_b32_e32 v16, v16, v20, vcc
	v_cndmask_b32_e32 v15, v15, v17, vcc
	v_and_b32_e32 v2, v16, v7
	v_and_b32_e32 v6, v15, v6
	v_mul_lo_u32 v2, v2, 24
	v_mul_hi_u32 v7, v6, 24
	v_mul_lo_u32 v6, v6, 24
	s_waitcnt vmcnt(1)
	v_mov_b32_e32 v17, v11
	v_add_u32_e32 v2, v7, v2
	s_waitcnt vmcnt(0)
	v_add_co_u32_e32 v6, vcc, v18, v6
	v_addc_co_u32_e32 v7, vcc, v19, v2, vcc
	global_store_dwordx2 v[6:7], v[11:12], off
	v_mov_b32_e32 v18, v12
	s_waitcnt vmcnt(0)
	global_atomic_cmpswap_x2 v[17:18], v3, v[15:18], s[44:45] offset:24 glc
	s_waitcnt vmcnt(0)
	v_cmp_ne_u64_e32 vcc, v[17:18], v[11:12]
	s_and_b64 exec, exec, vcc
	s_cbranch_execz .LBB10_856
; %bb.936:                              ;   in Loop: Header=BB10_857 Depth=1
	s_mov_b64 s[4:5], 0
.LBB10_937:                             ;   Parent Loop BB10_857 Depth=1
                                        ; =>  This Inner Loop Header: Depth=2
	s_sleep 1
	global_store_dwordx2 v[6:7], v[17:18], off
	s_waitcnt vmcnt(0)
	global_atomic_cmpswap_x2 v[11:12], v3, v[15:18], s[44:45] offset:24 glc
	s_waitcnt vmcnt(0)
	v_cmp_eq_u64_e32 vcc, v[11:12], v[17:18]
	v_mov_b32_e32 v18, v12
	s_or_b64 s[4:5], vcc, s[4:5]
	v_mov_b32_e32 v17, v11
	s_andn2_b64 exec, exec, s[4:5]
	s_cbranch_execnz .LBB10_937
	s_branch .LBB10_856
.LBB10_938:
	s_branch .LBB10_966
.LBB10_939:
                                        ; implicit-def: $vgpr9_vgpr10
	s_cbranch_execz .LBB10_966
; %bb.940:
	v_readfirstlane_b32 s4, v51
	v_mov_b32_e32 v6, 0
	v_mov_b32_e32 v7, 0
	v_cmp_eq_u32_e64 s[4:5], s4, v51
	s_and_saveexec_b64 s[10:11], s[4:5]
	s_cbranch_execz .LBB10_946
; %bb.941:
	v_mov_b32_e32 v2, 0
	global_load_dwordx2 v[11:12], v2, s[44:45] offset:24 glc
	s_waitcnt vmcnt(0)
	buffer_wbinvl1_vol
	global_load_dwordx2 v[6:7], v2, s[44:45] offset:40
	global_load_dwordx2 v[9:10], v2, s[44:45]
	s_waitcnt vmcnt(1)
	v_and_b32_e32 v3, v6, v11
	v_and_b32_e32 v6, v7, v12
	v_mul_lo_u32 v6, v6, 24
	v_mul_hi_u32 v7, v3, 24
	v_mul_lo_u32 v3, v3, 24
	v_add_u32_e32 v7, v7, v6
	s_waitcnt vmcnt(0)
	v_add_co_u32_e32 v6, vcc, v9, v3
	v_addc_co_u32_e32 v7, vcc, v10, v7, vcc
	global_load_dwordx2 v[9:10], v[6:7], off glc
	s_waitcnt vmcnt(0)
	global_atomic_cmpswap_x2 v[6:7], v2, v[9:12], s[44:45] offset:24 glc
	s_waitcnt vmcnt(0)
	buffer_wbinvl1_vol
	v_cmp_ne_u64_e32 vcc, v[6:7], v[11:12]
	s_and_saveexec_b64 s[16:17], vcc
	s_cbranch_execz .LBB10_945
; %bb.942:
	s_mov_b64 s[18:19], 0
.LBB10_943:                             ; =>This Inner Loop Header: Depth=1
	s_sleep 1
	global_load_dwordx2 v[9:10], v2, s[44:45] offset:40
	global_load_dwordx2 v[13:14], v2, s[44:45]
	v_mov_b32_e32 v12, v7
	v_mov_b32_e32 v11, v6
	s_waitcnt vmcnt(1)
	v_and_b32_e32 v3, v9, v11
	s_waitcnt vmcnt(0)
	v_mad_u64_u32 v[6:7], s[20:21], v3, 24, v[13:14]
	v_and_b32_e32 v9, v10, v12
	v_mov_b32_e32 v3, v7
	v_mad_u64_u32 v[9:10], s[20:21], v9, 24, v[3:4]
	v_mov_b32_e32 v7, v9
	global_load_dwordx2 v[9:10], v[6:7], off glc
	s_waitcnt vmcnt(0)
	global_atomic_cmpswap_x2 v[6:7], v2, v[9:12], s[44:45] offset:24 glc
	s_waitcnt vmcnt(0)
	buffer_wbinvl1_vol
	v_cmp_eq_u64_e32 vcc, v[6:7], v[11:12]
	s_or_b64 s[18:19], vcc, s[18:19]
	s_andn2_b64 exec, exec, s[18:19]
	s_cbranch_execnz .LBB10_943
; %bb.944:
	s_or_b64 exec, exec, s[18:19]
.LBB10_945:
	s_or_b64 exec, exec, s[16:17]
.LBB10_946:
	s_or_b64 exec, exec, s[10:11]
	v_mov_b32_e32 v2, 0
	global_load_dwordx2 v[13:14], v2, s[44:45] offset:40
	global_load_dwordx4 v[9:12], v2, s[44:45]
	v_readfirstlane_b32 s10, v6
	v_readfirstlane_b32 s11, v7
	s_mov_b64 s[16:17], exec
	s_waitcnt vmcnt(1)
	v_readfirstlane_b32 s18, v13
	v_readfirstlane_b32 s19, v14
	s_and_b64 s[18:19], s[10:11], s[18:19]
	s_mul_i32 s15, s19, 24
	s_mul_hi_u32 s20, s18, 24
	s_mul_i32 s21, s18, 24
	s_add_i32 s15, s20, s15
	v_mov_b32_e32 v3, s15
	s_waitcnt vmcnt(0)
	v_add_co_u32_e32 v6, vcc, s21, v9
	v_addc_co_u32_e32 v7, vcc, v10, v3, vcc
	s_and_saveexec_b64 s[20:21], s[4:5]
	s_cbranch_execz .LBB10_948
; %bb.947:
	v_mov_b32_e32 v13, s16
	v_mov_b32_e32 v14, s17
	;; [unrolled: 1-line block ×4, first 2 shown]
	global_store_dwordx4 v[6:7], v[13:16], off offset:8
.LBB10_948:
	s_or_b64 exec, exec, s[20:21]
	s_lshl_b64 s[16:17], s[18:19], 12
	v_mov_b32_e32 v3, s17
	v_add_co_u32_e32 v13, vcc, s16, v11
	v_addc_co_u32_e32 v14, vcc, v12, v3, vcc
	s_movk_i32 s15, 0xff1f
	v_and_or_b32 v0, v0, s15, 32
	s_mov_b32 s16, 0
	v_mov_b32_e32 v3, v2
	v_readfirstlane_b32 s20, v13
	v_readfirstlane_b32 s21, v14
	v_add_co_u32_e32 v11, vcc, v13, v50
	s_mov_b32 s17, s16
	s_mov_b32 s18, s16
	s_mov_b32 s19, s16
	s_nop 0
	global_store_dwordx4 v50, v[0:3], s[20:21]
	v_addc_co_u32_e32 v12, vcc, 0, v14, vcc
	v_mov_b32_e32 v0, s16
	v_mov_b32_e32 v1, s17
	;; [unrolled: 1-line block ×4, first 2 shown]
	global_store_dwordx4 v50, v[0:3], s[20:21] offset:16
	global_store_dwordx4 v50, v[0:3], s[20:21] offset:32
	;; [unrolled: 1-line block ×3, first 2 shown]
	s_and_saveexec_b64 s[16:17], s[4:5]
	s_cbranch_execz .LBB10_956
; %bb.949:
	v_mov_b32_e32 v13, 0
	global_load_dwordx2 v[16:17], v13, s[44:45] offset:32 glc
	global_load_dwordx2 v[0:1], v13, s[44:45] offset:40
	v_mov_b32_e32 v14, s10
	v_mov_b32_e32 v15, s11
	s_waitcnt vmcnt(0)
	v_readfirstlane_b32 s18, v0
	v_readfirstlane_b32 s19, v1
	s_and_b64 s[18:19], s[18:19], s[10:11]
	s_mul_i32 s15, s19, 24
	s_mul_hi_u32 s19, s18, 24
	s_mul_i32 s18, s18, 24
	s_add_i32 s15, s19, s15
	v_mov_b32_e32 v0, s15
	v_add_co_u32_e32 v9, vcc, s18, v9
	v_addc_co_u32_e32 v10, vcc, v10, v0, vcc
	global_store_dwordx2 v[9:10], v[16:17], off
	s_waitcnt vmcnt(0)
	global_atomic_cmpswap_x2 v[2:3], v13, v[14:17], s[44:45] offset:32 glc
	s_waitcnt vmcnt(0)
	v_cmp_ne_u64_e32 vcc, v[2:3], v[16:17]
	s_and_saveexec_b64 s[18:19], vcc
	s_cbranch_execz .LBB10_952
; %bb.950:
	s_mov_b64 s[20:21], 0
.LBB10_951:                             ; =>This Inner Loop Header: Depth=1
	s_sleep 1
	global_store_dwordx2 v[9:10], v[2:3], off
	v_mov_b32_e32 v0, s10
	v_mov_b32_e32 v1, s11
	s_waitcnt vmcnt(0)
	global_atomic_cmpswap_x2 v[0:1], v13, v[0:3], s[44:45] offset:32 glc
	s_waitcnt vmcnt(0)
	v_cmp_eq_u64_e32 vcc, v[0:1], v[2:3]
	v_mov_b32_e32 v3, v1
	s_or_b64 s[20:21], vcc, s[20:21]
	v_mov_b32_e32 v2, v0
	s_andn2_b64 exec, exec, s[20:21]
	s_cbranch_execnz .LBB10_951
.LBB10_952:
	s_or_b64 exec, exec, s[18:19]
	v_mov_b32_e32 v3, 0
	global_load_dwordx2 v[0:1], v3, s[44:45] offset:16
	s_mov_b64 s[18:19], exec
	v_mbcnt_lo_u32_b32 v2, s18, 0
	v_mbcnt_hi_u32_b32 v2, s19, v2
	v_cmp_eq_u32_e32 vcc, 0, v2
	s_and_saveexec_b64 s[20:21], vcc
	s_cbranch_execz .LBB10_954
; %bb.953:
	s_bcnt1_i32_b64 s15, s[18:19]
	v_mov_b32_e32 v2, s15
	s_waitcnt vmcnt(0)
	global_atomic_add_x2 v[0:1], v[2:3], off offset:8
.LBB10_954:
	s_or_b64 exec, exec, s[20:21]
	s_waitcnt vmcnt(0)
	global_load_dwordx2 v[2:3], v[0:1], off offset:16
	s_waitcnt vmcnt(0)
	v_cmp_eq_u64_e32 vcc, 0, v[2:3]
	s_cbranch_vccnz .LBB10_956
; %bb.955:
	global_load_dword v0, v[0:1], off offset:24
	v_mov_b32_e32 v1, 0
	s_waitcnt vmcnt(0)
	global_store_dwordx2 v[2:3], v[0:1], off
	v_and_b32_e32 v0, 0xffffff, v0
	v_readfirstlane_b32 m0, v0
	s_sendmsg sendmsg(MSG_INTERRUPT)
.LBB10_956:
	s_or_b64 exec, exec, s[16:17]
	s_branch .LBB10_960
.LBB10_957:                             ;   in Loop: Header=BB10_960 Depth=1
	s_or_b64 exec, exec, s[16:17]
	v_readfirstlane_b32 s15, v0
	s_cmp_eq_u32 s15, 0
	s_cbranch_scc1 .LBB10_959
; %bb.958:                              ;   in Loop: Header=BB10_960 Depth=1
	s_sleep 1
	s_cbranch_execnz .LBB10_960
	s_branch .LBB10_962
.LBB10_959:
	s_branch .LBB10_962
.LBB10_960:                             ; =>This Inner Loop Header: Depth=1
	v_mov_b32_e32 v0, 1
	s_and_saveexec_b64 s[16:17], s[4:5]
	s_cbranch_execz .LBB10_957
; %bb.961:                              ;   in Loop: Header=BB10_960 Depth=1
	global_load_dword v0, v[6:7], off offset:20 glc
	s_waitcnt vmcnt(0)
	buffer_wbinvl1_vol
	v_and_b32_e32 v0, 1, v0
	s_branch .LBB10_957
.LBB10_962:
	global_load_dwordx2 v[9:10], v[11:12], off
	s_and_saveexec_b64 s[16:17], s[4:5]
	s_cbranch_execz .LBB10_965
; %bb.963:
	v_mov_b32_e32 v11, 0
	global_load_dwordx2 v[2:3], v11, s[44:45] offset:40
	global_load_dwordx2 v[12:13], v11, s[44:45] offset:24 glc
	global_load_dwordx2 v[6:7], v11, s[44:45]
	v_mov_b32_e32 v1, s11
	s_mov_b64 s[4:5], 0
	s_waitcnt vmcnt(2)
	v_add_co_u32_e32 v14, vcc, 1, v2
	v_addc_co_u32_e32 v15, vcc, 0, v3, vcc
	v_add_co_u32_e32 v0, vcc, s10, v14
	v_addc_co_u32_e32 v1, vcc, v15, v1, vcc
	v_cmp_eq_u64_e32 vcc, 0, v[0:1]
	v_cndmask_b32_e32 v1, v1, v15, vcc
	v_cndmask_b32_e32 v0, v0, v14, vcc
	v_and_b32_e32 v3, v1, v3
	v_and_b32_e32 v2, v0, v2
	v_mul_lo_u32 v3, v3, 24
	v_mul_hi_u32 v14, v2, 24
	v_mul_lo_u32 v15, v2, 24
	s_waitcnt vmcnt(1)
	v_mov_b32_e32 v2, v12
	v_add_u32_e32 v3, v14, v3
	s_waitcnt vmcnt(0)
	v_add_co_u32_e32 v6, vcc, v6, v15
	v_addc_co_u32_e32 v7, vcc, v7, v3, vcc
	global_store_dwordx2 v[6:7], v[12:13], off
	v_mov_b32_e32 v3, v13
	s_waitcnt vmcnt(0)
	global_atomic_cmpswap_x2 v[2:3], v11, v[0:3], s[44:45] offset:24 glc
	s_waitcnt vmcnt(0)
	v_cmp_ne_u64_e32 vcc, v[2:3], v[12:13]
	s_and_b64 exec, exec, vcc
	s_cbranch_execz .LBB10_965
.LBB10_964:                             ; =>This Inner Loop Header: Depth=1
	s_sleep 1
	global_store_dwordx2 v[6:7], v[2:3], off
	s_waitcnt vmcnt(0)
	global_atomic_cmpswap_x2 v[12:13], v11, v[0:3], s[44:45] offset:24 glc
	s_waitcnt vmcnt(0)
	v_cmp_eq_u64_e32 vcc, v[12:13], v[2:3]
	v_mov_b32_e32 v2, v12
	s_or_b64 s[4:5], vcc, s[4:5]
	v_mov_b32_e32 v3, v13
	s_andn2_b64 exec, exec, s[4:5]
	s_cbranch_execnz .LBB10_964
.LBB10_965:
	s_or_b64 exec, exec, s[16:17]
.LBB10_966:
	v_readfirstlane_b32 s4, v51
	v_mov_b32_e32 v6, 0
	v_mov_b32_e32 v7, 0
	v_cmp_eq_u32_e64 s[4:5], s4, v51
	s_and_saveexec_b64 s[10:11], s[4:5]
	s_cbranch_execz .LBB10_972
; %bb.967:
	s_waitcnt vmcnt(0)
	v_mov_b32_e32 v0, 0
	global_load_dwordx2 v[13:14], v0, s[44:45] offset:24 glc
	s_waitcnt vmcnt(0)
	buffer_wbinvl1_vol
	global_load_dwordx2 v[1:2], v0, s[44:45] offset:40
	global_load_dwordx2 v[6:7], v0, s[44:45]
	s_waitcnt vmcnt(1)
	v_and_b32_e32 v1, v1, v13
	v_and_b32_e32 v2, v2, v14
	v_mul_lo_u32 v2, v2, 24
	v_mul_hi_u32 v3, v1, 24
	v_mul_lo_u32 v1, v1, 24
	v_add_u32_e32 v2, v3, v2
	s_waitcnt vmcnt(0)
	v_add_co_u32_e32 v1, vcc, v6, v1
	v_addc_co_u32_e32 v2, vcc, v7, v2, vcc
	global_load_dwordx2 v[11:12], v[1:2], off glc
	s_waitcnt vmcnt(0)
	global_atomic_cmpswap_x2 v[6:7], v0, v[11:14], s[44:45] offset:24 glc
	s_waitcnt vmcnt(0)
	buffer_wbinvl1_vol
	v_cmp_ne_u64_e32 vcc, v[6:7], v[13:14]
	s_and_saveexec_b64 s[16:17], vcc
	s_cbranch_execz .LBB10_971
; %bb.968:
	s_mov_b64 s[18:19], 0
.LBB10_969:                             ; =>This Inner Loop Header: Depth=1
	s_sleep 1
	global_load_dwordx2 v[1:2], v0, s[44:45] offset:40
	global_load_dwordx2 v[11:12], v0, s[44:45]
	v_mov_b32_e32 v14, v7
	v_mov_b32_e32 v13, v6
	s_waitcnt vmcnt(1)
	v_and_b32_e32 v1, v1, v13
	s_waitcnt vmcnt(0)
	v_mad_u64_u32 v[6:7], s[20:21], v1, 24, v[11:12]
	v_and_b32_e32 v2, v2, v14
	v_mov_b32_e32 v1, v7
	v_mad_u64_u32 v[1:2], s[20:21], v2, 24, v[1:2]
	v_mov_b32_e32 v7, v1
	global_load_dwordx2 v[11:12], v[6:7], off glc
	s_waitcnt vmcnt(0)
	global_atomic_cmpswap_x2 v[6:7], v0, v[11:14], s[44:45] offset:24 glc
	s_waitcnt vmcnt(0)
	buffer_wbinvl1_vol
	v_cmp_eq_u64_e32 vcc, v[6:7], v[13:14]
	s_or_b64 s[18:19], vcc, s[18:19]
	s_andn2_b64 exec, exec, s[18:19]
	s_cbranch_execnz .LBB10_969
; %bb.970:
	s_or_b64 exec, exec, s[18:19]
.LBB10_971:
	s_or_b64 exec, exec, s[16:17]
.LBB10_972:
	s_or_b64 exec, exec, s[10:11]
	v_mov_b32_e32 v13, 0
	global_load_dwordx2 v[11:12], v13, s[44:45] offset:40
	global_load_dwordx4 v[0:3], v13, s[44:45]
	v_readfirstlane_b32 s10, v6
	v_readfirstlane_b32 s11, v7
	s_mov_b64 s[16:17], exec
	s_waitcnt vmcnt(1)
	v_readfirstlane_b32 s18, v11
	v_readfirstlane_b32 s19, v12
	s_and_b64 s[18:19], s[10:11], s[18:19]
	s_mul_i32 s15, s19, 24
	s_mul_hi_u32 s20, s18, 24
	s_mul_i32 s21, s18, 24
	s_add_i32 s15, s20, s15
	v_mov_b32_e32 v7, s15
	s_waitcnt vmcnt(0)
	v_add_co_u32_e32 v6, vcc, s21, v0
	v_addc_co_u32_e32 v7, vcc, v1, v7, vcc
	s_and_saveexec_b64 s[20:21], s[4:5]
	s_cbranch_execz .LBB10_974
; %bb.973:
	v_mov_b32_e32 v11, s16
	v_mov_b32_e32 v12, s17
	v_mov_b32_e32 v13, 2
	v_mov_b32_e32 v14, 1
	global_store_dwordx4 v[6:7], v[11:14], off offset:8
.LBB10_974:
	s_or_b64 exec, exec, s[20:21]
	s_lshl_b64 s[16:17], s[18:19], 12
	v_mov_b32_e32 v11, s17
	v_add_co_u32_e32 v2, vcc, s16, v2
	v_addc_co_u32_e32 v3, vcc, v3, v11, vcc
	s_movk_i32 s15, 0xff1d
	v_and_or_b32 v9, v9, s15, 34
	v_ashrrev_i32_e32 v12, 31, v8
	v_mov_b32_e32 v11, v8
	v_readfirstlane_b32 s20, v2
	v_readfirstlane_b32 s21, v3
	s_mov_b32 s16, 0
	s_mov_b32 s17, s16
	;; [unrolled: 1-line block ×4, first 2 shown]
	s_nop 0
	global_store_dwordx4 v50, v[9:12], s[20:21]
	v_mov_b32_e32 v8, s16
	v_mov_b32_e32 v9, s17
	;; [unrolled: 1-line block ×4, first 2 shown]
	global_store_dwordx4 v50, v[8:11], s[20:21] offset:16
	global_store_dwordx4 v50, v[8:11], s[20:21] offset:32
	;; [unrolled: 1-line block ×3, first 2 shown]
	s_and_saveexec_b64 s[16:17], s[4:5]
	s_cbranch_execz .LBB10_982
; %bb.975:
	v_mov_b32_e32 v10, 0
	global_load_dwordx2 v[13:14], v10, s[44:45] offset:32 glc
	global_load_dwordx2 v[2:3], v10, s[44:45] offset:40
	v_mov_b32_e32 v11, s10
	v_mov_b32_e32 v12, s11
	s_waitcnt vmcnt(0)
	v_readfirstlane_b32 s18, v2
	v_readfirstlane_b32 s19, v3
	s_and_b64 s[18:19], s[18:19], s[10:11]
	s_mul_i32 s15, s19, 24
	s_mul_hi_u32 s19, s18, 24
	s_mul_i32 s18, s18, 24
	s_add_i32 s15, s19, s15
	v_mov_b32_e32 v2, s15
	v_add_co_u32_e32 v8, vcc, s18, v0
	v_addc_co_u32_e32 v9, vcc, v1, v2, vcc
	global_store_dwordx2 v[8:9], v[13:14], off
	s_waitcnt vmcnt(0)
	global_atomic_cmpswap_x2 v[2:3], v10, v[11:14], s[44:45] offset:32 glc
	s_waitcnt vmcnt(0)
	v_cmp_ne_u64_e32 vcc, v[2:3], v[13:14]
	s_and_saveexec_b64 s[18:19], vcc
	s_cbranch_execz .LBB10_978
; %bb.976:
	s_mov_b64 s[20:21], 0
.LBB10_977:                             ; =>This Inner Loop Header: Depth=1
	s_sleep 1
	global_store_dwordx2 v[8:9], v[2:3], off
	v_mov_b32_e32 v0, s10
	v_mov_b32_e32 v1, s11
	s_waitcnt vmcnt(0)
	global_atomic_cmpswap_x2 v[0:1], v10, v[0:3], s[44:45] offset:32 glc
	s_waitcnt vmcnt(0)
	v_cmp_eq_u64_e32 vcc, v[0:1], v[2:3]
	v_mov_b32_e32 v3, v1
	s_or_b64 s[20:21], vcc, s[20:21]
	v_mov_b32_e32 v2, v0
	s_andn2_b64 exec, exec, s[20:21]
	s_cbranch_execnz .LBB10_977
.LBB10_978:
	s_or_b64 exec, exec, s[18:19]
	v_mov_b32_e32 v3, 0
	global_load_dwordx2 v[0:1], v3, s[44:45] offset:16
	s_mov_b64 s[18:19], exec
	v_mbcnt_lo_u32_b32 v2, s18, 0
	v_mbcnt_hi_u32_b32 v2, s19, v2
	v_cmp_eq_u32_e32 vcc, 0, v2
	s_and_saveexec_b64 s[20:21], vcc
	s_cbranch_execz .LBB10_980
; %bb.979:
	s_bcnt1_i32_b64 s15, s[18:19]
	v_mov_b32_e32 v2, s15
	s_waitcnt vmcnt(0)
	global_atomic_add_x2 v[0:1], v[2:3], off offset:8
.LBB10_980:
	s_or_b64 exec, exec, s[20:21]
	s_waitcnt vmcnt(0)
	global_load_dwordx2 v[2:3], v[0:1], off offset:16
	s_waitcnt vmcnt(0)
	v_cmp_eq_u64_e32 vcc, 0, v[2:3]
	s_cbranch_vccnz .LBB10_982
; %bb.981:
	global_load_dword v0, v[0:1], off offset:24
	v_mov_b32_e32 v1, 0
	s_waitcnt vmcnt(0)
	global_store_dwordx2 v[2:3], v[0:1], off
	v_and_b32_e32 v0, 0xffffff, v0
	v_readfirstlane_b32 m0, v0
	s_sendmsg sendmsg(MSG_INTERRUPT)
.LBB10_982:
	s_or_b64 exec, exec, s[16:17]
	s_branch .LBB10_986
.LBB10_983:                             ;   in Loop: Header=BB10_986 Depth=1
	s_or_b64 exec, exec, s[16:17]
	v_readfirstlane_b32 s15, v0
	s_cmp_eq_u32 s15, 0
	s_cbranch_scc1 .LBB10_985
; %bb.984:                              ;   in Loop: Header=BB10_986 Depth=1
	s_sleep 1
	s_cbranch_execnz .LBB10_986
	s_branch .LBB10_988
.LBB10_985:
	s_branch .LBB10_988
.LBB10_986:                             ; =>This Inner Loop Header: Depth=1
	v_mov_b32_e32 v0, 1
	s_and_saveexec_b64 s[16:17], s[4:5]
	s_cbranch_execz .LBB10_983
; %bb.987:                              ;   in Loop: Header=BB10_986 Depth=1
	global_load_dword v0, v[6:7], off offset:20 glc
	s_waitcnt vmcnt(0)
	buffer_wbinvl1_vol
	v_and_b32_e32 v0, 1, v0
	s_branch .LBB10_983
.LBB10_988:
	s_and_saveexec_b64 s[16:17], s[4:5]
	s_cbranch_execz .LBB10_991
; %bb.989:
	v_mov_b32_e32 v8, 0
	global_load_dwordx2 v[2:3], v8, s[44:45] offset:40
	global_load_dwordx2 v[9:10], v8, s[44:45] offset:24 glc
	global_load_dwordx2 v[6:7], v8, s[44:45]
	v_mov_b32_e32 v1, s11
	s_mov_b64 s[4:5], 0
	s_waitcnt vmcnt(2)
	v_add_co_u32_e32 v11, vcc, 1, v2
	v_addc_co_u32_e32 v12, vcc, 0, v3, vcc
	v_add_co_u32_e32 v0, vcc, s10, v11
	v_addc_co_u32_e32 v1, vcc, v12, v1, vcc
	v_cmp_eq_u64_e32 vcc, 0, v[0:1]
	v_cndmask_b32_e32 v1, v1, v12, vcc
	v_cndmask_b32_e32 v0, v0, v11, vcc
	v_and_b32_e32 v3, v1, v3
	v_and_b32_e32 v2, v0, v2
	v_mul_lo_u32 v3, v3, 24
	v_mul_hi_u32 v11, v2, 24
	v_mul_lo_u32 v12, v2, 24
	s_waitcnt vmcnt(1)
	v_mov_b32_e32 v2, v9
	v_add_u32_e32 v3, v11, v3
	s_waitcnt vmcnt(0)
	v_add_co_u32_e32 v6, vcc, v6, v12
	v_addc_co_u32_e32 v7, vcc, v7, v3, vcc
	global_store_dwordx2 v[6:7], v[9:10], off
	v_mov_b32_e32 v3, v10
	s_waitcnt vmcnt(0)
	global_atomic_cmpswap_x2 v[2:3], v8, v[0:3], s[44:45] offset:24 glc
	s_waitcnt vmcnt(0)
	v_cmp_ne_u64_e32 vcc, v[2:3], v[9:10]
	s_and_b64 exec, exec, vcc
	s_cbranch_execz .LBB10_991
.LBB10_990:                             ; =>This Inner Loop Header: Depth=1
	s_sleep 1
	global_store_dwordx2 v[6:7], v[2:3], off
	s_waitcnt vmcnt(0)
	global_atomic_cmpswap_x2 v[9:10], v8, v[0:3], s[44:45] offset:24 glc
	s_waitcnt vmcnt(0)
	v_cmp_eq_u64_e32 vcc, v[9:10], v[2:3]
	v_mov_b32_e32 v2, v9
	s_or_b64 s[4:5], vcc, s[4:5]
	v_mov_b32_e32 v3, v10
	s_andn2_b64 exec, exec, s[4:5]
	s_cbranch_execnz .LBB10_990
.LBB10_991:
	s_or_b64 exec, exec, s[16:17]
	v_readfirstlane_b32 s4, v51
	v_mov_b32_e32 v8, 0
	v_mov_b32_e32 v9, 0
	v_cmp_eq_u32_e64 s[4:5], s4, v51
	s_and_saveexec_b64 s[10:11], s[4:5]
	s_cbranch_execz .LBB10_997
; %bb.992:
	v_mov_b32_e32 v0, 0
	global_load_dwordx2 v[10:11], v0, s[44:45] offset:24 glc
	s_waitcnt vmcnt(0)
	buffer_wbinvl1_vol
	global_load_dwordx2 v[1:2], v0, s[44:45] offset:40
	global_load_dwordx2 v[6:7], v0, s[44:45]
	s_waitcnt vmcnt(1)
	v_and_b32_e32 v1, v1, v10
	v_and_b32_e32 v2, v2, v11
	v_mul_lo_u32 v2, v2, 24
	v_mul_hi_u32 v3, v1, 24
	v_mul_lo_u32 v1, v1, 24
	v_add_u32_e32 v2, v3, v2
	s_waitcnt vmcnt(0)
	v_add_co_u32_e32 v1, vcc, v6, v1
	v_addc_co_u32_e32 v2, vcc, v7, v2, vcc
	global_load_dwordx2 v[8:9], v[1:2], off glc
	s_waitcnt vmcnt(0)
	global_atomic_cmpswap_x2 v[8:9], v0, v[8:11], s[44:45] offset:24 glc
	s_waitcnt vmcnt(0)
	buffer_wbinvl1_vol
	v_cmp_ne_u64_e32 vcc, v[8:9], v[10:11]
	s_and_saveexec_b64 s[16:17], vcc
	s_cbranch_execz .LBB10_996
; %bb.993:
	s_mov_b64 s[18:19], 0
.LBB10_994:                             ; =>This Inner Loop Header: Depth=1
	s_sleep 1
	global_load_dwordx2 v[1:2], v0, s[44:45] offset:40
	global_load_dwordx2 v[6:7], v0, s[44:45]
	v_mov_b32_e32 v11, v9
	v_mov_b32_e32 v10, v8
	s_waitcnt vmcnt(1)
	v_and_b32_e32 v1, v1, v10
	s_waitcnt vmcnt(0)
	v_mad_u64_u32 v[6:7], s[20:21], v1, 24, v[6:7]
	v_and_b32_e32 v2, v2, v11
	v_mov_b32_e32 v1, v7
	v_mad_u64_u32 v[1:2], s[20:21], v2, 24, v[1:2]
	v_mov_b32_e32 v7, v1
	global_load_dwordx2 v[8:9], v[6:7], off glc
	s_waitcnt vmcnt(0)
	global_atomic_cmpswap_x2 v[8:9], v0, v[8:11], s[44:45] offset:24 glc
	s_waitcnt vmcnt(0)
	buffer_wbinvl1_vol
	v_cmp_eq_u64_e32 vcc, v[8:9], v[10:11]
	s_or_b64 s[18:19], vcc, s[18:19]
	s_andn2_b64 exec, exec, s[18:19]
	s_cbranch_execnz .LBB10_994
; %bb.995:
	s_or_b64 exec, exec, s[18:19]
.LBB10_996:
	s_or_b64 exec, exec, s[16:17]
.LBB10_997:
	s_or_b64 exec, exec, s[10:11]
	v_mov_b32_e32 v7, 0
	global_load_dwordx2 v[10:11], v7, s[44:45] offset:40
	global_load_dwordx4 v[0:3], v7, s[44:45]
	v_readfirstlane_b32 s10, v8
	v_readfirstlane_b32 s11, v9
	s_mov_b64 s[16:17], exec
	s_waitcnt vmcnt(1)
	v_readfirstlane_b32 s18, v10
	v_readfirstlane_b32 s19, v11
	s_and_b64 s[18:19], s[10:11], s[18:19]
	s_mul_i32 s15, s19, 24
	s_mul_hi_u32 s20, s18, 24
	s_mul_i32 s21, s18, 24
	s_add_i32 s15, s20, s15
	v_mov_b32_e32 v6, s15
	s_waitcnt vmcnt(0)
	v_add_co_u32_e32 v10, vcc, s21, v0
	v_addc_co_u32_e32 v11, vcc, v1, v6, vcc
	s_and_saveexec_b64 s[20:21], s[4:5]
	s_cbranch_execz .LBB10_999
; %bb.998:
	v_mov_b32_e32 v12, s16
	v_mov_b32_e32 v13, s17
	;; [unrolled: 1-line block ×4, first 2 shown]
	global_store_dwordx4 v[10:11], v[12:15], off offset:8
.LBB10_999:
	s_or_b64 exec, exec, s[20:21]
	s_lshl_b64 s[16:17], s[18:19], 12
	v_mov_b32_e32 v6, s17
	v_add_co_u32_e32 v2, vcc, s16, v2
	v_addc_co_u32_e32 v3, vcc, v3, v6, vcc
	s_mov_b32 s16, 0
	v_mov_b32_e32 v6, 33
	v_mov_b32_e32 v8, v7
	;; [unrolled: 1-line block ×3, first 2 shown]
	v_readfirstlane_b32 s20, v2
	v_readfirstlane_b32 s21, v3
	v_add_co_u32_e32 v12, vcc, v2, v50
	s_mov_b32 s17, s16
	s_mov_b32 s18, s16
	;; [unrolled: 1-line block ×3, first 2 shown]
	s_nop 0
	global_store_dwordx4 v50, v[6:9], s[20:21]
	v_addc_co_u32_e32 v13, vcc, 0, v3, vcc
	v_mov_b32_e32 v6, s16
	v_mov_b32_e32 v7, s17
	;; [unrolled: 1-line block ×4, first 2 shown]
	global_store_dwordx4 v50, v[6:9], s[20:21] offset:16
	global_store_dwordx4 v50, v[6:9], s[20:21] offset:32
	;; [unrolled: 1-line block ×3, first 2 shown]
	s_and_saveexec_b64 s[16:17], s[4:5]
	s_cbranch_execz .LBB10_1007
; %bb.1000:
	v_mov_b32_e32 v8, 0
	global_load_dwordx2 v[16:17], v8, s[44:45] offset:32 glc
	global_load_dwordx2 v[2:3], v8, s[44:45] offset:40
	v_mov_b32_e32 v14, s10
	v_mov_b32_e32 v15, s11
	s_waitcnt vmcnt(0)
	v_readfirstlane_b32 s18, v2
	v_readfirstlane_b32 s19, v3
	s_and_b64 s[18:19], s[18:19], s[10:11]
	s_mul_i32 s15, s19, 24
	s_mul_hi_u32 s19, s18, 24
	s_mul_i32 s18, s18, 24
	s_add_i32 s15, s19, s15
	v_mov_b32_e32 v2, s15
	v_add_co_u32_e32 v6, vcc, s18, v0
	v_addc_co_u32_e32 v7, vcc, v1, v2, vcc
	global_store_dwordx2 v[6:7], v[16:17], off
	s_waitcnt vmcnt(0)
	global_atomic_cmpswap_x2 v[2:3], v8, v[14:17], s[44:45] offset:32 glc
	s_waitcnt vmcnt(0)
	v_cmp_ne_u64_e32 vcc, v[2:3], v[16:17]
	s_and_saveexec_b64 s[18:19], vcc
	s_cbranch_execz .LBB10_1003
; %bb.1001:
	s_mov_b64 s[20:21], 0
.LBB10_1002:                            ; =>This Inner Loop Header: Depth=1
	s_sleep 1
	global_store_dwordx2 v[6:7], v[2:3], off
	v_mov_b32_e32 v0, s10
	v_mov_b32_e32 v1, s11
	s_waitcnt vmcnt(0)
	global_atomic_cmpswap_x2 v[0:1], v8, v[0:3], s[44:45] offset:32 glc
	s_waitcnt vmcnt(0)
	v_cmp_eq_u64_e32 vcc, v[0:1], v[2:3]
	v_mov_b32_e32 v3, v1
	s_or_b64 s[20:21], vcc, s[20:21]
	v_mov_b32_e32 v2, v0
	s_andn2_b64 exec, exec, s[20:21]
	s_cbranch_execnz .LBB10_1002
.LBB10_1003:
	s_or_b64 exec, exec, s[18:19]
	v_mov_b32_e32 v3, 0
	global_load_dwordx2 v[0:1], v3, s[44:45] offset:16
	s_mov_b64 s[18:19], exec
	v_mbcnt_lo_u32_b32 v2, s18, 0
	v_mbcnt_hi_u32_b32 v2, s19, v2
	v_cmp_eq_u32_e32 vcc, 0, v2
	s_and_saveexec_b64 s[20:21], vcc
	s_cbranch_execz .LBB10_1005
; %bb.1004:
	s_bcnt1_i32_b64 s15, s[18:19]
	v_mov_b32_e32 v2, s15
	s_waitcnt vmcnt(0)
	global_atomic_add_x2 v[0:1], v[2:3], off offset:8
.LBB10_1005:
	s_or_b64 exec, exec, s[20:21]
	s_waitcnt vmcnt(0)
	global_load_dwordx2 v[2:3], v[0:1], off offset:16
	s_waitcnt vmcnt(0)
	v_cmp_eq_u64_e32 vcc, 0, v[2:3]
	s_cbranch_vccnz .LBB10_1007
; %bb.1006:
	global_load_dword v0, v[0:1], off offset:24
	v_mov_b32_e32 v1, 0
	s_waitcnt vmcnt(0)
	global_store_dwordx2 v[2:3], v[0:1], off
	v_and_b32_e32 v0, 0xffffff, v0
	v_readfirstlane_b32 m0, v0
	s_sendmsg sendmsg(MSG_INTERRUPT)
.LBB10_1007:
	s_or_b64 exec, exec, s[16:17]
	s_branch .LBB10_1011
.LBB10_1008:                            ;   in Loop: Header=BB10_1011 Depth=1
	s_or_b64 exec, exec, s[16:17]
	v_readfirstlane_b32 s15, v0
	s_cmp_eq_u32 s15, 0
	s_cbranch_scc1 .LBB10_1010
; %bb.1009:                             ;   in Loop: Header=BB10_1011 Depth=1
	s_sleep 1
	s_cbranch_execnz .LBB10_1011
	s_branch .LBB10_1013
.LBB10_1010:
	s_branch .LBB10_1013
.LBB10_1011:                            ; =>This Inner Loop Header: Depth=1
	v_mov_b32_e32 v0, 1
	s_and_saveexec_b64 s[16:17], s[4:5]
	s_cbranch_execz .LBB10_1008
; %bb.1012:                             ;   in Loop: Header=BB10_1011 Depth=1
	global_load_dword v0, v[10:11], off offset:20 glc
	s_waitcnt vmcnt(0)
	buffer_wbinvl1_vol
	v_and_b32_e32 v0, 1, v0
	s_branch .LBB10_1008
.LBB10_1013:
	global_load_dwordx2 v[0:1], v[12:13], off
	s_and_saveexec_b64 s[16:17], s[4:5]
	s_cbranch_execz .LBB10_1016
; %bb.1014:
	v_mov_b32_e32 v10, 0
	global_load_dwordx2 v[2:3], v10, s[44:45] offset:40
	global_load_dwordx2 v[11:12], v10, s[44:45] offset:24 glc
	global_load_dwordx2 v[13:14], v10, s[44:45]
	v_mov_b32_e32 v7, s11
	s_mov_b64 s[4:5], 0
	s_waitcnt vmcnt(2)
	v_add_co_u32_e32 v8, vcc, 1, v2
	v_addc_co_u32_e32 v9, vcc, 0, v3, vcc
	v_add_co_u32_e32 v6, vcc, s10, v8
	v_addc_co_u32_e32 v7, vcc, v9, v7, vcc
	v_cmp_eq_u64_e32 vcc, 0, v[6:7]
	v_cndmask_b32_e32 v7, v7, v9, vcc
	v_cndmask_b32_e32 v6, v6, v8, vcc
	v_and_b32_e32 v3, v7, v3
	v_and_b32_e32 v2, v6, v2
	v_mul_lo_u32 v3, v3, 24
	v_mul_hi_u32 v9, v2, 24
	v_mul_lo_u32 v2, v2, 24
	s_waitcnt vmcnt(1)
	v_mov_b32_e32 v8, v11
	v_add_u32_e32 v3, v9, v3
	s_waitcnt vmcnt(0)
	v_add_co_u32_e32 v2, vcc, v13, v2
	v_addc_co_u32_e32 v3, vcc, v14, v3, vcc
	global_store_dwordx2 v[2:3], v[11:12], off
	v_mov_b32_e32 v9, v12
	s_waitcnt vmcnt(0)
	global_atomic_cmpswap_x2 v[8:9], v10, v[6:9], s[44:45] offset:24 glc
	s_waitcnt vmcnt(0)
	v_cmp_ne_u64_e32 vcc, v[8:9], v[11:12]
	s_and_b64 exec, exec, vcc
	s_cbranch_execz .LBB10_1016
.LBB10_1015:                            ; =>This Inner Loop Header: Depth=1
	s_sleep 1
	global_store_dwordx2 v[2:3], v[8:9], off
	s_waitcnt vmcnt(0)
	global_atomic_cmpswap_x2 v[11:12], v10, v[6:9], s[44:45] offset:24 glc
	s_waitcnt vmcnt(0)
	v_cmp_eq_u64_e32 vcc, v[11:12], v[8:9]
	v_mov_b32_e32 v8, v11
	s_or_b64 s[4:5], vcc, s[4:5]
	v_mov_b32_e32 v9, v12
	s_andn2_b64 exec, exec, s[4:5]
	s_cbranch_execnz .LBB10_1015
.LBB10_1016:
	s_or_b64 exec, exec, s[16:17]
	s_and_b64 vcc, exec, s[46:47]
	s_cbranch_vccz .LBB10_1101
; %bb.1017:
	s_waitcnt vmcnt(0)
	v_and_b32_e32 v34, 2, v0
	v_mov_b32_e32 v3, 0
	v_and_b32_e32 v6, -3, v0
	v_mov_b32_e32 v7, v1
	s_mov_b64 s[16:17], 3
	v_mov_b32_e32 v10, 2
	v_mov_b32_e32 v11, 1
	s_getpc_b64 s[10:11]
	s_add_u32 s10, s10, .str.8@rel32@lo+4
	s_addc_u32 s11, s11, .str.8@rel32@hi+12
	s_branch .LBB10_1019
.LBB10_1018:                            ;   in Loop: Header=BB10_1019 Depth=1
	s_or_b64 exec, exec, s[22:23]
	s_sub_u32 s16, s16, s18
	s_subb_u32 s17, s17, s19
	s_add_u32 s10, s10, s18
	s_addc_u32 s11, s11, s19
	s_cmp_lg_u64 s[16:17], 0
	s_cbranch_scc0 .LBB10_1100
.LBB10_1019:                            ; =>This Loop Header: Depth=1
                                        ;     Child Loop BB10_1022 Depth 2
                                        ;     Child Loop BB10_1029 Depth 2
	;; [unrolled: 1-line block ×11, first 2 shown]
	v_cmp_lt_u64_e64 s[4:5], s[16:17], 56
	v_cmp_gt_u64_e64 s[20:21], s[16:17], 7
	s_and_b64 s[4:5], s[4:5], exec
	s_cselect_b32 s19, s17, 0
	s_cselect_b32 s18, s16, 56
	s_and_b64 vcc, exec, s[20:21]
	s_cbranch_vccnz .LBB10_1024
; %bb.1020:                             ;   in Loop: Header=BB10_1019 Depth=1
	v_mov_b32_e32 v14, 0
	s_cmp_eq_u64 s[16:17], 0
	v_mov_b32_e32 v15, 0
	s_mov_b64 s[4:5], 0
	s_cbranch_scc1 .LBB10_1023
; %bb.1021:                             ;   in Loop: Header=BB10_1019 Depth=1
	v_mov_b32_e32 v14, 0
	s_lshl_b64 s[20:21], s[18:19], 3
	s_mov_b64 s[22:23], 0
	v_mov_b32_e32 v15, 0
	s_mov_b64 s[24:25], s[10:11]
.LBB10_1022:                            ;   Parent Loop BB10_1019 Depth=1
                                        ; =>  This Inner Loop Header: Depth=2
	global_load_ubyte v2, v3, s[24:25]
	s_waitcnt vmcnt(0)
	v_and_b32_e32 v2, 0xffff, v2
	v_lshlrev_b64 v[8:9], s22, v[2:3]
	s_add_u32 s22, s22, 8
	s_addc_u32 s23, s23, 0
	s_add_u32 s24, s24, 1
	s_addc_u32 s25, s25, 0
	v_or_b32_e32 v14, v8, v14
	s_cmp_lg_u32 s20, s22
	v_or_b32_e32 v15, v9, v15
	s_cbranch_scc1 .LBB10_1022
.LBB10_1023:                            ;   in Loop: Header=BB10_1019 Depth=1
	s_mov_b32 s15, 0
	s_andn2_b64 vcc, exec, s[4:5]
	s_mov_b64 s[4:5], s[10:11]
	s_cbranch_vccz .LBB10_1025
	s_branch .LBB10_1026
.LBB10_1024:                            ;   in Loop: Header=BB10_1019 Depth=1
                                        ; implicit-def: $vgpr14_vgpr15
                                        ; implicit-def: $sgpr15
	s_mov_b64 s[4:5], s[10:11]
.LBB10_1025:                            ;   in Loop: Header=BB10_1019 Depth=1
	global_load_dwordx2 v[14:15], v3, s[10:11]
	s_add_i32 s15, s18, -8
	s_add_u32 s4, s10, 8
	s_addc_u32 s5, s11, 0
.LBB10_1026:                            ;   in Loop: Header=BB10_1019 Depth=1
	s_cmp_gt_u32 s15, 7
	s_cbranch_scc1 .LBB10_1030
; %bb.1027:                             ;   in Loop: Header=BB10_1019 Depth=1
	s_cmp_eq_u32 s15, 0
	s_cbranch_scc1 .LBB10_1031
; %bb.1028:                             ;   in Loop: Header=BB10_1019 Depth=1
	v_mov_b32_e32 v16, 0
	s_mov_b64 s[20:21], 0
	v_mov_b32_e32 v17, 0
	s_mov_b64 s[22:23], 0
.LBB10_1029:                            ;   Parent Loop BB10_1019 Depth=1
                                        ; =>  This Inner Loop Header: Depth=2
	s_add_u32 s24, s4, s22
	s_addc_u32 s25, s5, s23
	global_load_ubyte v2, v3, s[24:25]
	s_add_u32 s22, s22, 1
	s_addc_u32 s23, s23, 0
	s_waitcnt vmcnt(0)
	v_and_b32_e32 v2, 0xffff, v2
	v_lshlrev_b64 v[8:9], s20, v[2:3]
	s_add_u32 s20, s20, 8
	s_addc_u32 s21, s21, 0
	v_or_b32_e32 v16, v8, v16
	s_cmp_lg_u32 s15, s22
	v_or_b32_e32 v17, v9, v17
	s_cbranch_scc1 .LBB10_1029
	s_branch .LBB10_1032
.LBB10_1030:                            ;   in Loop: Header=BB10_1019 Depth=1
                                        ; implicit-def: $vgpr16_vgpr17
                                        ; implicit-def: $sgpr24
	s_branch .LBB10_1033
.LBB10_1031:                            ;   in Loop: Header=BB10_1019 Depth=1
	v_mov_b32_e32 v16, 0
	v_mov_b32_e32 v17, 0
.LBB10_1032:                            ;   in Loop: Header=BB10_1019 Depth=1
	s_mov_b32 s24, 0
	s_cbranch_execnz .LBB10_1034
.LBB10_1033:                            ;   in Loop: Header=BB10_1019 Depth=1
	global_load_dwordx2 v[16:17], v3, s[4:5]
	s_add_i32 s24, s15, -8
	s_add_u32 s4, s4, 8
	s_addc_u32 s5, s5, 0
.LBB10_1034:                            ;   in Loop: Header=BB10_1019 Depth=1
	s_cmp_gt_u32 s24, 7
	s_cbranch_scc1 .LBB10_1038
; %bb.1035:                             ;   in Loop: Header=BB10_1019 Depth=1
	s_cmp_eq_u32 s24, 0
	s_cbranch_scc1 .LBB10_1039
; %bb.1036:                             ;   in Loop: Header=BB10_1019 Depth=1
	v_mov_b32_e32 v18, 0
	s_mov_b64 s[20:21], 0
	v_mov_b32_e32 v19, 0
	s_mov_b64 s[22:23], 0
.LBB10_1037:                            ;   Parent Loop BB10_1019 Depth=1
                                        ; =>  This Inner Loop Header: Depth=2
	s_add_u32 s26, s4, s22
	s_addc_u32 s27, s5, s23
	global_load_ubyte v2, v3, s[26:27]
	s_add_u32 s22, s22, 1
	s_addc_u32 s23, s23, 0
	s_waitcnt vmcnt(0)
	v_and_b32_e32 v2, 0xffff, v2
	v_lshlrev_b64 v[8:9], s20, v[2:3]
	s_add_u32 s20, s20, 8
	s_addc_u32 s21, s21, 0
	v_or_b32_e32 v18, v8, v18
	s_cmp_lg_u32 s24, s22
	v_or_b32_e32 v19, v9, v19
	s_cbranch_scc1 .LBB10_1037
	s_branch .LBB10_1040
.LBB10_1038:                            ;   in Loop: Header=BB10_1019 Depth=1
                                        ; implicit-def: $sgpr15
	s_branch .LBB10_1041
.LBB10_1039:                            ;   in Loop: Header=BB10_1019 Depth=1
	v_mov_b32_e32 v18, 0
	v_mov_b32_e32 v19, 0
.LBB10_1040:                            ;   in Loop: Header=BB10_1019 Depth=1
	s_mov_b32 s15, 0
	s_cbranch_execnz .LBB10_1042
.LBB10_1041:                            ;   in Loop: Header=BB10_1019 Depth=1
	global_load_dwordx2 v[18:19], v3, s[4:5]
	s_add_i32 s15, s24, -8
	s_add_u32 s4, s4, 8
	s_addc_u32 s5, s5, 0
.LBB10_1042:                            ;   in Loop: Header=BB10_1019 Depth=1
	s_cmp_gt_u32 s15, 7
	s_cbranch_scc1 .LBB10_1046
; %bb.1043:                             ;   in Loop: Header=BB10_1019 Depth=1
	s_cmp_eq_u32 s15, 0
	s_cbranch_scc1 .LBB10_1047
; %bb.1044:                             ;   in Loop: Header=BB10_1019 Depth=1
	v_mov_b32_e32 v20, 0
	s_mov_b64 s[20:21], 0
	v_mov_b32_e32 v21, 0
	s_mov_b64 s[22:23], 0
.LBB10_1045:                            ;   Parent Loop BB10_1019 Depth=1
                                        ; =>  This Inner Loop Header: Depth=2
	s_add_u32 s24, s4, s22
	s_addc_u32 s25, s5, s23
	global_load_ubyte v2, v3, s[24:25]
	s_add_u32 s22, s22, 1
	s_addc_u32 s23, s23, 0
	s_waitcnt vmcnt(0)
	v_and_b32_e32 v2, 0xffff, v2
	v_lshlrev_b64 v[8:9], s20, v[2:3]
	s_add_u32 s20, s20, 8
	s_addc_u32 s21, s21, 0
	v_or_b32_e32 v20, v8, v20
	s_cmp_lg_u32 s15, s22
	v_or_b32_e32 v21, v9, v21
	s_cbranch_scc1 .LBB10_1045
	s_branch .LBB10_1048
.LBB10_1046:                            ;   in Loop: Header=BB10_1019 Depth=1
                                        ; implicit-def: $vgpr20_vgpr21
                                        ; implicit-def: $sgpr24
	s_branch .LBB10_1049
.LBB10_1047:                            ;   in Loop: Header=BB10_1019 Depth=1
	v_mov_b32_e32 v20, 0
	v_mov_b32_e32 v21, 0
.LBB10_1048:                            ;   in Loop: Header=BB10_1019 Depth=1
	s_mov_b32 s24, 0
	s_cbranch_execnz .LBB10_1050
.LBB10_1049:                            ;   in Loop: Header=BB10_1019 Depth=1
	global_load_dwordx2 v[20:21], v3, s[4:5]
	s_add_i32 s24, s15, -8
	s_add_u32 s4, s4, 8
	s_addc_u32 s5, s5, 0
.LBB10_1050:                            ;   in Loop: Header=BB10_1019 Depth=1
	s_cmp_gt_u32 s24, 7
	s_cbranch_scc1 .LBB10_1054
; %bb.1051:                             ;   in Loop: Header=BB10_1019 Depth=1
	s_cmp_eq_u32 s24, 0
	s_cbranch_scc1 .LBB10_1055
; %bb.1052:                             ;   in Loop: Header=BB10_1019 Depth=1
	v_mov_b32_e32 v22, 0
	s_mov_b64 s[20:21], 0
	v_mov_b32_e32 v23, 0
	s_mov_b64 s[22:23], 0
.LBB10_1053:                            ;   Parent Loop BB10_1019 Depth=1
                                        ; =>  This Inner Loop Header: Depth=2
	s_add_u32 s26, s4, s22
	s_addc_u32 s27, s5, s23
	global_load_ubyte v2, v3, s[26:27]
	s_add_u32 s22, s22, 1
	s_addc_u32 s23, s23, 0
	s_waitcnt vmcnt(0)
	v_and_b32_e32 v2, 0xffff, v2
	v_lshlrev_b64 v[8:9], s20, v[2:3]
	s_add_u32 s20, s20, 8
	s_addc_u32 s21, s21, 0
	v_or_b32_e32 v22, v8, v22
	s_cmp_lg_u32 s24, s22
	v_or_b32_e32 v23, v9, v23
	s_cbranch_scc1 .LBB10_1053
	s_branch .LBB10_1056
.LBB10_1054:                            ;   in Loop: Header=BB10_1019 Depth=1
                                        ; implicit-def: $sgpr15
	s_branch .LBB10_1057
.LBB10_1055:                            ;   in Loop: Header=BB10_1019 Depth=1
	v_mov_b32_e32 v22, 0
	v_mov_b32_e32 v23, 0
.LBB10_1056:                            ;   in Loop: Header=BB10_1019 Depth=1
	s_mov_b32 s15, 0
	s_cbranch_execnz .LBB10_1058
.LBB10_1057:                            ;   in Loop: Header=BB10_1019 Depth=1
	global_load_dwordx2 v[22:23], v3, s[4:5]
	s_add_i32 s15, s24, -8
	s_add_u32 s4, s4, 8
	s_addc_u32 s5, s5, 0
.LBB10_1058:                            ;   in Loop: Header=BB10_1019 Depth=1
	s_cmp_gt_u32 s15, 7
	s_cbranch_scc1 .LBB10_1062
; %bb.1059:                             ;   in Loop: Header=BB10_1019 Depth=1
	s_cmp_eq_u32 s15, 0
	s_cbranch_scc1 .LBB10_1063
; %bb.1060:                             ;   in Loop: Header=BB10_1019 Depth=1
	v_mov_b32_e32 v24, 0
	s_mov_b64 s[20:21], 0
	v_mov_b32_e32 v25, 0
	s_mov_b64 s[22:23], 0
.LBB10_1061:                            ;   Parent Loop BB10_1019 Depth=1
                                        ; =>  This Inner Loop Header: Depth=2
	s_add_u32 s24, s4, s22
	s_addc_u32 s25, s5, s23
	global_load_ubyte v2, v3, s[24:25]
	s_add_u32 s22, s22, 1
	s_addc_u32 s23, s23, 0
	s_waitcnt vmcnt(0)
	v_and_b32_e32 v2, 0xffff, v2
	v_lshlrev_b64 v[8:9], s20, v[2:3]
	s_add_u32 s20, s20, 8
	s_addc_u32 s21, s21, 0
	v_or_b32_e32 v24, v8, v24
	s_cmp_lg_u32 s15, s22
	v_or_b32_e32 v25, v9, v25
	s_cbranch_scc1 .LBB10_1061
	s_branch .LBB10_1064
.LBB10_1062:                            ;   in Loop: Header=BB10_1019 Depth=1
                                        ; implicit-def: $vgpr24_vgpr25
                                        ; implicit-def: $sgpr24
	s_branch .LBB10_1065
.LBB10_1063:                            ;   in Loop: Header=BB10_1019 Depth=1
	v_mov_b32_e32 v24, 0
	v_mov_b32_e32 v25, 0
.LBB10_1064:                            ;   in Loop: Header=BB10_1019 Depth=1
	s_mov_b32 s24, 0
	s_cbranch_execnz .LBB10_1066
.LBB10_1065:                            ;   in Loop: Header=BB10_1019 Depth=1
	global_load_dwordx2 v[24:25], v3, s[4:5]
	s_add_i32 s24, s15, -8
	s_add_u32 s4, s4, 8
	s_addc_u32 s5, s5, 0
.LBB10_1066:                            ;   in Loop: Header=BB10_1019 Depth=1
	s_cmp_gt_u32 s24, 7
	s_cbranch_scc1 .LBB10_1070
; %bb.1067:                             ;   in Loop: Header=BB10_1019 Depth=1
	s_cmp_eq_u32 s24, 0
	s_cbranch_scc1 .LBB10_1071
; %bb.1068:                             ;   in Loop: Header=BB10_1019 Depth=1
	v_mov_b32_e32 v26, 0
	s_mov_b64 s[20:21], 0
	v_mov_b32_e32 v27, 0
	s_mov_b64 s[22:23], s[4:5]
.LBB10_1069:                            ;   Parent Loop BB10_1019 Depth=1
                                        ; =>  This Inner Loop Header: Depth=2
	global_load_ubyte v2, v3, s[22:23]
	s_add_i32 s24, s24, -1
	s_waitcnt vmcnt(0)
	v_and_b32_e32 v2, 0xffff, v2
	v_lshlrev_b64 v[8:9], s20, v[2:3]
	s_add_u32 s20, s20, 8
	s_addc_u32 s21, s21, 0
	s_add_u32 s22, s22, 1
	s_addc_u32 s23, s23, 0
	v_or_b32_e32 v26, v8, v26
	s_cmp_lg_u32 s24, 0
	v_or_b32_e32 v27, v9, v27
	s_cbranch_scc1 .LBB10_1069
	s_branch .LBB10_1072
.LBB10_1070:                            ;   in Loop: Header=BB10_1019 Depth=1
	s_branch .LBB10_1073
.LBB10_1071:                            ;   in Loop: Header=BB10_1019 Depth=1
	v_mov_b32_e32 v26, 0
	v_mov_b32_e32 v27, 0
.LBB10_1072:                            ;   in Loop: Header=BB10_1019 Depth=1
	s_cbranch_execnz .LBB10_1074
.LBB10_1073:                            ;   in Loop: Header=BB10_1019 Depth=1
	global_load_dwordx2 v[26:27], v3, s[4:5]
.LBB10_1074:                            ;   in Loop: Header=BB10_1019 Depth=1
	v_readfirstlane_b32 s4, v51
	s_waitcnt vmcnt(0)
	v_mov_b32_e32 v8, 0
	v_mov_b32_e32 v9, 0
	v_cmp_eq_u32_e64 s[4:5], s4, v51
	s_and_saveexec_b64 s[20:21], s[4:5]
	s_cbranch_execz .LBB10_1080
; %bb.1075:                             ;   in Loop: Header=BB10_1019 Depth=1
	global_load_dwordx2 v[30:31], v3, s[44:45] offset:24 glc
	s_waitcnt vmcnt(0)
	buffer_wbinvl1_vol
	global_load_dwordx2 v[8:9], v3, s[44:45] offset:40
	global_load_dwordx2 v[12:13], v3, s[44:45]
	s_waitcnt vmcnt(1)
	v_and_b32_e32 v2, v8, v30
	v_and_b32_e32 v8, v9, v31
	v_mul_lo_u32 v8, v8, 24
	v_mul_hi_u32 v9, v2, 24
	v_mul_lo_u32 v2, v2, 24
	v_add_u32_e32 v9, v9, v8
	s_waitcnt vmcnt(0)
	v_add_co_u32_e32 v8, vcc, v12, v2
	v_addc_co_u32_e32 v9, vcc, v13, v9, vcc
	global_load_dwordx2 v[28:29], v[8:9], off glc
	s_waitcnt vmcnt(0)
	global_atomic_cmpswap_x2 v[8:9], v3, v[28:31], s[44:45] offset:24 glc
	s_waitcnt vmcnt(0)
	buffer_wbinvl1_vol
	v_cmp_ne_u64_e32 vcc, v[8:9], v[30:31]
	s_and_saveexec_b64 s[22:23], vcc
	s_cbranch_execz .LBB10_1079
; %bb.1076:                             ;   in Loop: Header=BB10_1019 Depth=1
	s_mov_b64 s[24:25], 0
.LBB10_1077:                            ;   Parent Loop BB10_1019 Depth=1
                                        ; =>  This Inner Loop Header: Depth=2
	s_sleep 1
	global_load_dwordx2 v[12:13], v3, s[44:45] offset:40
	global_load_dwordx2 v[28:29], v3, s[44:45]
	v_mov_b32_e32 v31, v9
	v_mov_b32_e32 v30, v8
	s_waitcnt vmcnt(1)
	v_and_b32_e32 v2, v12, v30
	s_waitcnt vmcnt(0)
	v_mad_u64_u32 v[8:9], s[26:27], v2, 24, v[28:29]
	v_and_b32_e32 v12, v13, v31
	v_mov_b32_e32 v2, v9
	v_mad_u64_u32 v[12:13], s[26:27], v12, 24, v[2:3]
	v_mov_b32_e32 v9, v12
	global_load_dwordx2 v[28:29], v[8:9], off glc
	s_waitcnt vmcnt(0)
	global_atomic_cmpswap_x2 v[8:9], v3, v[28:31], s[44:45] offset:24 glc
	s_waitcnt vmcnt(0)
	buffer_wbinvl1_vol
	v_cmp_eq_u64_e32 vcc, v[8:9], v[30:31]
	s_or_b64 s[24:25], vcc, s[24:25]
	s_andn2_b64 exec, exec, s[24:25]
	s_cbranch_execnz .LBB10_1077
; %bb.1078:                             ;   in Loop: Header=BB10_1019 Depth=1
	s_or_b64 exec, exec, s[24:25]
.LBB10_1079:                            ;   in Loop: Header=BB10_1019 Depth=1
	s_or_b64 exec, exec, s[22:23]
.LBB10_1080:                            ;   in Loop: Header=BB10_1019 Depth=1
	s_or_b64 exec, exec, s[20:21]
	global_load_dwordx2 v[12:13], v3, s[44:45] offset:40
	global_load_dwordx4 v[28:31], v3, s[44:45]
	v_readfirstlane_b32 s20, v8
	v_readfirstlane_b32 s21, v9
	s_mov_b64 s[22:23], exec
	s_waitcnt vmcnt(1)
	v_readfirstlane_b32 s24, v12
	v_readfirstlane_b32 s25, v13
	s_and_b64 s[24:25], s[20:21], s[24:25]
	s_mul_i32 s15, s25, 24
	s_mul_hi_u32 s26, s24, 24
	s_mul_i32 s27, s24, 24
	s_add_i32 s15, s26, s15
	v_mov_b32_e32 v2, s15
	s_waitcnt vmcnt(0)
	v_add_co_u32_e32 v32, vcc, s27, v28
	v_addc_co_u32_e32 v33, vcc, v29, v2, vcc
	s_and_saveexec_b64 s[26:27], s[4:5]
	s_cbranch_execz .LBB10_1082
; %bb.1081:                             ;   in Loop: Header=BB10_1019 Depth=1
	v_mov_b32_e32 v8, s22
	v_mov_b32_e32 v9, s23
	global_store_dwordx4 v[32:33], v[8:11], off offset:8
.LBB10_1082:                            ;   in Loop: Header=BB10_1019 Depth=1
	s_or_b64 exec, exec, s[26:27]
	s_lshl_b64 s[22:23], s[24:25], 12
	v_mov_b32_e32 v2, s23
	v_add_co_u32_e32 v30, vcc, s22, v30
	v_addc_co_u32_e32 v31, vcc, v31, v2, vcc
	v_cmp_gt_u64_e64 vcc, s[16:17], 56
	v_or_b32_e32 v2, 0, v7
	v_or_b32_e32 v8, v6, v34
	s_lshl_b32 s15, s18, 2
	v_cndmask_b32_e32 v13, v2, v7, vcc
	v_cndmask_b32_e32 v2, v8, v6, vcc
	s_add_i32 s15, s15, 28
	s_and_b32 s15, s15, 0x1e0
	v_and_b32_e32 v2, 0xffffff1f, v2
	v_or_b32_e32 v12, s15, v2
	v_readfirstlane_b32 s22, v30
	v_readfirstlane_b32 s23, v31
	s_nop 4
	global_store_dwordx4 v50, v[12:15], s[22:23]
	global_store_dwordx4 v50, v[16:19], s[22:23] offset:16
	global_store_dwordx4 v50, v[20:23], s[22:23] offset:32
	;; [unrolled: 1-line block ×3, first 2 shown]
	s_and_saveexec_b64 s[22:23], s[4:5]
	s_cbranch_execz .LBB10_1090
; %bb.1083:                             ;   in Loop: Header=BB10_1019 Depth=1
	global_load_dwordx2 v[16:17], v3, s[44:45] offset:32 glc
	global_load_dwordx2 v[6:7], v3, s[44:45] offset:40
	v_mov_b32_e32 v14, s20
	v_mov_b32_e32 v15, s21
	s_waitcnt vmcnt(0)
	v_readfirstlane_b32 s24, v6
	v_readfirstlane_b32 s25, v7
	s_and_b64 s[24:25], s[24:25], s[20:21]
	s_mul_i32 s15, s25, 24
	s_mul_hi_u32 s25, s24, 24
	s_mul_i32 s24, s24, 24
	s_add_i32 s15, s25, s15
	v_mov_b32_e32 v2, s15
	v_add_co_u32_e32 v12, vcc, s24, v28
	v_addc_co_u32_e32 v13, vcc, v29, v2, vcc
	global_store_dwordx2 v[12:13], v[16:17], off
	s_waitcnt vmcnt(0)
	global_atomic_cmpswap_x2 v[8:9], v3, v[14:17], s[44:45] offset:32 glc
	s_waitcnt vmcnt(0)
	v_cmp_ne_u64_e32 vcc, v[8:9], v[16:17]
	s_and_saveexec_b64 s[24:25], vcc
	s_cbranch_execz .LBB10_1086
; %bb.1084:                             ;   in Loop: Header=BB10_1019 Depth=1
	s_mov_b64 s[26:27], 0
.LBB10_1085:                            ;   Parent Loop BB10_1019 Depth=1
                                        ; =>  This Inner Loop Header: Depth=2
	s_sleep 1
	global_store_dwordx2 v[12:13], v[8:9], off
	v_mov_b32_e32 v6, s20
	v_mov_b32_e32 v7, s21
	s_waitcnt vmcnt(0)
	global_atomic_cmpswap_x2 v[6:7], v3, v[6:9], s[44:45] offset:32 glc
	s_waitcnt vmcnt(0)
	v_cmp_eq_u64_e32 vcc, v[6:7], v[8:9]
	v_mov_b32_e32 v9, v7
	s_or_b64 s[26:27], vcc, s[26:27]
	v_mov_b32_e32 v8, v6
	s_andn2_b64 exec, exec, s[26:27]
	s_cbranch_execnz .LBB10_1085
.LBB10_1086:                            ;   in Loop: Header=BB10_1019 Depth=1
	s_or_b64 exec, exec, s[24:25]
	global_load_dwordx2 v[6:7], v3, s[44:45] offset:16
	s_mov_b64 s[26:27], exec
	v_mbcnt_lo_u32_b32 v2, s26, 0
	v_mbcnt_hi_u32_b32 v2, s27, v2
	v_cmp_eq_u32_e32 vcc, 0, v2
	s_and_saveexec_b64 s[24:25], vcc
	s_cbranch_execz .LBB10_1088
; %bb.1087:                             ;   in Loop: Header=BB10_1019 Depth=1
	s_bcnt1_i32_b64 s15, s[26:27]
	v_mov_b32_e32 v2, s15
	s_waitcnt vmcnt(0)
	global_atomic_add_x2 v[6:7], v[2:3], off offset:8
.LBB10_1088:                            ;   in Loop: Header=BB10_1019 Depth=1
	s_or_b64 exec, exec, s[24:25]
	s_waitcnt vmcnt(0)
	global_load_dwordx2 v[8:9], v[6:7], off offset:16
	s_waitcnt vmcnt(0)
	v_cmp_eq_u64_e32 vcc, 0, v[8:9]
	s_cbranch_vccnz .LBB10_1090
; %bb.1089:                             ;   in Loop: Header=BB10_1019 Depth=1
	global_load_dword v2, v[6:7], off offset:24
	s_waitcnt vmcnt(0)
	global_store_dwordx2 v[8:9], v[2:3], off
	v_and_b32_e32 v2, 0xffffff, v2
	v_readfirstlane_b32 m0, v2
	s_sendmsg sendmsg(MSG_INTERRUPT)
.LBB10_1090:                            ;   in Loop: Header=BB10_1019 Depth=1
	s_or_b64 exec, exec, s[22:23]
	v_add_co_u32_e32 v6, vcc, v30, v50
	v_addc_co_u32_e32 v7, vcc, 0, v31, vcc
	s_branch .LBB10_1094
.LBB10_1091:                            ;   in Loop: Header=BB10_1094 Depth=2
	s_or_b64 exec, exec, s[22:23]
	v_readfirstlane_b32 s15, v2
	s_cmp_eq_u32 s15, 0
	s_cbranch_scc1 .LBB10_1093
; %bb.1092:                             ;   in Loop: Header=BB10_1094 Depth=2
	s_sleep 1
	s_cbranch_execnz .LBB10_1094
	s_branch .LBB10_1096
.LBB10_1093:                            ;   in Loop: Header=BB10_1019 Depth=1
	s_branch .LBB10_1096
.LBB10_1094:                            ;   Parent Loop BB10_1019 Depth=1
                                        ; =>  This Inner Loop Header: Depth=2
	v_mov_b32_e32 v2, 1
	s_and_saveexec_b64 s[22:23], s[4:5]
	s_cbranch_execz .LBB10_1091
; %bb.1095:                             ;   in Loop: Header=BB10_1094 Depth=2
	global_load_dword v2, v[32:33], off offset:20 glc
	s_waitcnt vmcnt(0)
	buffer_wbinvl1_vol
	v_and_b32_e32 v2, 1, v2
	s_branch .LBB10_1091
.LBB10_1096:                            ;   in Loop: Header=BB10_1019 Depth=1
	global_load_dwordx4 v[6:9], v[6:7], off
	s_and_saveexec_b64 s[22:23], s[4:5]
	s_cbranch_execz .LBB10_1018
; %bb.1097:                             ;   in Loop: Header=BB10_1019 Depth=1
	global_load_dwordx2 v[8:9], v3, s[44:45] offset:40
	global_load_dwordx2 v[16:17], v3, s[44:45] offset:24 glc
	global_load_dwordx2 v[18:19], v3, s[44:45]
	v_mov_b32_e32 v2, s21
	s_waitcnt vmcnt(2)
	v_add_co_u32_e32 v14, vcc, 1, v8
	v_addc_co_u32_e32 v15, vcc, 0, v9, vcc
	v_add_co_u32_e32 v12, vcc, s20, v14
	v_addc_co_u32_e32 v13, vcc, v15, v2, vcc
	v_cmp_eq_u64_e32 vcc, 0, v[12:13]
	v_cndmask_b32_e32 v13, v13, v15, vcc
	v_cndmask_b32_e32 v12, v12, v14, vcc
	v_and_b32_e32 v2, v13, v9
	v_and_b32_e32 v8, v12, v8
	v_mul_lo_u32 v2, v2, 24
	v_mul_hi_u32 v9, v8, 24
	v_mul_lo_u32 v8, v8, 24
	s_waitcnt vmcnt(1)
	v_mov_b32_e32 v14, v16
	v_mov_b32_e32 v15, v17
	v_add_u32_e32 v2, v9, v2
	s_waitcnt vmcnt(0)
	v_add_co_u32_e32 v8, vcc, v18, v8
	v_addc_co_u32_e32 v9, vcc, v19, v2, vcc
	global_store_dwordx2 v[8:9], v[16:17], off
	s_waitcnt vmcnt(0)
	global_atomic_cmpswap_x2 v[14:15], v3, v[12:15], s[44:45] offset:24 glc
	s_waitcnt vmcnt(0)
	v_cmp_ne_u64_e32 vcc, v[14:15], v[16:17]
	s_and_b64 exec, exec, vcc
	s_cbranch_execz .LBB10_1018
; %bb.1098:                             ;   in Loop: Header=BB10_1019 Depth=1
	s_mov_b64 s[4:5], 0
.LBB10_1099:                            ;   Parent Loop BB10_1019 Depth=1
                                        ; =>  This Inner Loop Header: Depth=2
	s_sleep 1
	global_store_dwordx2 v[8:9], v[14:15], off
	s_waitcnt vmcnt(0)
	global_atomic_cmpswap_x2 v[16:17], v3, v[12:15], s[44:45] offset:24 glc
	s_waitcnt vmcnt(0)
	v_cmp_eq_u64_e32 vcc, v[16:17], v[14:15]
	v_mov_b32_e32 v14, v16
	s_or_b64 s[4:5], vcc, s[4:5]
	v_mov_b32_e32 v15, v17
	s_andn2_b64 exec, exec, s[4:5]
	s_cbranch_execnz .LBB10_1099
	s_branch .LBB10_1018
.LBB10_1100:
	s_branch .LBB10_1128
.LBB10_1101:
                                        ; implicit-def: $vgpr6_vgpr7
	s_cbranch_execz .LBB10_1128
; %bb.1102:
	v_readfirstlane_b32 s4, v51
	v_mov_b32_e32 v10, 0
	v_mov_b32_e32 v11, 0
	v_cmp_eq_u32_e64 s[4:5], s4, v51
	s_and_saveexec_b64 s[10:11], s[4:5]
	s_cbranch_execz .LBB10_1108
; %bb.1103:
	v_mov_b32_e32 v2, 0
	global_load_dwordx2 v[8:9], v2, s[44:45] offset:24 glc
	s_waitcnt vmcnt(0)
	buffer_wbinvl1_vol
	global_load_dwordx2 v[6:7], v2, s[44:45] offset:40
	global_load_dwordx2 v[10:11], v2, s[44:45]
	s_waitcnt vmcnt(1)
	v_and_b32_e32 v3, v6, v8
	v_and_b32_e32 v6, v7, v9
	v_mul_lo_u32 v6, v6, 24
	v_mul_hi_u32 v7, v3, 24
	v_mul_lo_u32 v3, v3, 24
	v_add_u32_e32 v7, v7, v6
	s_waitcnt vmcnt(0)
	v_add_co_u32_e32 v6, vcc, v10, v3
	v_addc_co_u32_e32 v7, vcc, v11, v7, vcc
	global_load_dwordx2 v[6:7], v[6:7], off glc
	s_waitcnt vmcnt(0)
	global_atomic_cmpswap_x2 v[10:11], v2, v[6:9], s[44:45] offset:24 glc
	s_waitcnt vmcnt(0)
	buffer_wbinvl1_vol
	v_cmp_ne_u64_e32 vcc, v[10:11], v[8:9]
	s_and_saveexec_b64 s[16:17], vcc
	s_cbranch_execz .LBB10_1107
; %bb.1104:
	s_mov_b64 s[18:19], 0
.LBB10_1105:                            ; =>This Inner Loop Header: Depth=1
	s_sleep 1
	global_load_dwordx2 v[6:7], v2, s[44:45] offset:40
	global_load_dwordx2 v[12:13], v2, s[44:45]
	v_mov_b32_e32 v8, v10
	v_mov_b32_e32 v9, v11
	s_waitcnt vmcnt(1)
	v_and_b32_e32 v3, v6, v8
	s_waitcnt vmcnt(0)
	v_mad_u64_u32 v[10:11], s[20:21], v3, 24, v[12:13]
	v_and_b32_e32 v6, v7, v9
	v_mov_b32_e32 v3, v11
	v_mad_u64_u32 v[6:7], s[20:21], v6, 24, v[3:4]
	v_mov_b32_e32 v11, v6
	global_load_dwordx2 v[6:7], v[10:11], off glc
	s_waitcnt vmcnt(0)
	global_atomic_cmpswap_x2 v[10:11], v2, v[6:9], s[44:45] offset:24 glc
	s_waitcnt vmcnt(0)
	buffer_wbinvl1_vol
	v_cmp_eq_u64_e32 vcc, v[10:11], v[8:9]
	s_or_b64 s[18:19], vcc, s[18:19]
	s_andn2_b64 exec, exec, s[18:19]
	s_cbranch_execnz .LBB10_1105
; %bb.1106:
	s_or_b64 exec, exec, s[18:19]
.LBB10_1107:
	s_or_b64 exec, exec, s[16:17]
.LBB10_1108:
	s_or_b64 exec, exec, s[10:11]
	v_mov_b32_e32 v2, 0
	global_load_dwordx2 v[12:13], v2, s[44:45] offset:40
	global_load_dwordx4 v[6:9], v2, s[44:45]
	v_readfirstlane_b32 s10, v10
	v_readfirstlane_b32 s11, v11
	s_mov_b64 s[16:17], exec
	s_waitcnt vmcnt(1)
	v_readfirstlane_b32 s18, v12
	v_readfirstlane_b32 s19, v13
	s_and_b64 s[18:19], s[10:11], s[18:19]
	s_mul_i32 s15, s19, 24
	s_mul_hi_u32 s20, s18, 24
	s_mul_i32 s21, s18, 24
	s_add_i32 s15, s20, s15
	v_mov_b32_e32 v3, s15
	s_waitcnt vmcnt(0)
	v_add_co_u32_e32 v10, vcc, s21, v6
	v_addc_co_u32_e32 v11, vcc, v7, v3, vcc
	s_and_saveexec_b64 s[20:21], s[4:5]
	s_cbranch_execz .LBB10_1110
; %bb.1109:
	v_mov_b32_e32 v12, s16
	v_mov_b32_e32 v13, s17
	;; [unrolled: 1-line block ×4, first 2 shown]
	global_store_dwordx4 v[10:11], v[12:15], off offset:8
.LBB10_1110:
	s_or_b64 exec, exec, s[20:21]
	s_lshl_b64 s[16:17], s[18:19], 12
	v_mov_b32_e32 v3, s17
	v_add_co_u32_e32 v12, vcc, s16, v8
	v_addc_co_u32_e32 v13, vcc, v9, v3, vcc
	s_movk_i32 s15, 0xff1f
	v_and_or_b32 v0, v0, s15, 32
	s_mov_b32 s16, 0
	v_mov_b32_e32 v3, v2
	v_readfirstlane_b32 s20, v12
	v_readfirstlane_b32 s21, v13
	v_add_co_u32_e32 v8, vcc, v12, v50
	s_mov_b32 s17, s16
	s_mov_b32 s18, s16
	s_mov_b32 s19, s16
	s_nop 0
	global_store_dwordx4 v50, v[0:3], s[20:21]
	v_addc_co_u32_e32 v9, vcc, 0, v13, vcc
	v_mov_b32_e32 v0, s16
	v_mov_b32_e32 v1, s17
	;; [unrolled: 1-line block ×4, first 2 shown]
	global_store_dwordx4 v50, v[0:3], s[20:21] offset:16
	global_store_dwordx4 v50, v[0:3], s[20:21] offset:32
	;; [unrolled: 1-line block ×3, first 2 shown]
	s_and_saveexec_b64 s[16:17], s[4:5]
	s_cbranch_execz .LBB10_1118
; %bb.1111:
	v_mov_b32_e32 v12, 0
	global_load_dwordx2 v[15:16], v12, s[44:45] offset:32 glc
	global_load_dwordx2 v[0:1], v12, s[44:45] offset:40
	v_mov_b32_e32 v13, s10
	v_mov_b32_e32 v14, s11
	s_waitcnt vmcnt(0)
	v_readfirstlane_b32 s18, v0
	v_readfirstlane_b32 s19, v1
	s_and_b64 s[18:19], s[18:19], s[10:11]
	s_mul_i32 s15, s19, 24
	s_mul_hi_u32 s19, s18, 24
	s_mul_i32 s18, s18, 24
	s_add_i32 s15, s19, s15
	v_mov_b32_e32 v0, s15
	v_add_co_u32_e32 v6, vcc, s18, v6
	v_addc_co_u32_e32 v7, vcc, v7, v0, vcc
	global_store_dwordx2 v[6:7], v[15:16], off
	s_waitcnt vmcnt(0)
	global_atomic_cmpswap_x2 v[2:3], v12, v[13:16], s[44:45] offset:32 glc
	s_waitcnt vmcnt(0)
	v_cmp_ne_u64_e32 vcc, v[2:3], v[15:16]
	s_and_saveexec_b64 s[18:19], vcc
	s_cbranch_execz .LBB10_1114
; %bb.1112:
	s_mov_b64 s[20:21], 0
.LBB10_1113:                            ; =>This Inner Loop Header: Depth=1
	s_sleep 1
	global_store_dwordx2 v[6:7], v[2:3], off
	v_mov_b32_e32 v0, s10
	v_mov_b32_e32 v1, s11
	s_waitcnt vmcnt(0)
	global_atomic_cmpswap_x2 v[0:1], v12, v[0:3], s[44:45] offset:32 glc
	s_waitcnt vmcnt(0)
	v_cmp_eq_u64_e32 vcc, v[0:1], v[2:3]
	v_mov_b32_e32 v3, v1
	s_or_b64 s[20:21], vcc, s[20:21]
	v_mov_b32_e32 v2, v0
	s_andn2_b64 exec, exec, s[20:21]
	s_cbranch_execnz .LBB10_1113
.LBB10_1114:
	s_or_b64 exec, exec, s[18:19]
	v_mov_b32_e32 v3, 0
	global_load_dwordx2 v[0:1], v3, s[44:45] offset:16
	s_mov_b64 s[18:19], exec
	v_mbcnt_lo_u32_b32 v2, s18, 0
	v_mbcnt_hi_u32_b32 v2, s19, v2
	v_cmp_eq_u32_e32 vcc, 0, v2
	s_and_saveexec_b64 s[20:21], vcc
	s_cbranch_execz .LBB10_1116
; %bb.1115:
	s_bcnt1_i32_b64 s15, s[18:19]
	v_mov_b32_e32 v2, s15
	s_waitcnt vmcnt(0)
	global_atomic_add_x2 v[0:1], v[2:3], off offset:8
.LBB10_1116:
	s_or_b64 exec, exec, s[20:21]
	s_waitcnt vmcnt(0)
	global_load_dwordx2 v[2:3], v[0:1], off offset:16
	s_waitcnt vmcnt(0)
	v_cmp_eq_u64_e32 vcc, 0, v[2:3]
	s_cbranch_vccnz .LBB10_1118
; %bb.1117:
	global_load_dword v0, v[0:1], off offset:24
	v_mov_b32_e32 v1, 0
	s_waitcnt vmcnt(0)
	global_store_dwordx2 v[2:3], v[0:1], off
	v_and_b32_e32 v0, 0xffffff, v0
	v_readfirstlane_b32 m0, v0
	s_sendmsg sendmsg(MSG_INTERRUPT)
.LBB10_1118:
	s_or_b64 exec, exec, s[16:17]
	s_branch .LBB10_1122
.LBB10_1119:                            ;   in Loop: Header=BB10_1122 Depth=1
	s_or_b64 exec, exec, s[16:17]
	v_readfirstlane_b32 s15, v0
	s_cmp_eq_u32 s15, 0
	s_cbranch_scc1 .LBB10_1121
; %bb.1120:                             ;   in Loop: Header=BB10_1122 Depth=1
	s_sleep 1
	s_cbranch_execnz .LBB10_1122
	s_branch .LBB10_1124
.LBB10_1121:
	s_branch .LBB10_1124
.LBB10_1122:                            ; =>This Inner Loop Header: Depth=1
	v_mov_b32_e32 v0, 1
	s_and_saveexec_b64 s[16:17], s[4:5]
	s_cbranch_execz .LBB10_1119
; %bb.1123:                             ;   in Loop: Header=BB10_1122 Depth=1
	global_load_dword v0, v[10:11], off offset:20 glc
	s_waitcnt vmcnt(0)
	buffer_wbinvl1_vol
	v_and_b32_e32 v0, 1, v0
	s_branch .LBB10_1119
.LBB10_1124:
	global_load_dwordx2 v[6:7], v[8:9], off
	s_and_saveexec_b64 s[16:17], s[4:5]
	s_cbranch_execz .LBB10_1127
; %bb.1125:
	v_mov_b32_e32 v10, 0
	global_load_dwordx2 v[2:3], v10, s[44:45] offset:40
	global_load_dwordx2 v[11:12], v10, s[44:45] offset:24 glc
	global_load_dwordx2 v[8:9], v10, s[44:45]
	v_mov_b32_e32 v1, s11
	s_mov_b64 s[4:5], 0
	s_waitcnt vmcnt(2)
	v_add_co_u32_e32 v13, vcc, 1, v2
	v_addc_co_u32_e32 v14, vcc, 0, v3, vcc
	v_add_co_u32_e32 v0, vcc, s10, v13
	v_addc_co_u32_e32 v1, vcc, v14, v1, vcc
	v_cmp_eq_u64_e32 vcc, 0, v[0:1]
	v_cndmask_b32_e32 v1, v1, v14, vcc
	v_cndmask_b32_e32 v0, v0, v13, vcc
	v_and_b32_e32 v3, v1, v3
	v_and_b32_e32 v2, v0, v2
	v_mul_lo_u32 v3, v3, 24
	v_mul_hi_u32 v13, v2, 24
	v_mul_lo_u32 v14, v2, 24
	s_waitcnt vmcnt(1)
	v_mov_b32_e32 v2, v11
	v_add_u32_e32 v3, v13, v3
	s_waitcnt vmcnt(0)
	v_add_co_u32_e32 v8, vcc, v8, v14
	v_addc_co_u32_e32 v9, vcc, v9, v3, vcc
	global_store_dwordx2 v[8:9], v[11:12], off
	v_mov_b32_e32 v3, v12
	s_waitcnt vmcnt(0)
	global_atomic_cmpswap_x2 v[2:3], v10, v[0:3], s[44:45] offset:24 glc
	s_waitcnt vmcnt(0)
	v_cmp_ne_u64_e32 vcc, v[2:3], v[11:12]
	s_and_b64 exec, exec, vcc
	s_cbranch_execz .LBB10_1127
.LBB10_1126:                            ; =>This Inner Loop Header: Depth=1
	s_sleep 1
	global_store_dwordx2 v[8:9], v[2:3], off
	s_waitcnt vmcnt(0)
	global_atomic_cmpswap_x2 v[11:12], v10, v[0:3], s[44:45] offset:24 glc
	s_waitcnt vmcnt(0)
	v_cmp_eq_u64_e32 vcc, v[11:12], v[2:3]
	v_mov_b32_e32 v2, v11
	s_or_b64 s[4:5], vcc, s[4:5]
	v_mov_b32_e32 v3, v12
	s_andn2_b64 exec, exec, s[4:5]
	s_cbranch_execnz .LBB10_1126
.LBB10_1127:
	s_or_b64 exec, exec, s[16:17]
.LBB10_1128:
	v_readfirstlane_b32 s4, v51
	v_mov_b32_e32 v10, 0
	v_mov_b32_e32 v11, 0
	v_cmp_eq_u32_e64 s[4:5], s4, v51
	s_and_saveexec_b64 s[10:11], s[4:5]
	s_cbranch_execz .LBB10_1134
; %bb.1129:
	s_waitcnt vmcnt(0)
	v_mov_b32_e32 v0, 0
	global_load_dwordx2 v[12:13], v0, s[44:45] offset:24 glc
	s_waitcnt vmcnt(0)
	buffer_wbinvl1_vol
	global_load_dwordx2 v[1:2], v0, s[44:45] offset:40
	global_load_dwordx2 v[8:9], v0, s[44:45]
	s_waitcnt vmcnt(1)
	v_and_b32_e32 v1, v1, v12
	v_and_b32_e32 v2, v2, v13
	v_mul_lo_u32 v2, v2, 24
	v_mul_hi_u32 v3, v1, 24
	v_mul_lo_u32 v1, v1, 24
	v_add_u32_e32 v2, v3, v2
	s_waitcnt vmcnt(0)
	v_add_co_u32_e32 v1, vcc, v8, v1
	v_addc_co_u32_e32 v2, vcc, v9, v2, vcc
	global_load_dwordx2 v[10:11], v[1:2], off glc
	s_waitcnt vmcnt(0)
	global_atomic_cmpswap_x2 v[10:11], v0, v[10:13], s[44:45] offset:24 glc
	s_waitcnt vmcnt(0)
	buffer_wbinvl1_vol
	v_cmp_ne_u64_e32 vcc, v[10:11], v[12:13]
	s_and_saveexec_b64 s[16:17], vcc
	s_cbranch_execz .LBB10_1133
; %bb.1130:
	s_mov_b64 s[18:19], 0
.LBB10_1131:                            ; =>This Inner Loop Header: Depth=1
	s_sleep 1
	global_load_dwordx2 v[1:2], v0, s[44:45] offset:40
	global_load_dwordx2 v[8:9], v0, s[44:45]
	v_mov_b32_e32 v13, v11
	v_mov_b32_e32 v12, v10
	s_waitcnt vmcnt(1)
	v_and_b32_e32 v1, v1, v12
	s_waitcnt vmcnt(0)
	v_mad_u64_u32 v[8:9], s[20:21], v1, 24, v[8:9]
	v_and_b32_e32 v2, v2, v13
	v_mov_b32_e32 v1, v9
	v_mad_u64_u32 v[1:2], s[20:21], v2, 24, v[1:2]
	v_mov_b32_e32 v9, v1
	global_load_dwordx2 v[10:11], v[8:9], off glc
	s_waitcnt vmcnt(0)
	global_atomic_cmpswap_x2 v[10:11], v0, v[10:13], s[44:45] offset:24 glc
	s_waitcnt vmcnt(0)
	buffer_wbinvl1_vol
	v_cmp_eq_u64_e32 vcc, v[10:11], v[12:13]
	s_or_b64 s[18:19], vcc, s[18:19]
	s_andn2_b64 exec, exec, s[18:19]
	s_cbranch_execnz .LBB10_1131
; %bb.1132:
	s_or_b64 exec, exec, s[18:19]
.LBB10_1133:
	s_or_b64 exec, exec, s[16:17]
.LBB10_1134:
	s_or_b64 exec, exec, s[10:11]
	s_waitcnt vmcnt(0)
	v_mov_b32_e32 v9, 0
	global_load_dwordx2 v[12:13], v9, s[44:45] offset:40
	global_load_dwordx4 v[0:3], v9, s[44:45]
	v_readfirstlane_b32 s10, v10
	v_readfirstlane_b32 s11, v11
	s_mov_b64 s[16:17], exec
	s_waitcnt vmcnt(1)
	v_readfirstlane_b32 s18, v12
	v_readfirstlane_b32 s19, v13
	s_and_b64 s[18:19], s[10:11], s[18:19]
	s_mul_i32 s15, s19, 24
	s_mul_hi_u32 s20, s18, 24
	s_mul_i32 s21, s18, 24
	s_add_i32 s15, s20, s15
	v_mov_b32_e32 v8, s15
	s_waitcnt vmcnt(0)
	v_add_co_u32_e32 v10, vcc, s21, v0
	v_addc_co_u32_e32 v11, vcc, v1, v8, vcc
	s_and_saveexec_b64 s[20:21], s[4:5]
	s_cbranch_execz .LBB10_1136
; %bb.1135:
	v_mov_b32_e32 v12, s16
	v_mov_b32_e32 v13, s17
	;; [unrolled: 1-line block ×4, first 2 shown]
	global_store_dwordx4 v[10:11], v[12:15], off offset:8
.LBB10_1136:
	s_or_b64 exec, exec, s[20:21]
	s_lshl_b64 s[16:17], s[18:19], 12
	v_mov_b32_e32 v8, s17
	v_add_co_u32_e32 v2, vcc, s16, v2
	v_addc_co_u32_e32 v3, vcc, v3, v8, vcc
	s_movk_i32 s15, 0xff1d
	v_and_or_b32 v6, v6, s15, 34
	s_mov_b32 s16, 0
	v_mov_b32_e32 v8, 58
	v_readfirstlane_b32 s20, v2
	v_readfirstlane_b32 s21, v3
	s_mov_b32 s17, s16
	s_mov_b32 s18, s16
	;; [unrolled: 1-line block ×3, first 2 shown]
	s_nop 1
	global_store_dwordx4 v50, v[6:9], s[20:21]
	s_nop 0
	v_mov_b32_e32 v6, s16
	v_mov_b32_e32 v7, s17
	;; [unrolled: 1-line block ×4, first 2 shown]
	global_store_dwordx4 v50, v[6:9], s[20:21] offset:16
	global_store_dwordx4 v50, v[6:9], s[20:21] offset:32
	global_store_dwordx4 v50, v[6:9], s[20:21] offset:48
	s_and_saveexec_b64 s[16:17], s[4:5]
	s_cbranch_execz .LBB10_1144
; %bb.1137:
	v_mov_b32_e32 v8, 0
	global_load_dwordx2 v[14:15], v8, s[44:45] offset:32 glc
	global_load_dwordx2 v[2:3], v8, s[44:45] offset:40
	v_mov_b32_e32 v12, s10
	v_mov_b32_e32 v13, s11
	s_waitcnt vmcnt(0)
	v_readfirstlane_b32 s18, v2
	v_readfirstlane_b32 s19, v3
	s_and_b64 s[18:19], s[18:19], s[10:11]
	s_mul_i32 s15, s19, 24
	s_mul_hi_u32 s19, s18, 24
	s_mul_i32 s18, s18, 24
	s_add_i32 s15, s19, s15
	v_mov_b32_e32 v2, s15
	v_add_co_u32_e32 v6, vcc, s18, v0
	v_addc_co_u32_e32 v7, vcc, v1, v2, vcc
	global_store_dwordx2 v[6:7], v[14:15], off
	s_waitcnt vmcnt(0)
	global_atomic_cmpswap_x2 v[2:3], v8, v[12:15], s[44:45] offset:32 glc
	s_waitcnt vmcnt(0)
	v_cmp_ne_u64_e32 vcc, v[2:3], v[14:15]
	s_and_saveexec_b64 s[18:19], vcc
	s_cbranch_execz .LBB10_1140
; %bb.1138:
	s_mov_b64 s[20:21], 0
.LBB10_1139:                            ; =>This Inner Loop Header: Depth=1
	s_sleep 1
	global_store_dwordx2 v[6:7], v[2:3], off
	v_mov_b32_e32 v0, s10
	v_mov_b32_e32 v1, s11
	s_waitcnt vmcnt(0)
	global_atomic_cmpswap_x2 v[0:1], v8, v[0:3], s[44:45] offset:32 glc
	s_waitcnt vmcnt(0)
	v_cmp_eq_u64_e32 vcc, v[0:1], v[2:3]
	v_mov_b32_e32 v3, v1
	s_or_b64 s[20:21], vcc, s[20:21]
	v_mov_b32_e32 v2, v0
	s_andn2_b64 exec, exec, s[20:21]
	s_cbranch_execnz .LBB10_1139
.LBB10_1140:
	s_or_b64 exec, exec, s[18:19]
	v_mov_b32_e32 v3, 0
	global_load_dwordx2 v[0:1], v3, s[44:45] offset:16
	s_mov_b64 s[18:19], exec
	v_mbcnt_lo_u32_b32 v2, s18, 0
	v_mbcnt_hi_u32_b32 v2, s19, v2
	v_cmp_eq_u32_e32 vcc, 0, v2
	s_and_saveexec_b64 s[20:21], vcc
	s_cbranch_execz .LBB10_1142
; %bb.1141:
	s_bcnt1_i32_b64 s15, s[18:19]
	v_mov_b32_e32 v2, s15
	s_waitcnt vmcnt(0)
	global_atomic_add_x2 v[0:1], v[2:3], off offset:8
.LBB10_1142:
	s_or_b64 exec, exec, s[20:21]
	s_waitcnt vmcnt(0)
	global_load_dwordx2 v[2:3], v[0:1], off offset:16
	s_waitcnt vmcnt(0)
	v_cmp_eq_u64_e32 vcc, 0, v[2:3]
	s_cbranch_vccnz .LBB10_1144
; %bb.1143:
	global_load_dword v0, v[0:1], off offset:24
	v_mov_b32_e32 v1, 0
	s_waitcnt vmcnt(0)
	global_store_dwordx2 v[2:3], v[0:1], off
	v_and_b32_e32 v0, 0xffffff, v0
	v_readfirstlane_b32 m0, v0
	s_sendmsg sendmsg(MSG_INTERRUPT)
.LBB10_1144:
	s_or_b64 exec, exec, s[16:17]
	s_branch .LBB10_1148
.LBB10_1145:                            ;   in Loop: Header=BB10_1148 Depth=1
	s_or_b64 exec, exec, s[16:17]
	v_readfirstlane_b32 s15, v0
	s_cmp_eq_u32 s15, 0
	s_cbranch_scc1 .LBB10_1147
; %bb.1146:                             ;   in Loop: Header=BB10_1148 Depth=1
	s_sleep 1
	s_cbranch_execnz .LBB10_1148
	s_branch .LBB10_1150
.LBB10_1147:
	s_branch .LBB10_1150
.LBB10_1148:                            ; =>This Inner Loop Header: Depth=1
	v_mov_b32_e32 v0, 1
	s_and_saveexec_b64 s[16:17], s[4:5]
	s_cbranch_execz .LBB10_1145
; %bb.1149:                             ;   in Loop: Header=BB10_1148 Depth=1
	global_load_dword v0, v[10:11], off offset:20 glc
	s_waitcnt vmcnt(0)
	buffer_wbinvl1_vol
	v_and_b32_e32 v0, 1, v0
	s_branch .LBB10_1145
.LBB10_1150:
	s_and_saveexec_b64 s[16:17], s[4:5]
	s_cbranch_execz .LBB10_1153
; %bb.1151:
	v_mov_b32_e32 v8, 0
	global_load_dwordx2 v[2:3], v8, s[44:45] offset:40
	global_load_dwordx2 v[9:10], v8, s[44:45] offset:24 glc
	global_load_dwordx2 v[6:7], v8, s[44:45]
	v_mov_b32_e32 v1, s11
	s_mov_b64 s[4:5], 0
	s_waitcnt vmcnt(2)
	v_add_co_u32_e32 v11, vcc, 1, v2
	v_addc_co_u32_e32 v12, vcc, 0, v3, vcc
	v_add_co_u32_e32 v0, vcc, s10, v11
	v_addc_co_u32_e32 v1, vcc, v12, v1, vcc
	v_cmp_eq_u64_e32 vcc, 0, v[0:1]
	v_cndmask_b32_e32 v1, v1, v12, vcc
	v_cndmask_b32_e32 v0, v0, v11, vcc
	v_and_b32_e32 v3, v1, v3
	v_and_b32_e32 v2, v0, v2
	v_mul_lo_u32 v3, v3, 24
	v_mul_hi_u32 v11, v2, 24
	v_mul_lo_u32 v12, v2, 24
	s_waitcnt vmcnt(1)
	v_mov_b32_e32 v2, v9
	v_add_u32_e32 v3, v11, v3
	s_waitcnt vmcnt(0)
	v_add_co_u32_e32 v6, vcc, v6, v12
	v_addc_co_u32_e32 v7, vcc, v7, v3, vcc
	global_store_dwordx2 v[6:7], v[9:10], off
	v_mov_b32_e32 v3, v10
	s_waitcnt vmcnt(0)
	global_atomic_cmpswap_x2 v[2:3], v8, v[0:3], s[44:45] offset:24 glc
	s_waitcnt vmcnt(0)
	v_cmp_ne_u64_e32 vcc, v[2:3], v[9:10]
	s_and_b64 exec, exec, vcc
	s_cbranch_execz .LBB10_1153
.LBB10_1152:                            ; =>This Inner Loop Header: Depth=1
	s_sleep 1
	global_store_dwordx2 v[6:7], v[2:3], off
	s_waitcnt vmcnt(0)
	global_atomic_cmpswap_x2 v[9:10], v8, v[0:3], s[44:45] offset:24 glc
	s_waitcnt vmcnt(0)
	v_cmp_eq_u64_e32 vcc, v[9:10], v[2:3]
	v_mov_b32_e32 v2, v9
	s_or_b64 s[4:5], vcc, s[4:5]
	v_mov_b32_e32 v3, v10
	s_andn2_b64 exec, exec, s[4:5]
	s_cbranch_execnz .LBB10_1152
.LBB10_1153:
	s_or_b64 exec, exec, s[16:17]
	v_readfirstlane_b32 s4, v51
	v_mov_b32_e32 v8, 0
	v_mov_b32_e32 v9, 0
	v_cmp_eq_u32_e64 s[4:5], s4, v51
	s_and_saveexec_b64 s[10:11], s[4:5]
	s_cbranch_execz .LBB10_1159
; %bb.1154:
	v_mov_b32_e32 v0, 0
	global_load_dwordx2 v[10:11], v0, s[44:45] offset:24 glc
	s_waitcnt vmcnt(0)
	buffer_wbinvl1_vol
	global_load_dwordx2 v[1:2], v0, s[44:45] offset:40
	global_load_dwordx2 v[6:7], v0, s[44:45]
	s_waitcnt vmcnt(1)
	v_and_b32_e32 v1, v1, v10
	v_and_b32_e32 v2, v2, v11
	v_mul_lo_u32 v2, v2, 24
	v_mul_hi_u32 v3, v1, 24
	v_mul_lo_u32 v1, v1, 24
	v_add_u32_e32 v2, v3, v2
	s_waitcnt vmcnt(0)
	v_add_co_u32_e32 v1, vcc, v6, v1
	v_addc_co_u32_e32 v2, vcc, v7, v2, vcc
	global_load_dwordx2 v[8:9], v[1:2], off glc
	s_waitcnt vmcnt(0)
	global_atomic_cmpswap_x2 v[8:9], v0, v[8:11], s[44:45] offset:24 glc
	s_waitcnt vmcnt(0)
	buffer_wbinvl1_vol
	v_cmp_ne_u64_e32 vcc, v[8:9], v[10:11]
	s_and_saveexec_b64 s[16:17], vcc
	s_cbranch_execz .LBB10_1158
; %bb.1155:
	s_mov_b64 s[18:19], 0
.LBB10_1156:                            ; =>This Inner Loop Header: Depth=1
	s_sleep 1
	global_load_dwordx2 v[1:2], v0, s[44:45] offset:40
	global_load_dwordx2 v[6:7], v0, s[44:45]
	v_mov_b32_e32 v11, v9
	v_mov_b32_e32 v10, v8
	s_waitcnt vmcnt(1)
	v_and_b32_e32 v1, v1, v10
	s_waitcnt vmcnt(0)
	v_mad_u64_u32 v[6:7], s[20:21], v1, 24, v[6:7]
	v_and_b32_e32 v2, v2, v11
	v_mov_b32_e32 v1, v7
	v_mad_u64_u32 v[1:2], s[20:21], v2, 24, v[1:2]
	v_mov_b32_e32 v7, v1
	global_load_dwordx2 v[8:9], v[6:7], off glc
	s_waitcnt vmcnt(0)
	global_atomic_cmpswap_x2 v[8:9], v0, v[8:11], s[44:45] offset:24 glc
	s_waitcnt vmcnt(0)
	buffer_wbinvl1_vol
	v_cmp_eq_u64_e32 vcc, v[8:9], v[10:11]
	s_or_b64 s[18:19], vcc, s[18:19]
	s_andn2_b64 exec, exec, s[18:19]
	s_cbranch_execnz .LBB10_1156
; %bb.1157:
	s_or_b64 exec, exec, s[18:19]
.LBB10_1158:
	s_or_b64 exec, exec, s[16:17]
.LBB10_1159:
	s_or_b64 exec, exec, s[10:11]
	v_mov_b32_e32 v7, 0
	global_load_dwordx2 v[10:11], v7, s[44:45] offset:40
	global_load_dwordx4 v[0:3], v7, s[44:45]
	v_readfirstlane_b32 s10, v8
	v_readfirstlane_b32 s11, v9
	s_mov_b64 s[16:17], exec
	s_waitcnt vmcnt(1)
	v_readfirstlane_b32 s18, v10
	v_readfirstlane_b32 s19, v11
	s_and_b64 s[18:19], s[10:11], s[18:19]
	s_mul_i32 s15, s19, 24
	s_mul_hi_u32 s20, s18, 24
	s_mul_i32 s21, s18, 24
	s_add_i32 s15, s20, s15
	v_mov_b32_e32 v6, s15
	s_waitcnt vmcnt(0)
	v_add_co_u32_e32 v10, vcc, s21, v0
	v_addc_co_u32_e32 v11, vcc, v1, v6, vcc
	s_and_saveexec_b64 s[20:21], s[4:5]
	s_cbranch_execz .LBB10_1161
; %bb.1160:
	v_mov_b32_e32 v12, s16
	v_mov_b32_e32 v13, s17
	;; [unrolled: 1-line block ×4, first 2 shown]
	global_store_dwordx4 v[10:11], v[12:15], off offset:8
.LBB10_1161:
	s_or_b64 exec, exec, s[20:21]
	s_lshl_b64 s[16:17], s[18:19], 12
	v_mov_b32_e32 v6, s17
	v_add_co_u32_e32 v2, vcc, s16, v2
	v_addc_co_u32_e32 v3, vcc, v3, v6, vcc
	s_mov_b32 s16, 0
	v_mov_b32_e32 v6, 33
	v_mov_b32_e32 v8, v7
	;; [unrolled: 1-line block ×3, first 2 shown]
	v_readfirstlane_b32 s20, v2
	v_readfirstlane_b32 s21, v3
	v_add_co_u32_e32 v12, vcc, v2, v50
	s_mov_b32 s17, s16
	s_mov_b32 s18, s16
	;; [unrolled: 1-line block ×3, first 2 shown]
	s_nop 0
	global_store_dwordx4 v50, v[6:9], s[20:21]
	v_addc_co_u32_e32 v13, vcc, 0, v3, vcc
	v_mov_b32_e32 v6, s16
	v_mov_b32_e32 v7, s17
	v_mov_b32_e32 v8, s18
	v_mov_b32_e32 v9, s19
	global_store_dwordx4 v50, v[6:9], s[20:21] offset:16
	global_store_dwordx4 v50, v[6:9], s[20:21] offset:32
	;; [unrolled: 1-line block ×3, first 2 shown]
	s_and_saveexec_b64 s[16:17], s[4:5]
	s_cbranch_execz .LBB10_1169
; %bb.1162:
	v_mov_b32_e32 v8, 0
	global_load_dwordx2 v[16:17], v8, s[44:45] offset:32 glc
	global_load_dwordx2 v[2:3], v8, s[44:45] offset:40
	v_mov_b32_e32 v14, s10
	v_mov_b32_e32 v15, s11
	s_waitcnt vmcnt(0)
	v_readfirstlane_b32 s18, v2
	v_readfirstlane_b32 s19, v3
	s_and_b64 s[18:19], s[18:19], s[10:11]
	s_mul_i32 s15, s19, 24
	s_mul_hi_u32 s19, s18, 24
	s_mul_i32 s18, s18, 24
	s_add_i32 s15, s19, s15
	v_mov_b32_e32 v2, s15
	v_add_co_u32_e32 v6, vcc, s18, v0
	v_addc_co_u32_e32 v7, vcc, v1, v2, vcc
	global_store_dwordx2 v[6:7], v[16:17], off
	s_waitcnt vmcnt(0)
	global_atomic_cmpswap_x2 v[2:3], v8, v[14:17], s[44:45] offset:32 glc
	s_waitcnt vmcnt(0)
	v_cmp_ne_u64_e32 vcc, v[2:3], v[16:17]
	s_and_saveexec_b64 s[18:19], vcc
	s_cbranch_execz .LBB10_1165
; %bb.1163:
	s_mov_b64 s[20:21], 0
.LBB10_1164:                            ; =>This Inner Loop Header: Depth=1
	s_sleep 1
	global_store_dwordx2 v[6:7], v[2:3], off
	v_mov_b32_e32 v0, s10
	v_mov_b32_e32 v1, s11
	s_waitcnt vmcnt(0)
	global_atomic_cmpswap_x2 v[0:1], v8, v[0:3], s[44:45] offset:32 glc
	s_waitcnt vmcnt(0)
	v_cmp_eq_u64_e32 vcc, v[0:1], v[2:3]
	v_mov_b32_e32 v3, v1
	s_or_b64 s[20:21], vcc, s[20:21]
	v_mov_b32_e32 v2, v0
	s_andn2_b64 exec, exec, s[20:21]
	s_cbranch_execnz .LBB10_1164
.LBB10_1165:
	s_or_b64 exec, exec, s[18:19]
	v_mov_b32_e32 v3, 0
	global_load_dwordx2 v[0:1], v3, s[44:45] offset:16
	s_mov_b64 s[18:19], exec
	v_mbcnt_lo_u32_b32 v2, s18, 0
	v_mbcnt_hi_u32_b32 v2, s19, v2
	v_cmp_eq_u32_e32 vcc, 0, v2
	s_and_saveexec_b64 s[20:21], vcc
	s_cbranch_execz .LBB10_1167
; %bb.1166:
	s_bcnt1_i32_b64 s15, s[18:19]
	v_mov_b32_e32 v2, s15
	s_waitcnt vmcnt(0)
	global_atomic_add_x2 v[0:1], v[2:3], off offset:8
.LBB10_1167:
	s_or_b64 exec, exec, s[20:21]
	s_waitcnt vmcnt(0)
	global_load_dwordx2 v[2:3], v[0:1], off offset:16
	s_waitcnt vmcnt(0)
	v_cmp_eq_u64_e32 vcc, 0, v[2:3]
	s_cbranch_vccnz .LBB10_1169
; %bb.1168:
	global_load_dword v0, v[0:1], off offset:24
	v_mov_b32_e32 v1, 0
	s_waitcnt vmcnt(0)
	global_store_dwordx2 v[2:3], v[0:1], off
	v_and_b32_e32 v0, 0xffffff, v0
	v_readfirstlane_b32 m0, v0
	s_sendmsg sendmsg(MSG_INTERRUPT)
.LBB10_1169:
	s_or_b64 exec, exec, s[16:17]
	s_branch .LBB10_1173
.LBB10_1170:                            ;   in Loop: Header=BB10_1173 Depth=1
	s_or_b64 exec, exec, s[16:17]
	v_readfirstlane_b32 s15, v0
	s_cmp_eq_u32 s15, 0
	s_cbranch_scc1 .LBB10_1172
; %bb.1171:                             ;   in Loop: Header=BB10_1173 Depth=1
	s_sleep 1
	s_cbranch_execnz .LBB10_1173
	s_branch .LBB10_1175
.LBB10_1172:
	s_branch .LBB10_1175
.LBB10_1173:                            ; =>This Inner Loop Header: Depth=1
	v_mov_b32_e32 v0, 1
	s_and_saveexec_b64 s[16:17], s[4:5]
	s_cbranch_execz .LBB10_1170
; %bb.1174:                             ;   in Loop: Header=BB10_1173 Depth=1
	global_load_dword v0, v[10:11], off offset:20 glc
	s_waitcnt vmcnt(0)
	buffer_wbinvl1_vol
	v_and_b32_e32 v0, 1, v0
	s_branch .LBB10_1170
.LBB10_1175:
	global_load_dwordx2 v[0:1], v[12:13], off
	s_and_saveexec_b64 s[16:17], s[4:5]
	s_cbranch_execz .LBB10_1178
; %bb.1176:
	v_mov_b32_e32 v10, 0
	global_load_dwordx2 v[2:3], v10, s[44:45] offset:40
	global_load_dwordx2 v[11:12], v10, s[44:45] offset:24 glc
	global_load_dwordx2 v[13:14], v10, s[44:45]
	v_mov_b32_e32 v7, s11
	s_mov_b64 s[4:5], 0
	s_waitcnt vmcnt(2)
	v_add_co_u32_e32 v8, vcc, 1, v2
	v_addc_co_u32_e32 v9, vcc, 0, v3, vcc
	v_add_co_u32_e32 v6, vcc, s10, v8
	v_addc_co_u32_e32 v7, vcc, v9, v7, vcc
	v_cmp_eq_u64_e32 vcc, 0, v[6:7]
	v_cndmask_b32_e32 v7, v7, v9, vcc
	v_cndmask_b32_e32 v6, v6, v8, vcc
	v_and_b32_e32 v3, v7, v3
	v_and_b32_e32 v2, v6, v2
	v_mul_lo_u32 v3, v3, 24
	v_mul_hi_u32 v9, v2, 24
	v_mul_lo_u32 v2, v2, 24
	s_waitcnt vmcnt(1)
	v_mov_b32_e32 v8, v11
	v_add_u32_e32 v3, v9, v3
	s_waitcnt vmcnt(0)
	v_add_co_u32_e32 v2, vcc, v13, v2
	v_addc_co_u32_e32 v3, vcc, v14, v3, vcc
	global_store_dwordx2 v[2:3], v[11:12], off
	v_mov_b32_e32 v9, v12
	s_waitcnt vmcnt(0)
	global_atomic_cmpswap_x2 v[8:9], v10, v[6:9], s[44:45] offset:24 glc
	s_waitcnt vmcnt(0)
	v_cmp_ne_u64_e32 vcc, v[8:9], v[11:12]
	s_and_b64 exec, exec, vcc
	s_cbranch_execz .LBB10_1178
.LBB10_1177:                            ; =>This Inner Loop Header: Depth=1
	s_sleep 1
	global_store_dwordx2 v[2:3], v[8:9], off
	s_waitcnt vmcnt(0)
	global_atomic_cmpswap_x2 v[11:12], v10, v[6:9], s[44:45] offset:24 glc
	s_waitcnt vmcnt(0)
	v_cmp_eq_u64_e32 vcc, v[11:12], v[8:9]
	v_mov_b32_e32 v8, v11
	s_or_b64 s[4:5], vcc, s[4:5]
	v_mov_b32_e32 v9, v12
	s_andn2_b64 exec, exec, s[4:5]
	s_cbranch_execnz .LBB10_1177
.LBB10_1178:
	s_or_b64 exec, exec, s[16:17]
	s_and_b64 vcc, exec, s[46:47]
	s_cbranch_vccz .LBB10_1263
; %bb.1179:
	s_waitcnt vmcnt(0)
	v_and_b32_e32 v34, 2, v0
	v_mov_b32_e32 v3, 0
	v_and_b32_e32 v6, -3, v0
	v_mov_b32_e32 v7, v1
	s_mov_b64 s[16:17], 3
	v_mov_b32_e32 v10, 2
	v_mov_b32_e32 v11, 1
	s_getpc_b64 s[10:11]
	s_add_u32 s10, s10, .str.8@rel32@lo+4
	s_addc_u32 s11, s11, .str.8@rel32@hi+12
	s_branch .LBB10_1181
.LBB10_1180:                            ;   in Loop: Header=BB10_1181 Depth=1
	s_or_b64 exec, exec, s[22:23]
	s_sub_u32 s16, s16, s18
	s_subb_u32 s17, s17, s19
	s_add_u32 s10, s10, s18
	s_addc_u32 s11, s11, s19
	s_cmp_lg_u64 s[16:17], 0
	s_cbranch_scc0 .LBB10_1262
.LBB10_1181:                            ; =>This Loop Header: Depth=1
                                        ;     Child Loop BB10_1184 Depth 2
                                        ;     Child Loop BB10_1191 Depth 2
	;; [unrolled: 1-line block ×11, first 2 shown]
	v_cmp_lt_u64_e64 s[4:5], s[16:17], 56
	v_cmp_gt_u64_e64 s[20:21], s[16:17], 7
	s_and_b64 s[4:5], s[4:5], exec
	s_cselect_b32 s19, s17, 0
	s_cselect_b32 s18, s16, 56
	s_and_b64 vcc, exec, s[20:21]
	s_cbranch_vccnz .LBB10_1186
; %bb.1182:                             ;   in Loop: Header=BB10_1181 Depth=1
	v_mov_b32_e32 v14, 0
	s_cmp_eq_u64 s[16:17], 0
	v_mov_b32_e32 v15, 0
	s_mov_b64 s[4:5], 0
	s_cbranch_scc1 .LBB10_1185
; %bb.1183:                             ;   in Loop: Header=BB10_1181 Depth=1
	v_mov_b32_e32 v14, 0
	s_lshl_b64 s[20:21], s[18:19], 3
	s_mov_b64 s[22:23], 0
	v_mov_b32_e32 v15, 0
	s_mov_b64 s[24:25], s[10:11]
.LBB10_1184:                            ;   Parent Loop BB10_1181 Depth=1
                                        ; =>  This Inner Loop Header: Depth=2
	global_load_ubyte v2, v3, s[24:25]
	s_waitcnt vmcnt(0)
	v_and_b32_e32 v2, 0xffff, v2
	v_lshlrev_b64 v[8:9], s22, v[2:3]
	s_add_u32 s22, s22, 8
	s_addc_u32 s23, s23, 0
	s_add_u32 s24, s24, 1
	s_addc_u32 s25, s25, 0
	v_or_b32_e32 v14, v8, v14
	s_cmp_lg_u32 s20, s22
	v_or_b32_e32 v15, v9, v15
	s_cbranch_scc1 .LBB10_1184
.LBB10_1185:                            ;   in Loop: Header=BB10_1181 Depth=1
	s_mov_b32 s15, 0
	s_andn2_b64 vcc, exec, s[4:5]
	s_mov_b64 s[4:5], s[10:11]
	s_cbranch_vccz .LBB10_1187
	s_branch .LBB10_1188
.LBB10_1186:                            ;   in Loop: Header=BB10_1181 Depth=1
                                        ; implicit-def: $vgpr14_vgpr15
                                        ; implicit-def: $sgpr15
	s_mov_b64 s[4:5], s[10:11]
.LBB10_1187:                            ;   in Loop: Header=BB10_1181 Depth=1
	global_load_dwordx2 v[14:15], v3, s[10:11]
	s_add_i32 s15, s18, -8
	s_add_u32 s4, s10, 8
	s_addc_u32 s5, s11, 0
.LBB10_1188:                            ;   in Loop: Header=BB10_1181 Depth=1
	s_cmp_gt_u32 s15, 7
	s_cbranch_scc1 .LBB10_1192
; %bb.1189:                             ;   in Loop: Header=BB10_1181 Depth=1
	s_cmp_eq_u32 s15, 0
	s_cbranch_scc1 .LBB10_1193
; %bb.1190:                             ;   in Loop: Header=BB10_1181 Depth=1
	v_mov_b32_e32 v16, 0
	s_mov_b64 s[20:21], 0
	v_mov_b32_e32 v17, 0
	s_mov_b64 s[22:23], 0
.LBB10_1191:                            ;   Parent Loop BB10_1181 Depth=1
                                        ; =>  This Inner Loop Header: Depth=2
	s_add_u32 s24, s4, s22
	s_addc_u32 s25, s5, s23
	global_load_ubyte v2, v3, s[24:25]
	s_add_u32 s22, s22, 1
	s_addc_u32 s23, s23, 0
	s_waitcnt vmcnt(0)
	v_and_b32_e32 v2, 0xffff, v2
	v_lshlrev_b64 v[8:9], s20, v[2:3]
	s_add_u32 s20, s20, 8
	s_addc_u32 s21, s21, 0
	v_or_b32_e32 v16, v8, v16
	s_cmp_lg_u32 s15, s22
	v_or_b32_e32 v17, v9, v17
	s_cbranch_scc1 .LBB10_1191
	s_branch .LBB10_1194
.LBB10_1192:                            ;   in Loop: Header=BB10_1181 Depth=1
                                        ; implicit-def: $vgpr16_vgpr17
                                        ; implicit-def: $sgpr24
	s_branch .LBB10_1195
.LBB10_1193:                            ;   in Loop: Header=BB10_1181 Depth=1
	v_mov_b32_e32 v16, 0
	v_mov_b32_e32 v17, 0
.LBB10_1194:                            ;   in Loop: Header=BB10_1181 Depth=1
	s_mov_b32 s24, 0
	s_cbranch_execnz .LBB10_1196
.LBB10_1195:                            ;   in Loop: Header=BB10_1181 Depth=1
	global_load_dwordx2 v[16:17], v3, s[4:5]
	s_add_i32 s24, s15, -8
	s_add_u32 s4, s4, 8
	s_addc_u32 s5, s5, 0
.LBB10_1196:                            ;   in Loop: Header=BB10_1181 Depth=1
	s_cmp_gt_u32 s24, 7
	s_cbranch_scc1 .LBB10_1200
; %bb.1197:                             ;   in Loop: Header=BB10_1181 Depth=1
	s_cmp_eq_u32 s24, 0
	s_cbranch_scc1 .LBB10_1201
; %bb.1198:                             ;   in Loop: Header=BB10_1181 Depth=1
	v_mov_b32_e32 v18, 0
	s_mov_b64 s[20:21], 0
	v_mov_b32_e32 v19, 0
	s_mov_b64 s[22:23], 0
.LBB10_1199:                            ;   Parent Loop BB10_1181 Depth=1
                                        ; =>  This Inner Loop Header: Depth=2
	s_add_u32 s26, s4, s22
	s_addc_u32 s27, s5, s23
	global_load_ubyte v2, v3, s[26:27]
	s_add_u32 s22, s22, 1
	s_addc_u32 s23, s23, 0
	s_waitcnt vmcnt(0)
	v_and_b32_e32 v2, 0xffff, v2
	v_lshlrev_b64 v[8:9], s20, v[2:3]
	s_add_u32 s20, s20, 8
	s_addc_u32 s21, s21, 0
	v_or_b32_e32 v18, v8, v18
	s_cmp_lg_u32 s24, s22
	v_or_b32_e32 v19, v9, v19
	s_cbranch_scc1 .LBB10_1199
	s_branch .LBB10_1202
.LBB10_1200:                            ;   in Loop: Header=BB10_1181 Depth=1
                                        ; implicit-def: $sgpr15
	s_branch .LBB10_1203
.LBB10_1201:                            ;   in Loop: Header=BB10_1181 Depth=1
	v_mov_b32_e32 v18, 0
	v_mov_b32_e32 v19, 0
.LBB10_1202:                            ;   in Loop: Header=BB10_1181 Depth=1
	s_mov_b32 s15, 0
	s_cbranch_execnz .LBB10_1204
.LBB10_1203:                            ;   in Loop: Header=BB10_1181 Depth=1
	global_load_dwordx2 v[18:19], v3, s[4:5]
	s_add_i32 s15, s24, -8
	s_add_u32 s4, s4, 8
	s_addc_u32 s5, s5, 0
.LBB10_1204:                            ;   in Loop: Header=BB10_1181 Depth=1
	s_cmp_gt_u32 s15, 7
	s_cbranch_scc1 .LBB10_1208
; %bb.1205:                             ;   in Loop: Header=BB10_1181 Depth=1
	s_cmp_eq_u32 s15, 0
	s_cbranch_scc1 .LBB10_1209
; %bb.1206:                             ;   in Loop: Header=BB10_1181 Depth=1
	v_mov_b32_e32 v20, 0
	s_mov_b64 s[20:21], 0
	v_mov_b32_e32 v21, 0
	s_mov_b64 s[22:23], 0
.LBB10_1207:                            ;   Parent Loop BB10_1181 Depth=1
                                        ; =>  This Inner Loop Header: Depth=2
	s_add_u32 s24, s4, s22
	s_addc_u32 s25, s5, s23
	global_load_ubyte v2, v3, s[24:25]
	s_add_u32 s22, s22, 1
	s_addc_u32 s23, s23, 0
	s_waitcnt vmcnt(0)
	v_and_b32_e32 v2, 0xffff, v2
	v_lshlrev_b64 v[8:9], s20, v[2:3]
	s_add_u32 s20, s20, 8
	s_addc_u32 s21, s21, 0
	v_or_b32_e32 v20, v8, v20
	s_cmp_lg_u32 s15, s22
	v_or_b32_e32 v21, v9, v21
	s_cbranch_scc1 .LBB10_1207
	s_branch .LBB10_1210
.LBB10_1208:                            ;   in Loop: Header=BB10_1181 Depth=1
                                        ; implicit-def: $vgpr20_vgpr21
                                        ; implicit-def: $sgpr24
	s_branch .LBB10_1211
.LBB10_1209:                            ;   in Loop: Header=BB10_1181 Depth=1
	v_mov_b32_e32 v20, 0
	v_mov_b32_e32 v21, 0
.LBB10_1210:                            ;   in Loop: Header=BB10_1181 Depth=1
	s_mov_b32 s24, 0
	s_cbranch_execnz .LBB10_1212
.LBB10_1211:                            ;   in Loop: Header=BB10_1181 Depth=1
	global_load_dwordx2 v[20:21], v3, s[4:5]
	s_add_i32 s24, s15, -8
	s_add_u32 s4, s4, 8
	s_addc_u32 s5, s5, 0
.LBB10_1212:                            ;   in Loop: Header=BB10_1181 Depth=1
	s_cmp_gt_u32 s24, 7
	s_cbranch_scc1 .LBB10_1216
; %bb.1213:                             ;   in Loop: Header=BB10_1181 Depth=1
	s_cmp_eq_u32 s24, 0
	s_cbranch_scc1 .LBB10_1217
; %bb.1214:                             ;   in Loop: Header=BB10_1181 Depth=1
	v_mov_b32_e32 v22, 0
	s_mov_b64 s[20:21], 0
	v_mov_b32_e32 v23, 0
	s_mov_b64 s[22:23], 0
.LBB10_1215:                            ;   Parent Loop BB10_1181 Depth=1
                                        ; =>  This Inner Loop Header: Depth=2
	s_add_u32 s26, s4, s22
	s_addc_u32 s27, s5, s23
	global_load_ubyte v2, v3, s[26:27]
	s_add_u32 s22, s22, 1
	s_addc_u32 s23, s23, 0
	s_waitcnt vmcnt(0)
	v_and_b32_e32 v2, 0xffff, v2
	v_lshlrev_b64 v[8:9], s20, v[2:3]
	s_add_u32 s20, s20, 8
	s_addc_u32 s21, s21, 0
	v_or_b32_e32 v22, v8, v22
	s_cmp_lg_u32 s24, s22
	v_or_b32_e32 v23, v9, v23
	s_cbranch_scc1 .LBB10_1215
	s_branch .LBB10_1218
.LBB10_1216:                            ;   in Loop: Header=BB10_1181 Depth=1
                                        ; implicit-def: $sgpr15
	s_branch .LBB10_1219
.LBB10_1217:                            ;   in Loop: Header=BB10_1181 Depth=1
	v_mov_b32_e32 v22, 0
	v_mov_b32_e32 v23, 0
.LBB10_1218:                            ;   in Loop: Header=BB10_1181 Depth=1
	s_mov_b32 s15, 0
	s_cbranch_execnz .LBB10_1220
.LBB10_1219:                            ;   in Loop: Header=BB10_1181 Depth=1
	global_load_dwordx2 v[22:23], v3, s[4:5]
	s_add_i32 s15, s24, -8
	s_add_u32 s4, s4, 8
	s_addc_u32 s5, s5, 0
.LBB10_1220:                            ;   in Loop: Header=BB10_1181 Depth=1
	s_cmp_gt_u32 s15, 7
	s_cbranch_scc1 .LBB10_1224
; %bb.1221:                             ;   in Loop: Header=BB10_1181 Depth=1
	s_cmp_eq_u32 s15, 0
	s_cbranch_scc1 .LBB10_1225
; %bb.1222:                             ;   in Loop: Header=BB10_1181 Depth=1
	v_mov_b32_e32 v24, 0
	s_mov_b64 s[20:21], 0
	v_mov_b32_e32 v25, 0
	s_mov_b64 s[22:23], 0
.LBB10_1223:                            ;   Parent Loop BB10_1181 Depth=1
                                        ; =>  This Inner Loop Header: Depth=2
	s_add_u32 s24, s4, s22
	s_addc_u32 s25, s5, s23
	global_load_ubyte v2, v3, s[24:25]
	s_add_u32 s22, s22, 1
	s_addc_u32 s23, s23, 0
	s_waitcnt vmcnt(0)
	v_and_b32_e32 v2, 0xffff, v2
	v_lshlrev_b64 v[8:9], s20, v[2:3]
	s_add_u32 s20, s20, 8
	s_addc_u32 s21, s21, 0
	v_or_b32_e32 v24, v8, v24
	s_cmp_lg_u32 s15, s22
	v_or_b32_e32 v25, v9, v25
	s_cbranch_scc1 .LBB10_1223
	s_branch .LBB10_1226
.LBB10_1224:                            ;   in Loop: Header=BB10_1181 Depth=1
                                        ; implicit-def: $vgpr24_vgpr25
                                        ; implicit-def: $sgpr24
	s_branch .LBB10_1227
.LBB10_1225:                            ;   in Loop: Header=BB10_1181 Depth=1
	v_mov_b32_e32 v24, 0
	v_mov_b32_e32 v25, 0
.LBB10_1226:                            ;   in Loop: Header=BB10_1181 Depth=1
	s_mov_b32 s24, 0
	s_cbranch_execnz .LBB10_1228
.LBB10_1227:                            ;   in Loop: Header=BB10_1181 Depth=1
	global_load_dwordx2 v[24:25], v3, s[4:5]
	s_add_i32 s24, s15, -8
	s_add_u32 s4, s4, 8
	s_addc_u32 s5, s5, 0
.LBB10_1228:                            ;   in Loop: Header=BB10_1181 Depth=1
	s_cmp_gt_u32 s24, 7
	s_cbranch_scc1 .LBB10_1232
; %bb.1229:                             ;   in Loop: Header=BB10_1181 Depth=1
	s_cmp_eq_u32 s24, 0
	s_cbranch_scc1 .LBB10_1233
; %bb.1230:                             ;   in Loop: Header=BB10_1181 Depth=1
	v_mov_b32_e32 v26, 0
	s_mov_b64 s[20:21], 0
	v_mov_b32_e32 v27, 0
	s_mov_b64 s[22:23], s[4:5]
.LBB10_1231:                            ;   Parent Loop BB10_1181 Depth=1
                                        ; =>  This Inner Loop Header: Depth=2
	global_load_ubyte v2, v3, s[22:23]
	s_add_i32 s24, s24, -1
	s_waitcnt vmcnt(0)
	v_and_b32_e32 v2, 0xffff, v2
	v_lshlrev_b64 v[8:9], s20, v[2:3]
	s_add_u32 s20, s20, 8
	s_addc_u32 s21, s21, 0
	s_add_u32 s22, s22, 1
	s_addc_u32 s23, s23, 0
	v_or_b32_e32 v26, v8, v26
	s_cmp_lg_u32 s24, 0
	v_or_b32_e32 v27, v9, v27
	s_cbranch_scc1 .LBB10_1231
	s_branch .LBB10_1234
.LBB10_1232:                            ;   in Loop: Header=BB10_1181 Depth=1
	s_branch .LBB10_1235
.LBB10_1233:                            ;   in Loop: Header=BB10_1181 Depth=1
	v_mov_b32_e32 v26, 0
	v_mov_b32_e32 v27, 0
.LBB10_1234:                            ;   in Loop: Header=BB10_1181 Depth=1
	s_cbranch_execnz .LBB10_1236
.LBB10_1235:                            ;   in Loop: Header=BB10_1181 Depth=1
	global_load_dwordx2 v[26:27], v3, s[4:5]
.LBB10_1236:                            ;   in Loop: Header=BB10_1181 Depth=1
	v_readfirstlane_b32 s4, v51
	s_waitcnt vmcnt(0)
	v_mov_b32_e32 v8, 0
	v_mov_b32_e32 v9, 0
	v_cmp_eq_u32_e64 s[4:5], s4, v51
	s_and_saveexec_b64 s[20:21], s[4:5]
	s_cbranch_execz .LBB10_1242
; %bb.1237:                             ;   in Loop: Header=BB10_1181 Depth=1
	global_load_dwordx2 v[30:31], v3, s[44:45] offset:24 glc
	s_waitcnt vmcnt(0)
	buffer_wbinvl1_vol
	global_load_dwordx2 v[8:9], v3, s[44:45] offset:40
	global_load_dwordx2 v[12:13], v3, s[44:45]
	s_waitcnt vmcnt(1)
	v_and_b32_e32 v2, v8, v30
	v_and_b32_e32 v8, v9, v31
	v_mul_lo_u32 v8, v8, 24
	v_mul_hi_u32 v9, v2, 24
	v_mul_lo_u32 v2, v2, 24
	v_add_u32_e32 v9, v9, v8
	s_waitcnt vmcnt(0)
	v_add_co_u32_e32 v8, vcc, v12, v2
	v_addc_co_u32_e32 v9, vcc, v13, v9, vcc
	global_load_dwordx2 v[28:29], v[8:9], off glc
	s_waitcnt vmcnt(0)
	global_atomic_cmpswap_x2 v[8:9], v3, v[28:31], s[44:45] offset:24 glc
	s_waitcnt vmcnt(0)
	buffer_wbinvl1_vol
	v_cmp_ne_u64_e32 vcc, v[8:9], v[30:31]
	s_and_saveexec_b64 s[22:23], vcc
	s_cbranch_execz .LBB10_1241
; %bb.1238:                             ;   in Loop: Header=BB10_1181 Depth=1
	s_mov_b64 s[24:25], 0
.LBB10_1239:                            ;   Parent Loop BB10_1181 Depth=1
                                        ; =>  This Inner Loop Header: Depth=2
	s_sleep 1
	global_load_dwordx2 v[12:13], v3, s[44:45] offset:40
	global_load_dwordx2 v[28:29], v3, s[44:45]
	v_mov_b32_e32 v31, v9
	v_mov_b32_e32 v30, v8
	s_waitcnt vmcnt(1)
	v_and_b32_e32 v2, v12, v30
	s_waitcnt vmcnt(0)
	v_mad_u64_u32 v[8:9], s[26:27], v2, 24, v[28:29]
	v_and_b32_e32 v12, v13, v31
	v_mov_b32_e32 v2, v9
	v_mad_u64_u32 v[12:13], s[26:27], v12, 24, v[2:3]
	v_mov_b32_e32 v9, v12
	global_load_dwordx2 v[28:29], v[8:9], off glc
	s_waitcnt vmcnt(0)
	global_atomic_cmpswap_x2 v[8:9], v3, v[28:31], s[44:45] offset:24 glc
	s_waitcnt vmcnt(0)
	buffer_wbinvl1_vol
	v_cmp_eq_u64_e32 vcc, v[8:9], v[30:31]
	s_or_b64 s[24:25], vcc, s[24:25]
	s_andn2_b64 exec, exec, s[24:25]
	s_cbranch_execnz .LBB10_1239
; %bb.1240:                             ;   in Loop: Header=BB10_1181 Depth=1
	s_or_b64 exec, exec, s[24:25]
.LBB10_1241:                            ;   in Loop: Header=BB10_1181 Depth=1
	s_or_b64 exec, exec, s[22:23]
.LBB10_1242:                            ;   in Loop: Header=BB10_1181 Depth=1
	s_or_b64 exec, exec, s[20:21]
	global_load_dwordx2 v[12:13], v3, s[44:45] offset:40
	global_load_dwordx4 v[28:31], v3, s[44:45]
	v_readfirstlane_b32 s20, v8
	v_readfirstlane_b32 s21, v9
	s_mov_b64 s[22:23], exec
	s_waitcnt vmcnt(1)
	v_readfirstlane_b32 s24, v12
	v_readfirstlane_b32 s25, v13
	s_and_b64 s[24:25], s[20:21], s[24:25]
	s_mul_i32 s15, s25, 24
	s_mul_hi_u32 s26, s24, 24
	s_mul_i32 s27, s24, 24
	s_add_i32 s15, s26, s15
	v_mov_b32_e32 v2, s15
	s_waitcnt vmcnt(0)
	v_add_co_u32_e32 v32, vcc, s27, v28
	v_addc_co_u32_e32 v33, vcc, v29, v2, vcc
	s_and_saveexec_b64 s[26:27], s[4:5]
	s_cbranch_execz .LBB10_1244
; %bb.1243:                             ;   in Loop: Header=BB10_1181 Depth=1
	v_mov_b32_e32 v8, s22
	v_mov_b32_e32 v9, s23
	global_store_dwordx4 v[32:33], v[8:11], off offset:8
.LBB10_1244:                            ;   in Loop: Header=BB10_1181 Depth=1
	s_or_b64 exec, exec, s[26:27]
	s_lshl_b64 s[22:23], s[24:25], 12
	v_mov_b32_e32 v2, s23
	v_add_co_u32_e32 v30, vcc, s22, v30
	v_addc_co_u32_e32 v31, vcc, v31, v2, vcc
	v_cmp_gt_u64_e64 vcc, s[16:17], 56
	v_or_b32_e32 v2, 0, v7
	v_or_b32_e32 v8, v6, v34
	s_lshl_b32 s15, s18, 2
	v_cndmask_b32_e32 v13, v2, v7, vcc
	v_cndmask_b32_e32 v2, v8, v6, vcc
	s_add_i32 s15, s15, 28
	s_and_b32 s15, s15, 0x1e0
	v_and_b32_e32 v2, 0xffffff1f, v2
	v_or_b32_e32 v12, s15, v2
	v_readfirstlane_b32 s22, v30
	v_readfirstlane_b32 s23, v31
	s_nop 4
	global_store_dwordx4 v50, v[12:15], s[22:23]
	global_store_dwordx4 v50, v[16:19], s[22:23] offset:16
	global_store_dwordx4 v50, v[20:23], s[22:23] offset:32
	;; [unrolled: 1-line block ×3, first 2 shown]
	s_and_saveexec_b64 s[22:23], s[4:5]
	s_cbranch_execz .LBB10_1252
; %bb.1245:                             ;   in Loop: Header=BB10_1181 Depth=1
	global_load_dwordx2 v[16:17], v3, s[44:45] offset:32 glc
	global_load_dwordx2 v[6:7], v3, s[44:45] offset:40
	v_mov_b32_e32 v14, s20
	v_mov_b32_e32 v15, s21
	s_waitcnt vmcnt(0)
	v_readfirstlane_b32 s24, v6
	v_readfirstlane_b32 s25, v7
	s_and_b64 s[24:25], s[24:25], s[20:21]
	s_mul_i32 s15, s25, 24
	s_mul_hi_u32 s25, s24, 24
	s_mul_i32 s24, s24, 24
	s_add_i32 s15, s25, s15
	v_mov_b32_e32 v2, s15
	v_add_co_u32_e32 v12, vcc, s24, v28
	v_addc_co_u32_e32 v13, vcc, v29, v2, vcc
	global_store_dwordx2 v[12:13], v[16:17], off
	s_waitcnt vmcnt(0)
	global_atomic_cmpswap_x2 v[8:9], v3, v[14:17], s[44:45] offset:32 glc
	s_waitcnt vmcnt(0)
	v_cmp_ne_u64_e32 vcc, v[8:9], v[16:17]
	s_and_saveexec_b64 s[24:25], vcc
	s_cbranch_execz .LBB10_1248
; %bb.1246:                             ;   in Loop: Header=BB10_1181 Depth=1
	s_mov_b64 s[26:27], 0
.LBB10_1247:                            ;   Parent Loop BB10_1181 Depth=1
                                        ; =>  This Inner Loop Header: Depth=2
	s_sleep 1
	global_store_dwordx2 v[12:13], v[8:9], off
	v_mov_b32_e32 v6, s20
	v_mov_b32_e32 v7, s21
	s_waitcnt vmcnt(0)
	global_atomic_cmpswap_x2 v[6:7], v3, v[6:9], s[44:45] offset:32 glc
	s_waitcnt vmcnt(0)
	v_cmp_eq_u64_e32 vcc, v[6:7], v[8:9]
	v_mov_b32_e32 v9, v7
	s_or_b64 s[26:27], vcc, s[26:27]
	v_mov_b32_e32 v8, v6
	s_andn2_b64 exec, exec, s[26:27]
	s_cbranch_execnz .LBB10_1247
.LBB10_1248:                            ;   in Loop: Header=BB10_1181 Depth=1
	s_or_b64 exec, exec, s[24:25]
	global_load_dwordx2 v[6:7], v3, s[44:45] offset:16
	s_mov_b64 s[26:27], exec
	v_mbcnt_lo_u32_b32 v2, s26, 0
	v_mbcnt_hi_u32_b32 v2, s27, v2
	v_cmp_eq_u32_e32 vcc, 0, v2
	s_and_saveexec_b64 s[24:25], vcc
	s_cbranch_execz .LBB10_1250
; %bb.1249:                             ;   in Loop: Header=BB10_1181 Depth=1
	s_bcnt1_i32_b64 s15, s[26:27]
	v_mov_b32_e32 v2, s15
	s_waitcnt vmcnt(0)
	global_atomic_add_x2 v[6:7], v[2:3], off offset:8
.LBB10_1250:                            ;   in Loop: Header=BB10_1181 Depth=1
	s_or_b64 exec, exec, s[24:25]
	s_waitcnt vmcnt(0)
	global_load_dwordx2 v[8:9], v[6:7], off offset:16
	s_waitcnt vmcnt(0)
	v_cmp_eq_u64_e32 vcc, 0, v[8:9]
	s_cbranch_vccnz .LBB10_1252
; %bb.1251:                             ;   in Loop: Header=BB10_1181 Depth=1
	global_load_dword v2, v[6:7], off offset:24
	s_waitcnt vmcnt(0)
	global_store_dwordx2 v[8:9], v[2:3], off
	v_and_b32_e32 v2, 0xffffff, v2
	v_readfirstlane_b32 m0, v2
	s_sendmsg sendmsg(MSG_INTERRUPT)
.LBB10_1252:                            ;   in Loop: Header=BB10_1181 Depth=1
	s_or_b64 exec, exec, s[22:23]
	v_add_co_u32_e32 v6, vcc, v30, v50
	v_addc_co_u32_e32 v7, vcc, 0, v31, vcc
	s_branch .LBB10_1256
.LBB10_1253:                            ;   in Loop: Header=BB10_1256 Depth=2
	s_or_b64 exec, exec, s[22:23]
	v_readfirstlane_b32 s15, v2
	s_cmp_eq_u32 s15, 0
	s_cbranch_scc1 .LBB10_1255
; %bb.1254:                             ;   in Loop: Header=BB10_1256 Depth=2
	s_sleep 1
	s_cbranch_execnz .LBB10_1256
	s_branch .LBB10_1258
.LBB10_1255:                            ;   in Loop: Header=BB10_1181 Depth=1
	s_branch .LBB10_1258
.LBB10_1256:                            ;   Parent Loop BB10_1181 Depth=1
                                        ; =>  This Inner Loop Header: Depth=2
	v_mov_b32_e32 v2, 1
	s_and_saveexec_b64 s[22:23], s[4:5]
	s_cbranch_execz .LBB10_1253
; %bb.1257:                             ;   in Loop: Header=BB10_1256 Depth=2
	global_load_dword v2, v[32:33], off offset:20 glc
	s_waitcnt vmcnt(0)
	buffer_wbinvl1_vol
	v_and_b32_e32 v2, 1, v2
	s_branch .LBB10_1253
.LBB10_1258:                            ;   in Loop: Header=BB10_1181 Depth=1
	global_load_dwordx4 v[6:9], v[6:7], off
	s_and_saveexec_b64 s[22:23], s[4:5]
	s_cbranch_execz .LBB10_1180
; %bb.1259:                             ;   in Loop: Header=BB10_1181 Depth=1
	global_load_dwordx2 v[8:9], v3, s[44:45] offset:40
	global_load_dwordx2 v[16:17], v3, s[44:45] offset:24 glc
	global_load_dwordx2 v[18:19], v3, s[44:45]
	v_mov_b32_e32 v2, s21
	s_waitcnt vmcnt(2)
	v_add_co_u32_e32 v14, vcc, 1, v8
	v_addc_co_u32_e32 v15, vcc, 0, v9, vcc
	v_add_co_u32_e32 v12, vcc, s20, v14
	v_addc_co_u32_e32 v13, vcc, v15, v2, vcc
	v_cmp_eq_u64_e32 vcc, 0, v[12:13]
	v_cndmask_b32_e32 v13, v13, v15, vcc
	v_cndmask_b32_e32 v12, v12, v14, vcc
	v_and_b32_e32 v2, v13, v9
	v_and_b32_e32 v8, v12, v8
	v_mul_lo_u32 v2, v2, 24
	v_mul_hi_u32 v9, v8, 24
	v_mul_lo_u32 v8, v8, 24
	s_waitcnt vmcnt(1)
	v_mov_b32_e32 v14, v16
	v_mov_b32_e32 v15, v17
	v_add_u32_e32 v2, v9, v2
	s_waitcnt vmcnt(0)
	v_add_co_u32_e32 v8, vcc, v18, v8
	v_addc_co_u32_e32 v9, vcc, v19, v2, vcc
	global_store_dwordx2 v[8:9], v[16:17], off
	s_waitcnt vmcnt(0)
	global_atomic_cmpswap_x2 v[14:15], v3, v[12:15], s[44:45] offset:24 glc
	s_waitcnt vmcnt(0)
	v_cmp_ne_u64_e32 vcc, v[14:15], v[16:17]
	s_and_b64 exec, exec, vcc
	s_cbranch_execz .LBB10_1180
; %bb.1260:                             ;   in Loop: Header=BB10_1181 Depth=1
	s_mov_b64 s[4:5], 0
.LBB10_1261:                            ;   Parent Loop BB10_1181 Depth=1
                                        ; =>  This Inner Loop Header: Depth=2
	s_sleep 1
	global_store_dwordx2 v[8:9], v[14:15], off
	s_waitcnt vmcnt(0)
	global_atomic_cmpswap_x2 v[16:17], v3, v[12:15], s[44:45] offset:24 glc
	s_waitcnt vmcnt(0)
	v_cmp_eq_u64_e32 vcc, v[16:17], v[14:15]
	v_mov_b32_e32 v14, v16
	s_or_b64 s[4:5], vcc, s[4:5]
	v_mov_b32_e32 v15, v17
	s_andn2_b64 exec, exec, s[4:5]
	s_cbranch_execnz .LBB10_1261
	s_branch .LBB10_1180
.LBB10_1262:
	s_branch .LBB10_1290
.LBB10_1263:
                                        ; implicit-def: $vgpr6_vgpr7
	s_cbranch_execz .LBB10_1290
; %bb.1264:
	v_readfirstlane_b32 s4, v51
	v_mov_b32_e32 v10, 0
	v_mov_b32_e32 v11, 0
	v_cmp_eq_u32_e64 s[4:5], s4, v51
	s_and_saveexec_b64 s[10:11], s[4:5]
	s_cbranch_execz .LBB10_1270
; %bb.1265:
	v_mov_b32_e32 v2, 0
	global_load_dwordx2 v[8:9], v2, s[44:45] offset:24 glc
	s_waitcnt vmcnt(0)
	buffer_wbinvl1_vol
	global_load_dwordx2 v[6:7], v2, s[44:45] offset:40
	global_load_dwordx2 v[10:11], v2, s[44:45]
	s_waitcnt vmcnt(1)
	v_and_b32_e32 v3, v6, v8
	v_and_b32_e32 v6, v7, v9
	v_mul_lo_u32 v6, v6, 24
	v_mul_hi_u32 v7, v3, 24
	v_mul_lo_u32 v3, v3, 24
	v_add_u32_e32 v7, v7, v6
	s_waitcnt vmcnt(0)
	v_add_co_u32_e32 v6, vcc, v10, v3
	v_addc_co_u32_e32 v7, vcc, v11, v7, vcc
	global_load_dwordx2 v[6:7], v[6:7], off glc
	s_waitcnt vmcnt(0)
	global_atomic_cmpswap_x2 v[10:11], v2, v[6:9], s[44:45] offset:24 glc
	s_waitcnt vmcnt(0)
	buffer_wbinvl1_vol
	v_cmp_ne_u64_e32 vcc, v[10:11], v[8:9]
	s_and_saveexec_b64 s[16:17], vcc
	s_cbranch_execz .LBB10_1269
; %bb.1266:
	s_mov_b64 s[18:19], 0
.LBB10_1267:                            ; =>This Inner Loop Header: Depth=1
	s_sleep 1
	global_load_dwordx2 v[6:7], v2, s[44:45] offset:40
	global_load_dwordx2 v[12:13], v2, s[44:45]
	v_mov_b32_e32 v8, v10
	v_mov_b32_e32 v9, v11
	s_waitcnt vmcnt(1)
	v_and_b32_e32 v3, v6, v8
	s_waitcnt vmcnt(0)
	v_mad_u64_u32 v[10:11], s[20:21], v3, 24, v[12:13]
	v_and_b32_e32 v6, v7, v9
	v_mov_b32_e32 v3, v11
	v_mad_u64_u32 v[6:7], s[20:21], v6, 24, v[3:4]
	v_mov_b32_e32 v11, v6
	global_load_dwordx2 v[6:7], v[10:11], off glc
	s_waitcnt vmcnt(0)
	global_atomic_cmpswap_x2 v[10:11], v2, v[6:9], s[44:45] offset:24 glc
	s_waitcnt vmcnt(0)
	buffer_wbinvl1_vol
	v_cmp_eq_u64_e32 vcc, v[10:11], v[8:9]
	s_or_b64 s[18:19], vcc, s[18:19]
	s_andn2_b64 exec, exec, s[18:19]
	s_cbranch_execnz .LBB10_1267
; %bb.1268:
	s_or_b64 exec, exec, s[18:19]
.LBB10_1269:
	s_or_b64 exec, exec, s[16:17]
.LBB10_1270:
	s_or_b64 exec, exec, s[10:11]
	v_mov_b32_e32 v2, 0
	global_load_dwordx2 v[12:13], v2, s[44:45] offset:40
	global_load_dwordx4 v[6:9], v2, s[44:45]
	v_readfirstlane_b32 s10, v10
	v_readfirstlane_b32 s11, v11
	s_mov_b64 s[16:17], exec
	s_waitcnt vmcnt(1)
	v_readfirstlane_b32 s18, v12
	v_readfirstlane_b32 s19, v13
	s_and_b64 s[18:19], s[10:11], s[18:19]
	s_mul_i32 s15, s19, 24
	s_mul_hi_u32 s20, s18, 24
	s_mul_i32 s21, s18, 24
	s_add_i32 s15, s20, s15
	v_mov_b32_e32 v3, s15
	s_waitcnt vmcnt(0)
	v_add_co_u32_e32 v10, vcc, s21, v6
	v_addc_co_u32_e32 v11, vcc, v7, v3, vcc
	s_and_saveexec_b64 s[20:21], s[4:5]
	s_cbranch_execz .LBB10_1272
; %bb.1271:
	v_mov_b32_e32 v12, s16
	v_mov_b32_e32 v13, s17
	;; [unrolled: 1-line block ×4, first 2 shown]
	global_store_dwordx4 v[10:11], v[12:15], off offset:8
.LBB10_1272:
	s_or_b64 exec, exec, s[20:21]
	s_lshl_b64 s[16:17], s[18:19], 12
	v_mov_b32_e32 v3, s17
	v_add_co_u32_e32 v12, vcc, s16, v8
	v_addc_co_u32_e32 v13, vcc, v9, v3, vcc
	s_movk_i32 s15, 0xff1f
	v_and_or_b32 v0, v0, s15, 32
	s_mov_b32 s16, 0
	v_mov_b32_e32 v3, v2
	v_readfirstlane_b32 s20, v12
	v_readfirstlane_b32 s21, v13
	v_add_co_u32_e32 v8, vcc, v12, v50
	s_mov_b32 s17, s16
	s_mov_b32 s18, s16
	;; [unrolled: 1-line block ×3, first 2 shown]
	s_nop 0
	global_store_dwordx4 v50, v[0:3], s[20:21]
	v_addc_co_u32_e32 v9, vcc, 0, v13, vcc
	v_mov_b32_e32 v0, s16
	v_mov_b32_e32 v1, s17
	;; [unrolled: 1-line block ×4, first 2 shown]
	global_store_dwordx4 v50, v[0:3], s[20:21] offset:16
	global_store_dwordx4 v50, v[0:3], s[20:21] offset:32
	global_store_dwordx4 v50, v[0:3], s[20:21] offset:48
	s_and_saveexec_b64 s[16:17], s[4:5]
	s_cbranch_execz .LBB10_1280
; %bb.1273:
	v_mov_b32_e32 v12, 0
	global_load_dwordx2 v[15:16], v12, s[44:45] offset:32 glc
	global_load_dwordx2 v[0:1], v12, s[44:45] offset:40
	v_mov_b32_e32 v13, s10
	v_mov_b32_e32 v14, s11
	s_waitcnt vmcnt(0)
	v_readfirstlane_b32 s18, v0
	v_readfirstlane_b32 s19, v1
	s_and_b64 s[18:19], s[18:19], s[10:11]
	s_mul_i32 s15, s19, 24
	s_mul_hi_u32 s19, s18, 24
	s_mul_i32 s18, s18, 24
	s_add_i32 s15, s19, s15
	v_mov_b32_e32 v0, s15
	v_add_co_u32_e32 v6, vcc, s18, v6
	v_addc_co_u32_e32 v7, vcc, v7, v0, vcc
	global_store_dwordx2 v[6:7], v[15:16], off
	s_waitcnt vmcnt(0)
	global_atomic_cmpswap_x2 v[2:3], v12, v[13:16], s[44:45] offset:32 glc
	s_waitcnt vmcnt(0)
	v_cmp_ne_u64_e32 vcc, v[2:3], v[15:16]
	s_and_saveexec_b64 s[18:19], vcc
	s_cbranch_execz .LBB10_1276
; %bb.1274:
	s_mov_b64 s[20:21], 0
.LBB10_1275:                            ; =>This Inner Loop Header: Depth=1
	s_sleep 1
	global_store_dwordx2 v[6:7], v[2:3], off
	v_mov_b32_e32 v0, s10
	v_mov_b32_e32 v1, s11
	s_waitcnt vmcnt(0)
	global_atomic_cmpswap_x2 v[0:1], v12, v[0:3], s[44:45] offset:32 glc
	s_waitcnt vmcnt(0)
	v_cmp_eq_u64_e32 vcc, v[0:1], v[2:3]
	v_mov_b32_e32 v3, v1
	s_or_b64 s[20:21], vcc, s[20:21]
	v_mov_b32_e32 v2, v0
	s_andn2_b64 exec, exec, s[20:21]
	s_cbranch_execnz .LBB10_1275
.LBB10_1276:
	s_or_b64 exec, exec, s[18:19]
	v_mov_b32_e32 v3, 0
	global_load_dwordx2 v[0:1], v3, s[44:45] offset:16
	s_mov_b64 s[18:19], exec
	v_mbcnt_lo_u32_b32 v2, s18, 0
	v_mbcnt_hi_u32_b32 v2, s19, v2
	v_cmp_eq_u32_e32 vcc, 0, v2
	s_and_saveexec_b64 s[20:21], vcc
	s_cbranch_execz .LBB10_1278
; %bb.1277:
	s_bcnt1_i32_b64 s15, s[18:19]
	v_mov_b32_e32 v2, s15
	s_waitcnt vmcnt(0)
	global_atomic_add_x2 v[0:1], v[2:3], off offset:8
.LBB10_1278:
	s_or_b64 exec, exec, s[20:21]
	s_waitcnt vmcnt(0)
	global_load_dwordx2 v[2:3], v[0:1], off offset:16
	s_waitcnt vmcnt(0)
	v_cmp_eq_u64_e32 vcc, 0, v[2:3]
	s_cbranch_vccnz .LBB10_1280
; %bb.1279:
	global_load_dword v0, v[0:1], off offset:24
	v_mov_b32_e32 v1, 0
	s_waitcnt vmcnt(0)
	global_store_dwordx2 v[2:3], v[0:1], off
	v_and_b32_e32 v0, 0xffffff, v0
	v_readfirstlane_b32 m0, v0
	s_sendmsg sendmsg(MSG_INTERRUPT)
.LBB10_1280:
	s_or_b64 exec, exec, s[16:17]
	s_branch .LBB10_1284
.LBB10_1281:                            ;   in Loop: Header=BB10_1284 Depth=1
	s_or_b64 exec, exec, s[16:17]
	v_readfirstlane_b32 s15, v0
	s_cmp_eq_u32 s15, 0
	s_cbranch_scc1 .LBB10_1283
; %bb.1282:                             ;   in Loop: Header=BB10_1284 Depth=1
	s_sleep 1
	s_cbranch_execnz .LBB10_1284
	s_branch .LBB10_1286
.LBB10_1283:
	s_branch .LBB10_1286
.LBB10_1284:                            ; =>This Inner Loop Header: Depth=1
	v_mov_b32_e32 v0, 1
	s_and_saveexec_b64 s[16:17], s[4:5]
	s_cbranch_execz .LBB10_1281
; %bb.1285:                             ;   in Loop: Header=BB10_1284 Depth=1
	global_load_dword v0, v[10:11], off offset:20 glc
	s_waitcnt vmcnt(0)
	buffer_wbinvl1_vol
	v_and_b32_e32 v0, 1, v0
	s_branch .LBB10_1281
.LBB10_1286:
	global_load_dwordx2 v[6:7], v[8:9], off
	s_and_saveexec_b64 s[16:17], s[4:5]
	s_cbranch_execz .LBB10_1289
; %bb.1287:
	v_mov_b32_e32 v10, 0
	global_load_dwordx2 v[2:3], v10, s[44:45] offset:40
	global_load_dwordx2 v[11:12], v10, s[44:45] offset:24 glc
	global_load_dwordx2 v[8:9], v10, s[44:45]
	v_mov_b32_e32 v1, s11
	s_mov_b64 s[4:5], 0
	s_waitcnt vmcnt(2)
	v_add_co_u32_e32 v13, vcc, 1, v2
	v_addc_co_u32_e32 v14, vcc, 0, v3, vcc
	v_add_co_u32_e32 v0, vcc, s10, v13
	v_addc_co_u32_e32 v1, vcc, v14, v1, vcc
	v_cmp_eq_u64_e32 vcc, 0, v[0:1]
	v_cndmask_b32_e32 v1, v1, v14, vcc
	v_cndmask_b32_e32 v0, v0, v13, vcc
	v_and_b32_e32 v3, v1, v3
	v_and_b32_e32 v2, v0, v2
	v_mul_lo_u32 v3, v3, 24
	v_mul_hi_u32 v13, v2, 24
	v_mul_lo_u32 v14, v2, 24
	s_waitcnt vmcnt(1)
	v_mov_b32_e32 v2, v11
	v_add_u32_e32 v3, v13, v3
	s_waitcnt vmcnt(0)
	v_add_co_u32_e32 v8, vcc, v8, v14
	v_addc_co_u32_e32 v9, vcc, v9, v3, vcc
	global_store_dwordx2 v[8:9], v[11:12], off
	v_mov_b32_e32 v3, v12
	s_waitcnt vmcnt(0)
	global_atomic_cmpswap_x2 v[2:3], v10, v[0:3], s[44:45] offset:24 glc
	s_waitcnt vmcnt(0)
	v_cmp_ne_u64_e32 vcc, v[2:3], v[11:12]
	s_and_b64 exec, exec, vcc
	s_cbranch_execz .LBB10_1289
.LBB10_1288:                            ; =>This Inner Loop Header: Depth=1
	s_sleep 1
	global_store_dwordx2 v[8:9], v[2:3], off
	s_waitcnt vmcnt(0)
	global_atomic_cmpswap_x2 v[11:12], v10, v[0:3], s[44:45] offset:24 glc
	s_waitcnt vmcnt(0)
	v_cmp_eq_u64_e32 vcc, v[11:12], v[2:3]
	v_mov_b32_e32 v2, v11
	s_or_b64 s[4:5], vcc, s[4:5]
	v_mov_b32_e32 v3, v12
	s_andn2_b64 exec, exec, s[4:5]
	s_cbranch_execnz .LBB10_1288
.LBB10_1289:
	s_or_b64 exec, exec, s[16:17]
.LBB10_1290:
	v_readfirstlane_b32 s4, v51
	v_mov_b32_e32 v10, 0
	v_mov_b32_e32 v11, 0
	v_cmp_eq_u32_e64 s[4:5], s4, v51
	s_and_saveexec_b64 s[10:11], s[4:5]
	s_cbranch_execz .LBB10_1296
; %bb.1291:
	s_waitcnt vmcnt(0)
	v_mov_b32_e32 v0, 0
	global_load_dwordx2 v[12:13], v0, s[44:45] offset:24 glc
	s_waitcnt vmcnt(0)
	buffer_wbinvl1_vol
	global_load_dwordx2 v[1:2], v0, s[44:45] offset:40
	global_load_dwordx2 v[8:9], v0, s[44:45]
	s_waitcnt vmcnt(1)
	v_and_b32_e32 v1, v1, v12
	v_and_b32_e32 v2, v2, v13
	v_mul_lo_u32 v2, v2, 24
	v_mul_hi_u32 v3, v1, 24
	v_mul_lo_u32 v1, v1, 24
	v_add_u32_e32 v2, v3, v2
	s_waitcnt vmcnt(0)
	v_add_co_u32_e32 v1, vcc, v8, v1
	v_addc_co_u32_e32 v2, vcc, v9, v2, vcc
	global_load_dwordx2 v[10:11], v[1:2], off glc
	s_waitcnt vmcnt(0)
	global_atomic_cmpswap_x2 v[10:11], v0, v[10:13], s[44:45] offset:24 glc
	s_waitcnt vmcnt(0)
	buffer_wbinvl1_vol
	v_cmp_ne_u64_e32 vcc, v[10:11], v[12:13]
	s_and_saveexec_b64 s[16:17], vcc
	s_cbranch_execz .LBB10_1295
; %bb.1292:
	s_mov_b64 s[18:19], 0
.LBB10_1293:                            ; =>This Inner Loop Header: Depth=1
	s_sleep 1
	global_load_dwordx2 v[1:2], v0, s[44:45] offset:40
	global_load_dwordx2 v[8:9], v0, s[44:45]
	v_mov_b32_e32 v13, v11
	v_mov_b32_e32 v12, v10
	s_waitcnt vmcnt(1)
	v_and_b32_e32 v1, v1, v12
	s_waitcnt vmcnt(0)
	v_mad_u64_u32 v[8:9], s[20:21], v1, 24, v[8:9]
	v_and_b32_e32 v2, v2, v13
	v_mov_b32_e32 v1, v9
	v_mad_u64_u32 v[1:2], s[20:21], v2, 24, v[1:2]
	v_mov_b32_e32 v9, v1
	global_load_dwordx2 v[10:11], v[8:9], off glc
	s_waitcnt vmcnt(0)
	global_atomic_cmpswap_x2 v[10:11], v0, v[10:13], s[44:45] offset:24 glc
	s_waitcnt vmcnt(0)
	buffer_wbinvl1_vol
	v_cmp_eq_u64_e32 vcc, v[10:11], v[12:13]
	s_or_b64 s[18:19], vcc, s[18:19]
	s_andn2_b64 exec, exec, s[18:19]
	s_cbranch_execnz .LBB10_1293
; %bb.1294:
	s_or_b64 exec, exec, s[18:19]
.LBB10_1295:
	s_or_b64 exec, exec, s[16:17]
.LBB10_1296:
	s_or_b64 exec, exec, s[10:11]
	s_waitcnt vmcnt(0)
	v_mov_b32_e32 v9, 0
	global_load_dwordx2 v[12:13], v9, s[44:45] offset:40
	global_load_dwordx4 v[0:3], v9, s[44:45]
	v_readfirstlane_b32 s10, v10
	v_readfirstlane_b32 s11, v11
	s_mov_b64 s[16:17], exec
	s_waitcnt vmcnt(1)
	v_readfirstlane_b32 s18, v12
	v_readfirstlane_b32 s19, v13
	s_and_b64 s[18:19], s[10:11], s[18:19]
	s_mul_i32 s15, s19, 24
	s_mul_hi_u32 s20, s18, 24
	s_mul_i32 s21, s18, 24
	s_add_i32 s15, s20, s15
	v_mov_b32_e32 v8, s15
	s_waitcnt vmcnt(0)
	v_add_co_u32_e32 v10, vcc, s21, v0
	v_addc_co_u32_e32 v11, vcc, v1, v8, vcc
	s_and_saveexec_b64 s[20:21], s[4:5]
	s_cbranch_execz .LBB10_1298
; %bb.1297:
	v_mov_b32_e32 v12, s16
	v_mov_b32_e32 v13, s17
	;; [unrolled: 1-line block ×4, first 2 shown]
	global_store_dwordx4 v[10:11], v[12:15], off offset:8
.LBB10_1298:
	s_or_b64 exec, exec, s[20:21]
	s_lshl_b64 s[16:17], s[18:19], 12
	v_mov_b32_e32 v8, s17
	v_add_co_u32_e32 v2, vcc, s16, v2
	v_addc_co_u32_e32 v3, vcc, v3, v8, vcc
	s_movk_i32 s15, 0xff1d
	v_and_or_b32 v6, v6, s15, 34
	s_mov_b32 s16, 0
	v_mov_b32_e32 v8, 10
	v_readfirstlane_b32 s20, v2
	v_readfirstlane_b32 s21, v3
	s_mov_b32 s17, s16
	s_mov_b32 s18, s16
	;; [unrolled: 1-line block ×3, first 2 shown]
	s_nop 1
	global_store_dwordx4 v50, v[6:9], s[20:21]
	s_nop 0
	v_mov_b32_e32 v6, s16
	v_mov_b32_e32 v7, s17
	;; [unrolled: 1-line block ×4, first 2 shown]
	global_store_dwordx4 v50, v[6:9], s[20:21] offset:16
	global_store_dwordx4 v50, v[6:9], s[20:21] offset:32
	global_store_dwordx4 v50, v[6:9], s[20:21] offset:48
	s_and_saveexec_b64 s[16:17], s[4:5]
	s_cbranch_execz .LBB10_1306
; %bb.1299:
	v_mov_b32_e32 v8, 0
	global_load_dwordx2 v[14:15], v8, s[44:45] offset:32 glc
	global_load_dwordx2 v[2:3], v8, s[44:45] offset:40
	v_mov_b32_e32 v12, s10
	v_mov_b32_e32 v13, s11
	s_waitcnt vmcnt(0)
	v_readfirstlane_b32 s18, v2
	v_readfirstlane_b32 s19, v3
	s_and_b64 s[18:19], s[18:19], s[10:11]
	s_mul_i32 s15, s19, 24
	s_mul_hi_u32 s19, s18, 24
	s_mul_i32 s18, s18, 24
	s_add_i32 s15, s19, s15
	v_mov_b32_e32 v2, s15
	v_add_co_u32_e32 v6, vcc, s18, v0
	v_addc_co_u32_e32 v7, vcc, v1, v2, vcc
	global_store_dwordx2 v[6:7], v[14:15], off
	s_waitcnt vmcnt(0)
	global_atomic_cmpswap_x2 v[2:3], v8, v[12:15], s[44:45] offset:32 glc
	s_waitcnt vmcnt(0)
	v_cmp_ne_u64_e32 vcc, v[2:3], v[14:15]
	s_and_saveexec_b64 s[18:19], vcc
	s_cbranch_execz .LBB10_1302
; %bb.1300:
	s_mov_b64 s[20:21], 0
.LBB10_1301:                            ; =>This Inner Loop Header: Depth=1
	s_sleep 1
	global_store_dwordx2 v[6:7], v[2:3], off
	v_mov_b32_e32 v0, s10
	v_mov_b32_e32 v1, s11
	s_waitcnt vmcnt(0)
	global_atomic_cmpswap_x2 v[0:1], v8, v[0:3], s[44:45] offset:32 glc
	s_waitcnt vmcnt(0)
	v_cmp_eq_u64_e32 vcc, v[0:1], v[2:3]
	v_mov_b32_e32 v3, v1
	s_or_b64 s[20:21], vcc, s[20:21]
	v_mov_b32_e32 v2, v0
	s_andn2_b64 exec, exec, s[20:21]
	s_cbranch_execnz .LBB10_1301
.LBB10_1302:
	s_or_b64 exec, exec, s[18:19]
	v_mov_b32_e32 v3, 0
	global_load_dwordx2 v[0:1], v3, s[44:45] offset:16
	s_mov_b64 s[18:19], exec
	v_mbcnt_lo_u32_b32 v2, s18, 0
	v_mbcnt_hi_u32_b32 v2, s19, v2
	v_cmp_eq_u32_e32 vcc, 0, v2
	s_and_saveexec_b64 s[20:21], vcc
	s_cbranch_execz .LBB10_1304
; %bb.1303:
	s_bcnt1_i32_b64 s15, s[18:19]
	v_mov_b32_e32 v2, s15
	s_waitcnt vmcnt(0)
	global_atomic_add_x2 v[0:1], v[2:3], off offset:8
.LBB10_1304:
	s_or_b64 exec, exec, s[20:21]
	s_waitcnt vmcnt(0)
	global_load_dwordx2 v[2:3], v[0:1], off offset:16
	s_waitcnt vmcnt(0)
	v_cmp_eq_u64_e32 vcc, 0, v[2:3]
	s_cbranch_vccnz .LBB10_1306
; %bb.1305:
	global_load_dword v0, v[0:1], off offset:24
	v_mov_b32_e32 v1, 0
	s_waitcnt vmcnt(0)
	global_store_dwordx2 v[2:3], v[0:1], off
	v_and_b32_e32 v0, 0xffffff, v0
	v_readfirstlane_b32 m0, v0
	s_sendmsg sendmsg(MSG_INTERRUPT)
.LBB10_1306:
	s_or_b64 exec, exec, s[16:17]
	s_branch .LBB10_1310
.LBB10_1307:                            ;   in Loop: Header=BB10_1310 Depth=1
	s_or_b64 exec, exec, s[16:17]
	v_readfirstlane_b32 s15, v0
	s_cmp_eq_u32 s15, 0
	s_cbranch_scc1 .LBB10_1309
; %bb.1308:                             ;   in Loop: Header=BB10_1310 Depth=1
	s_sleep 1
	s_cbranch_execnz .LBB10_1310
	s_branch .LBB10_1312
.LBB10_1309:
	s_branch .LBB10_1312
.LBB10_1310:                            ; =>This Inner Loop Header: Depth=1
	v_mov_b32_e32 v0, 1
	s_and_saveexec_b64 s[16:17], s[4:5]
	s_cbranch_execz .LBB10_1307
; %bb.1311:                             ;   in Loop: Header=BB10_1310 Depth=1
	global_load_dword v0, v[10:11], off offset:20 glc
	s_waitcnt vmcnt(0)
	buffer_wbinvl1_vol
	v_and_b32_e32 v0, 1, v0
	s_branch .LBB10_1307
.LBB10_1312:
	s_and_saveexec_b64 s[16:17], s[4:5]
	s_cbranch_execz .LBB10_1315
; %bb.1313:
	v_mov_b32_e32 v8, 0
	global_load_dwordx2 v[2:3], v8, s[44:45] offset:40
	global_load_dwordx2 v[9:10], v8, s[44:45] offset:24 glc
	global_load_dwordx2 v[6:7], v8, s[44:45]
	v_mov_b32_e32 v1, s11
	s_mov_b64 s[4:5], 0
	s_waitcnt vmcnt(2)
	v_add_co_u32_e32 v11, vcc, 1, v2
	v_addc_co_u32_e32 v12, vcc, 0, v3, vcc
	v_add_co_u32_e32 v0, vcc, s10, v11
	v_addc_co_u32_e32 v1, vcc, v12, v1, vcc
	v_cmp_eq_u64_e32 vcc, 0, v[0:1]
	v_cndmask_b32_e32 v1, v1, v12, vcc
	v_cndmask_b32_e32 v0, v0, v11, vcc
	v_and_b32_e32 v3, v1, v3
	v_and_b32_e32 v2, v0, v2
	v_mul_lo_u32 v3, v3, 24
	v_mul_hi_u32 v11, v2, 24
	v_mul_lo_u32 v12, v2, 24
	s_waitcnt vmcnt(1)
	v_mov_b32_e32 v2, v9
	v_add_u32_e32 v3, v11, v3
	s_waitcnt vmcnt(0)
	v_add_co_u32_e32 v6, vcc, v6, v12
	v_addc_co_u32_e32 v7, vcc, v7, v3, vcc
	global_store_dwordx2 v[6:7], v[9:10], off
	v_mov_b32_e32 v3, v10
	s_waitcnt vmcnt(0)
	global_atomic_cmpswap_x2 v[2:3], v8, v[0:3], s[44:45] offset:24 glc
	s_waitcnt vmcnt(0)
	v_cmp_ne_u64_e32 vcc, v[2:3], v[9:10]
	s_and_b64 exec, exec, vcc
	s_cbranch_execz .LBB10_1315
.LBB10_1314:                            ; =>This Inner Loop Header: Depth=1
	s_sleep 1
	global_store_dwordx2 v[6:7], v[2:3], off
	s_waitcnt vmcnt(0)
	global_atomic_cmpswap_x2 v[9:10], v8, v[0:3], s[44:45] offset:24 glc
	s_waitcnt vmcnt(0)
	v_cmp_eq_u64_e32 vcc, v[9:10], v[2:3]
	v_mov_b32_e32 v2, v9
	s_or_b64 s[4:5], vcc, s[4:5]
	v_mov_b32_e32 v3, v10
	s_andn2_b64 exec, exec, s[4:5]
	s_cbranch_execnz .LBB10_1314
.LBB10_1315:
	s_or_b64 exec, exec, s[16:17]
	v_readfirstlane_b32 s4, v51
	v_mov_b32_e32 v8, 0
	v_mov_b32_e32 v9, 0
	v_cmp_eq_u32_e64 s[4:5], s4, v51
	s_and_saveexec_b64 s[10:11], s[4:5]
	s_cbranch_execz .LBB10_1321
; %bb.1316:
	v_mov_b32_e32 v0, 0
	global_load_dwordx2 v[10:11], v0, s[44:45] offset:24 glc
	s_waitcnt vmcnt(0)
	buffer_wbinvl1_vol
	global_load_dwordx2 v[1:2], v0, s[44:45] offset:40
	global_load_dwordx2 v[6:7], v0, s[44:45]
	s_waitcnt vmcnt(1)
	v_and_b32_e32 v1, v1, v10
	v_and_b32_e32 v2, v2, v11
	v_mul_lo_u32 v2, v2, 24
	v_mul_hi_u32 v3, v1, 24
	v_mul_lo_u32 v1, v1, 24
	v_add_u32_e32 v2, v3, v2
	s_waitcnt vmcnt(0)
	v_add_co_u32_e32 v1, vcc, v6, v1
	v_addc_co_u32_e32 v2, vcc, v7, v2, vcc
	global_load_dwordx2 v[8:9], v[1:2], off glc
	s_waitcnt vmcnt(0)
	global_atomic_cmpswap_x2 v[8:9], v0, v[8:11], s[44:45] offset:24 glc
	s_waitcnt vmcnt(0)
	buffer_wbinvl1_vol
	v_cmp_ne_u64_e32 vcc, v[8:9], v[10:11]
	s_and_saveexec_b64 s[16:17], vcc
	s_cbranch_execz .LBB10_1320
; %bb.1317:
	s_mov_b64 s[18:19], 0
.LBB10_1318:                            ; =>This Inner Loop Header: Depth=1
	s_sleep 1
	global_load_dwordx2 v[1:2], v0, s[44:45] offset:40
	global_load_dwordx2 v[6:7], v0, s[44:45]
	v_mov_b32_e32 v11, v9
	v_mov_b32_e32 v10, v8
	s_waitcnt vmcnt(1)
	v_and_b32_e32 v1, v1, v10
	s_waitcnt vmcnt(0)
	v_mad_u64_u32 v[6:7], s[20:21], v1, 24, v[6:7]
	v_and_b32_e32 v2, v2, v11
	v_mov_b32_e32 v1, v7
	v_mad_u64_u32 v[1:2], s[20:21], v2, 24, v[1:2]
	v_mov_b32_e32 v7, v1
	global_load_dwordx2 v[8:9], v[6:7], off glc
	s_waitcnt vmcnt(0)
	global_atomic_cmpswap_x2 v[8:9], v0, v[8:11], s[44:45] offset:24 glc
	s_waitcnt vmcnt(0)
	buffer_wbinvl1_vol
	v_cmp_eq_u64_e32 vcc, v[8:9], v[10:11]
	s_or_b64 s[18:19], vcc, s[18:19]
	s_andn2_b64 exec, exec, s[18:19]
	s_cbranch_execnz .LBB10_1318
; %bb.1319:
	s_or_b64 exec, exec, s[18:19]
.LBB10_1320:
	s_or_b64 exec, exec, s[16:17]
.LBB10_1321:
	s_or_b64 exec, exec, s[10:11]
	v_mov_b32_e32 v7, 0
	global_load_dwordx2 v[10:11], v7, s[44:45] offset:40
	global_load_dwordx4 v[0:3], v7, s[44:45]
	v_readfirstlane_b32 s10, v8
	v_readfirstlane_b32 s11, v9
	s_mov_b64 s[16:17], exec
	s_waitcnt vmcnt(1)
	v_readfirstlane_b32 s18, v10
	v_readfirstlane_b32 s19, v11
	s_and_b64 s[18:19], s[10:11], s[18:19]
	s_mul_i32 s15, s19, 24
	s_mul_hi_u32 s20, s18, 24
	s_mul_i32 s21, s18, 24
	s_add_i32 s15, s20, s15
	v_mov_b32_e32 v6, s15
	s_waitcnt vmcnt(0)
	v_add_co_u32_e32 v10, vcc, s21, v0
	v_addc_co_u32_e32 v11, vcc, v1, v6, vcc
	s_and_saveexec_b64 s[20:21], s[4:5]
	s_cbranch_execz .LBB10_1323
; %bb.1322:
	v_mov_b32_e32 v12, s16
	v_mov_b32_e32 v13, s17
	;; [unrolled: 1-line block ×4, first 2 shown]
	global_store_dwordx4 v[10:11], v[12:15], off offset:8
.LBB10_1323:
	s_or_b64 exec, exec, s[20:21]
	s_lshl_b64 s[16:17], s[18:19], 12
	v_mov_b32_e32 v6, s17
	v_add_co_u32_e32 v2, vcc, s16, v2
	v_addc_co_u32_e32 v3, vcc, v3, v6, vcc
	s_mov_b32 s16, 0
	v_mov_b32_e32 v6, 33
	v_mov_b32_e32 v8, v7
	;; [unrolled: 1-line block ×3, first 2 shown]
	v_readfirstlane_b32 s20, v2
	v_readfirstlane_b32 s21, v3
	v_add_co_u32_e32 v12, vcc, v2, v50
	s_mov_b32 s17, s16
	s_mov_b32 s18, s16
	;; [unrolled: 1-line block ×3, first 2 shown]
	s_nop 0
	global_store_dwordx4 v50, v[6:9], s[20:21]
	v_addc_co_u32_e32 v13, vcc, 0, v3, vcc
	v_mov_b32_e32 v6, s16
	v_mov_b32_e32 v7, s17
	;; [unrolled: 1-line block ×4, first 2 shown]
	global_store_dwordx4 v50, v[6:9], s[20:21] offset:16
	global_store_dwordx4 v50, v[6:9], s[20:21] offset:32
	;; [unrolled: 1-line block ×3, first 2 shown]
	s_and_saveexec_b64 s[16:17], s[4:5]
	s_cbranch_execz .LBB10_1331
; %bb.1324:
	v_mov_b32_e32 v8, 0
	global_load_dwordx2 v[16:17], v8, s[44:45] offset:32 glc
	global_load_dwordx2 v[2:3], v8, s[44:45] offset:40
	v_mov_b32_e32 v14, s10
	v_mov_b32_e32 v15, s11
	s_waitcnt vmcnt(0)
	v_readfirstlane_b32 s18, v2
	v_readfirstlane_b32 s19, v3
	s_and_b64 s[18:19], s[18:19], s[10:11]
	s_mul_i32 s15, s19, 24
	s_mul_hi_u32 s19, s18, 24
	s_mul_i32 s18, s18, 24
	s_add_i32 s15, s19, s15
	v_mov_b32_e32 v2, s15
	v_add_co_u32_e32 v6, vcc, s18, v0
	v_addc_co_u32_e32 v7, vcc, v1, v2, vcc
	global_store_dwordx2 v[6:7], v[16:17], off
	s_waitcnt vmcnt(0)
	global_atomic_cmpswap_x2 v[2:3], v8, v[14:17], s[44:45] offset:32 glc
	s_waitcnt vmcnt(0)
	v_cmp_ne_u64_e32 vcc, v[2:3], v[16:17]
	s_and_saveexec_b64 s[18:19], vcc
	s_cbranch_execz .LBB10_1327
; %bb.1325:
	s_mov_b64 s[20:21], 0
.LBB10_1326:                            ; =>This Inner Loop Header: Depth=1
	s_sleep 1
	global_store_dwordx2 v[6:7], v[2:3], off
	v_mov_b32_e32 v0, s10
	v_mov_b32_e32 v1, s11
	s_waitcnt vmcnt(0)
	global_atomic_cmpswap_x2 v[0:1], v8, v[0:3], s[44:45] offset:32 glc
	s_waitcnt vmcnt(0)
	v_cmp_eq_u64_e32 vcc, v[0:1], v[2:3]
	v_mov_b32_e32 v3, v1
	s_or_b64 s[20:21], vcc, s[20:21]
	v_mov_b32_e32 v2, v0
	s_andn2_b64 exec, exec, s[20:21]
	s_cbranch_execnz .LBB10_1326
.LBB10_1327:
	s_or_b64 exec, exec, s[18:19]
	v_mov_b32_e32 v3, 0
	global_load_dwordx2 v[0:1], v3, s[44:45] offset:16
	s_mov_b64 s[18:19], exec
	v_mbcnt_lo_u32_b32 v2, s18, 0
	v_mbcnt_hi_u32_b32 v2, s19, v2
	v_cmp_eq_u32_e32 vcc, 0, v2
	s_and_saveexec_b64 s[20:21], vcc
	s_cbranch_execz .LBB10_1329
; %bb.1328:
	s_bcnt1_i32_b64 s15, s[18:19]
	v_mov_b32_e32 v2, s15
	s_waitcnt vmcnt(0)
	global_atomic_add_x2 v[0:1], v[2:3], off offset:8
.LBB10_1329:
	s_or_b64 exec, exec, s[20:21]
	s_waitcnt vmcnt(0)
	global_load_dwordx2 v[2:3], v[0:1], off offset:16
	s_waitcnt vmcnt(0)
	v_cmp_eq_u64_e32 vcc, 0, v[2:3]
	s_cbranch_vccnz .LBB10_1331
; %bb.1330:
	global_load_dword v0, v[0:1], off offset:24
	v_mov_b32_e32 v1, 0
	s_waitcnt vmcnt(0)
	global_store_dwordx2 v[2:3], v[0:1], off
	v_and_b32_e32 v0, 0xffffff, v0
	v_readfirstlane_b32 m0, v0
	s_sendmsg sendmsg(MSG_INTERRUPT)
.LBB10_1331:
	s_or_b64 exec, exec, s[16:17]
	s_branch .LBB10_1335
.LBB10_1332:                            ;   in Loop: Header=BB10_1335 Depth=1
	s_or_b64 exec, exec, s[16:17]
	v_readfirstlane_b32 s15, v0
	s_cmp_eq_u32 s15, 0
	s_cbranch_scc1 .LBB10_1334
; %bb.1333:                             ;   in Loop: Header=BB10_1335 Depth=1
	s_sleep 1
	s_cbranch_execnz .LBB10_1335
	s_branch .LBB10_1337
.LBB10_1334:
	s_branch .LBB10_1337
.LBB10_1335:                            ; =>This Inner Loop Header: Depth=1
	v_mov_b32_e32 v0, 1
	s_and_saveexec_b64 s[16:17], s[4:5]
	s_cbranch_execz .LBB10_1332
; %bb.1336:                             ;   in Loop: Header=BB10_1335 Depth=1
	global_load_dword v0, v[10:11], off offset:20 glc
	s_waitcnt vmcnt(0)
	buffer_wbinvl1_vol
	v_and_b32_e32 v0, 1, v0
	s_branch .LBB10_1332
.LBB10_1337:
	global_load_dwordx2 v[6:7], v[12:13], off
	s_and_saveexec_b64 s[16:17], s[4:5]
	s_cbranch_execz .LBB10_1340
; %bb.1338:
	v_mov_b32_e32 v10, 0
	global_load_dwordx2 v[2:3], v10, s[44:45] offset:40
	global_load_dwordx2 v[11:12], v10, s[44:45] offset:24 glc
	global_load_dwordx2 v[8:9], v10, s[44:45]
	v_mov_b32_e32 v1, s11
	s_mov_b64 s[4:5], 0
	s_waitcnt vmcnt(2)
	v_add_co_u32_e32 v13, vcc, 1, v2
	v_addc_co_u32_e32 v14, vcc, 0, v3, vcc
	v_add_co_u32_e32 v0, vcc, s10, v13
	v_addc_co_u32_e32 v1, vcc, v14, v1, vcc
	v_cmp_eq_u64_e32 vcc, 0, v[0:1]
	v_cndmask_b32_e32 v1, v1, v14, vcc
	v_cndmask_b32_e32 v0, v0, v13, vcc
	v_and_b32_e32 v3, v1, v3
	v_and_b32_e32 v2, v0, v2
	v_mul_lo_u32 v3, v3, 24
	v_mul_hi_u32 v13, v2, 24
	v_mul_lo_u32 v14, v2, 24
	s_waitcnt vmcnt(1)
	v_mov_b32_e32 v2, v11
	v_add_u32_e32 v3, v13, v3
	s_waitcnt vmcnt(0)
	v_add_co_u32_e32 v8, vcc, v8, v14
	v_addc_co_u32_e32 v9, vcc, v9, v3, vcc
	global_store_dwordx2 v[8:9], v[11:12], off
	v_mov_b32_e32 v3, v12
	s_waitcnt vmcnt(0)
	global_atomic_cmpswap_x2 v[2:3], v10, v[0:3], s[44:45] offset:24 glc
	s_waitcnt vmcnt(0)
	v_cmp_ne_u64_e32 vcc, v[2:3], v[11:12]
	s_and_b64 exec, exec, vcc
	s_cbranch_execz .LBB10_1340
.LBB10_1339:                            ; =>This Inner Loop Header: Depth=1
	s_sleep 1
	global_store_dwordx2 v[8:9], v[2:3], off
	s_waitcnt vmcnt(0)
	global_atomic_cmpswap_x2 v[11:12], v10, v[0:3], s[44:45] offset:24 glc
	s_waitcnt vmcnt(0)
	v_cmp_eq_u64_e32 vcc, v[11:12], v[2:3]
	v_mov_b32_e32 v2, v11
	s_or_b64 s[4:5], vcc, s[4:5]
	v_mov_b32_e32 v3, v12
	s_andn2_b64 exec, exec, s[4:5]
	s_cbranch_execnz .LBB10_1339
.LBB10_1340:
	s_or_b64 exec, exec, s[16:17]
	s_and_b64 vcc, exec, s[6:7]
	s_cbranch_vccz .LBB10_1425
; %bb.1341:
	s_waitcnt vmcnt(0)
	v_and_b32_e32 v31, 2, v6
	v_mov_b32_e32 v28, 0
	v_and_b32_e32 v0, -3, v6
	v_mov_b32_e32 v1, v7
	s_mov_b64 s[10:11], 3
	v_mov_b32_e32 v10, 2
	v_mov_b32_e32 v11, 1
	s_getpc_b64 s[6:7]
	s_add_u32 s6, s6, .str.7@rel32@lo+4
	s_addc_u32 s7, s7, .str.7@rel32@hi+12
	s_branch .LBB10_1343
.LBB10_1342:                            ;   in Loop: Header=BB10_1343 Depth=1
	s_or_b64 exec, exec, s[20:21]
	s_sub_u32 s10, s10, s16
	s_subb_u32 s11, s11, s17
	s_add_u32 s6, s6, s16
	s_addc_u32 s7, s7, s17
	s_cmp_lg_u64 s[10:11], 0
	s_cbranch_scc0 .LBB10_1424
.LBB10_1343:                            ; =>This Loop Header: Depth=1
                                        ;     Child Loop BB10_1346 Depth 2
                                        ;     Child Loop BB10_1353 Depth 2
	;; [unrolled: 1-line block ×11, first 2 shown]
	v_cmp_lt_u64_e64 s[4:5], s[10:11], 56
	v_cmp_gt_u64_e64 s[18:19], s[10:11], 7
	s_and_b64 s[4:5], s[4:5], exec
	s_cselect_b32 s17, s11, 0
	s_cselect_b32 s16, s10, 56
	s_and_b64 vcc, exec, s[18:19]
	s_cbranch_vccnz .LBB10_1348
; %bb.1344:                             ;   in Loop: Header=BB10_1343 Depth=1
	s_waitcnt vmcnt(0)
	v_mov_b32_e32 v2, 0
	s_cmp_eq_u64 s[10:11], 0
	v_mov_b32_e32 v3, 0
	s_mov_b64 s[4:5], 0
	s_cbranch_scc1 .LBB10_1347
; %bb.1345:                             ;   in Loop: Header=BB10_1343 Depth=1
	v_mov_b32_e32 v2, 0
	s_lshl_b64 s[18:19], s[16:17], 3
	s_mov_b64 s[20:21], 0
	v_mov_b32_e32 v3, 0
	s_mov_b64 s[22:23], s[6:7]
.LBB10_1346:                            ;   Parent Loop BB10_1343 Depth=1
                                        ; =>  This Inner Loop Header: Depth=2
	global_load_ubyte v8, v28, s[22:23]
	s_waitcnt vmcnt(0)
	v_and_b32_e32 v27, 0xffff, v8
	v_lshlrev_b64 v[8:9], s20, v[27:28]
	s_add_u32 s20, s20, 8
	s_addc_u32 s21, s21, 0
	s_add_u32 s22, s22, 1
	s_addc_u32 s23, s23, 0
	v_or_b32_e32 v2, v8, v2
	s_cmp_lg_u32 s18, s20
	v_or_b32_e32 v3, v9, v3
	s_cbranch_scc1 .LBB10_1346
.LBB10_1347:                            ;   in Loop: Header=BB10_1343 Depth=1
	s_mov_b32 s15, 0
	s_andn2_b64 vcc, exec, s[4:5]
	s_mov_b64 s[4:5], s[6:7]
	s_cbranch_vccz .LBB10_1349
	s_branch .LBB10_1350
.LBB10_1348:                            ;   in Loop: Header=BB10_1343 Depth=1
                                        ; implicit-def: $vgpr2_vgpr3
                                        ; implicit-def: $sgpr15
	s_mov_b64 s[4:5], s[6:7]
.LBB10_1349:                            ;   in Loop: Header=BB10_1343 Depth=1
	global_load_dwordx2 v[2:3], v28, s[6:7]
	s_add_i32 s15, s16, -8
	s_add_u32 s4, s6, 8
	s_addc_u32 s5, s7, 0
.LBB10_1350:                            ;   in Loop: Header=BB10_1343 Depth=1
	s_cmp_gt_u32 s15, 7
	s_cbranch_scc1 .LBB10_1354
; %bb.1351:                             ;   in Loop: Header=BB10_1343 Depth=1
	s_cmp_eq_u32 s15, 0
	s_cbranch_scc1 .LBB10_1355
; %bb.1352:                             ;   in Loop: Header=BB10_1343 Depth=1
	v_mov_b32_e32 v12, 0
	s_mov_b64 s[18:19], 0
	v_mov_b32_e32 v13, 0
	s_mov_b64 s[20:21], 0
.LBB10_1353:                            ;   Parent Loop BB10_1343 Depth=1
                                        ; =>  This Inner Loop Header: Depth=2
	s_add_u32 s22, s4, s20
	s_addc_u32 s23, s5, s21
	global_load_ubyte v8, v28, s[22:23]
	s_add_u32 s20, s20, 1
	s_addc_u32 s21, s21, 0
	s_waitcnt vmcnt(0)
	v_and_b32_e32 v27, 0xffff, v8
	v_lshlrev_b64 v[8:9], s18, v[27:28]
	s_add_u32 s18, s18, 8
	s_addc_u32 s19, s19, 0
	v_or_b32_e32 v12, v8, v12
	s_cmp_lg_u32 s15, s20
	v_or_b32_e32 v13, v9, v13
	s_cbranch_scc1 .LBB10_1353
	s_branch .LBB10_1356
.LBB10_1354:                            ;   in Loop: Header=BB10_1343 Depth=1
                                        ; implicit-def: $vgpr12_vgpr13
                                        ; implicit-def: $sgpr22
	s_branch .LBB10_1357
.LBB10_1355:                            ;   in Loop: Header=BB10_1343 Depth=1
	v_mov_b32_e32 v12, 0
	v_mov_b32_e32 v13, 0
.LBB10_1356:                            ;   in Loop: Header=BB10_1343 Depth=1
	s_mov_b32 s22, 0
	s_cbranch_execnz .LBB10_1358
.LBB10_1357:                            ;   in Loop: Header=BB10_1343 Depth=1
	global_load_dwordx2 v[12:13], v28, s[4:5]
	s_add_i32 s22, s15, -8
	s_add_u32 s4, s4, 8
	s_addc_u32 s5, s5, 0
.LBB10_1358:                            ;   in Loop: Header=BB10_1343 Depth=1
	s_cmp_gt_u32 s22, 7
	s_cbranch_scc1 .LBB10_1362
; %bb.1359:                             ;   in Loop: Header=BB10_1343 Depth=1
	s_cmp_eq_u32 s22, 0
	s_cbranch_scc1 .LBB10_1363
; %bb.1360:                             ;   in Loop: Header=BB10_1343 Depth=1
	v_mov_b32_e32 v14, 0
	s_mov_b64 s[18:19], 0
	v_mov_b32_e32 v15, 0
	s_mov_b64 s[20:21], 0
.LBB10_1361:                            ;   Parent Loop BB10_1343 Depth=1
                                        ; =>  This Inner Loop Header: Depth=2
	s_add_u32 s24, s4, s20
	s_addc_u32 s25, s5, s21
	global_load_ubyte v8, v28, s[24:25]
	s_add_u32 s20, s20, 1
	s_addc_u32 s21, s21, 0
	s_waitcnt vmcnt(0)
	v_and_b32_e32 v27, 0xffff, v8
	v_lshlrev_b64 v[8:9], s18, v[27:28]
	s_add_u32 s18, s18, 8
	s_addc_u32 s19, s19, 0
	v_or_b32_e32 v14, v8, v14
	s_cmp_lg_u32 s22, s20
	v_or_b32_e32 v15, v9, v15
	s_cbranch_scc1 .LBB10_1361
	s_branch .LBB10_1364
.LBB10_1362:                            ;   in Loop: Header=BB10_1343 Depth=1
                                        ; implicit-def: $sgpr15
	s_branch .LBB10_1365
.LBB10_1363:                            ;   in Loop: Header=BB10_1343 Depth=1
	v_mov_b32_e32 v14, 0
	v_mov_b32_e32 v15, 0
.LBB10_1364:                            ;   in Loop: Header=BB10_1343 Depth=1
	s_mov_b32 s15, 0
	s_cbranch_execnz .LBB10_1366
.LBB10_1365:                            ;   in Loop: Header=BB10_1343 Depth=1
	global_load_dwordx2 v[14:15], v28, s[4:5]
	s_add_i32 s15, s22, -8
	s_add_u32 s4, s4, 8
	s_addc_u32 s5, s5, 0
.LBB10_1366:                            ;   in Loop: Header=BB10_1343 Depth=1
	s_cmp_gt_u32 s15, 7
	s_cbranch_scc1 .LBB10_1370
; %bb.1367:                             ;   in Loop: Header=BB10_1343 Depth=1
	s_cmp_eq_u32 s15, 0
	s_cbranch_scc1 .LBB10_1371
; %bb.1368:                             ;   in Loop: Header=BB10_1343 Depth=1
	v_mov_b32_e32 v16, 0
	s_mov_b64 s[18:19], 0
	v_mov_b32_e32 v17, 0
	s_mov_b64 s[20:21], 0
.LBB10_1369:                            ;   Parent Loop BB10_1343 Depth=1
                                        ; =>  This Inner Loop Header: Depth=2
	s_add_u32 s22, s4, s20
	s_addc_u32 s23, s5, s21
	global_load_ubyte v8, v28, s[22:23]
	s_add_u32 s20, s20, 1
	s_addc_u32 s21, s21, 0
	s_waitcnt vmcnt(0)
	v_and_b32_e32 v27, 0xffff, v8
	v_lshlrev_b64 v[8:9], s18, v[27:28]
	s_add_u32 s18, s18, 8
	s_addc_u32 s19, s19, 0
	v_or_b32_e32 v16, v8, v16
	s_cmp_lg_u32 s15, s20
	v_or_b32_e32 v17, v9, v17
	s_cbranch_scc1 .LBB10_1369
	s_branch .LBB10_1372
.LBB10_1370:                            ;   in Loop: Header=BB10_1343 Depth=1
                                        ; implicit-def: $vgpr16_vgpr17
                                        ; implicit-def: $sgpr22
	s_branch .LBB10_1373
.LBB10_1371:                            ;   in Loop: Header=BB10_1343 Depth=1
	v_mov_b32_e32 v16, 0
	v_mov_b32_e32 v17, 0
.LBB10_1372:                            ;   in Loop: Header=BB10_1343 Depth=1
	s_mov_b32 s22, 0
	s_cbranch_execnz .LBB10_1374
.LBB10_1373:                            ;   in Loop: Header=BB10_1343 Depth=1
	global_load_dwordx2 v[16:17], v28, s[4:5]
	s_add_i32 s22, s15, -8
	s_add_u32 s4, s4, 8
	s_addc_u32 s5, s5, 0
.LBB10_1374:                            ;   in Loop: Header=BB10_1343 Depth=1
	s_cmp_gt_u32 s22, 7
	s_cbranch_scc1 .LBB10_1378
; %bb.1375:                             ;   in Loop: Header=BB10_1343 Depth=1
	s_cmp_eq_u32 s22, 0
	s_cbranch_scc1 .LBB10_1379
; %bb.1376:                             ;   in Loop: Header=BB10_1343 Depth=1
	v_mov_b32_e32 v18, 0
	s_mov_b64 s[18:19], 0
	v_mov_b32_e32 v19, 0
	s_mov_b64 s[20:21], 0
.LBB10_1377:                            ;   Parent Loop BB10_1343 Depth=1
                                        ; =>  This Inner Loop Header: Depth=2
	s_add_u32 s24, s4, s20
	s_addc_u32 s25, s5, s21
	global_load_ubyte v8, v28, s[24:25]
	s_add_u32 s20, s20, 1
	s_addc_u32 s21, s21, 0
	s_waitcnt vmcnt(0)
	v_and_b32_e32 v27, 0xffff, v8
	v_lshlrev_b64 v[8:9], s18, v[27:28]
	s_add_u32 s18, s18, 8
	s_addc_u32 s19, s19, 0
	v_or_b32_e32 v18, v8, v18
	s_cmp_lg_u32 s22, s20
	v_or_b32_e32 v19, v9, v19
	s_cbranch_scc1 .LBB10_1377
	s_branch .LBB10_1380
.LBB10_1378:                            ;   in Loop: Header=BB10_1343 Depth=1
                                        ; implicit-def: $sgpr15
	s_branch .LBB10_1381
.LBB10_1379:                            ;   in Loop: Header=BB10_1343 Depth=1
	v_mov_b32_e32 v18, 0
	v_mov_b32_e32 v19, 0
.LBB10_1380:                            ;   in Loop: Header=BB10_1343 Depth=1
	s_mov_b32 s15, 0
	s_cbranch_execnz .LBB10_1382
.LBB10_1381:                            ;   in Loop: Header=BB10_1343 Depth=1
	global_load_dwordx2 v[18:19], v28, s[4:5]
	s_add_i32 s15, s22, -8
	s_add_u32 s4, s4, 8
	s_addc_u32 s5, s5, 0
.LBB10_1382:                            ;   in Loop: Header=BB10_1343 Depth=1
	s_cmp_gt_u32 s15, 7
	s_cbranch_scc1 .LBB10_1386
; %bb.1383:                             ;   in Loop: Header=BB10_1343 Depth=1
	s_cmp_eq_u32 s15, 0
	s_cbranch_scc1 .LBB10_1387
; %bb.1384:                             ;   in Loop: Header=BB10_1343 Depth=1
	v_mov_b32_e32 v20, 0
	s_mov_b64 s[18:19], 0
	v_mov_b32_e32 v21, 0
	s_mov_b64 s[20:21], 0
.LBB10_1385:                            ;   Parent Loop BB10_1343 Depth=1
                                        ; =>  This Inner Loop Header: Depth=2
	s_add_u32 s22, s4, s20
	s_addc_u32 s23, s5, s21
	global_load_ubyte v8, v28, s[22:23]
	s_add_u32 s20, s20, 1
	s_addc_u32 s21, s21, 0
	s_waitcnt vmcnt(0)
	v_and_b32_e32 v27, 0xffff, v8
	v_lshlrev_b64 v[8:9], s18, v[27:28]
	s_add_u32 s18, s18, 8
	s_addc_u32 s19, s19, 0
	v_or_b32_e32 v20, v8, v20
	s_cmp_lg_u32 s15, s20
	v_or_b32_e32 v21, v9, v21
	s_cbranch_scc1 .LBB10_1385
	s_branch .LBB10_1388
.LBB10_1386:                            ;   in Loop: Header=BB10_1343 Depth=1
                                        ; implicit-def: $vgpr20_vgpr21
                                        ; implicit-def: $sgpr22
	s_branch .LBB10_1389
.LBB10_1387:                            ;   in Loop: Header=BB10_1343 Depth=1
	v_mov_b32_e32 v20, 0
	v_mov_b32_e32 v21, 0
.LBB10_1388:                            ;   in Loop: Header=BB10_1343 Depth=1
	s_mov_b32 s22, 0
	s_cbranch_execnz .LBB10_1390
.LBB10_1389:                            ;   in Loop: Header=BB10_1343 Depth=1
	global_load_dwordx2 v[20:21], v28, s[4:5]
	s_add_i32 s22, s15, -8
	s_add_u32 s4, s4, 8
	s_addc_u32 s5, s5, 0
.LBB10_1390:                            ;   in Loop: Header=BB10_1343 Depth=1
	s_cmp_gt_u32 s22, 7
	s_cbranch_scc1 .LBB10_1394
; %bb.1391:                             ;   in Loop: Header=BB10_1343 Depth=1
	s_cmp_eq_u32 s22, 0
	s_cbranch_scc1 .LBB10_1395
; %bb.1392:                             ;   in Loop: Header=BB10_1343 Depth=1
	v_mov_b32_e32 v22, 0
	s_mov_b64 s[18:19], 0
	v_mov_b32_e32 v23, 0
	s_mov_b64 s[20:21], s[4:5]
.LBB10_1393:                            ;   Parent Loop BB10_1343 Depth=1
                                        ; =>  This Inner Loop Header: Depth=2
	global_load_ubyte v8, v28, s[20:21]
	s_add_i32 s22, s22, -1
	s_waitcnt vmcnt(0)
	v_and_b32_e32 v27, 0xffff, v8
	v_lshlrev_b64 v[8:9], s18, v[27:28]
	s_add_u32 s18, s18, 8
	s_addc_u32 s19, s19, 0
	s_add_u32 s20, s20, 1
	s_addc_u32 s21, s21, 0
	v_or_b32_e32 v22, v8, v22
	s_cmp_lg_u32 s22, 0
	v_or_b32_e32 v23, v9, v23
	s_cbranch_scc1 .LBB10_1393
	s_branch .LBB10_1396
.LBB10_1394:                            ;   in Loop: Header=BB10_1343 Depth=1
	s_branch .LBB10_1397
.LBB10_1395:                            ;   in Loop: Header=BB10_1343 Depth=1
	v_mov_b32_e32 v22, 0
	v_mov_b32_e32 v23, 0
.LBB10_1396:                            ;   in Loop: Header=BB10_1343 Depth=1
	s_cbranch_execnz .LBB10_1398
.LBB10_1397:                            ;   in Loop: Header=BB10_1343 Depth=1
	global_load_dwordx2 v[22:23], v28, s[4:5]
.LBB10_1398:                            ;   in Loop: Header=BB10_1343 Depth=1
	v_readfirstlane_b32 s4, v51
	v_mov_b32_e32 v8, 0
	v_mov_b32_e32 v9, 0
	v_cmp_eq_u32_e64 s[4:5], s4, v51
	s_and_saveexec_b64 s[18:19], s[4:5]
	s_cbranch_execz .LBB10_1404
; %bb.1399:                             ;   in Loop: Header=BB10_1343 Depth=1
	global_load_dwordx2 v[26:27], v28, s[44:45] offset:24 glc
	s_waitcnt vmcnt(0)
	buffer_wbinvl1_vol
	global_load_dwordx2 v[8:9], v28, s[44:45] offset:40
	global_load_dwordx2 v[24:25], v28, s[44:45]
	s_waitcnt vmcnt(1)
	v_and_b32_e32 v8, v8, v26
	v_and_b32_e32 v9, v9, v27
	v_mul_lo_u32 v9, v9, 24
	v_mul_hi_u32 v29, v8, 24
	v_mul_lo_u32 v8, v8, 24
	v_add_u32_e32 v9, v29, v9
	s_waitcnt vmcnt(0)
	v_add_co_u32_e32 v8, vcc, v24, v8
	v_addc_co_u32_e32 v9, vcc, v25, v9, vcc
	global_load_dwordx2 v[24:25], v[8:9], off glc
	s_waitcnt vmcnt(0)
	global_atomic_cmpswap_x2 v[8:9], v28, v[24:27], s[44:45] offset:24 glc
	s_waitcnt vmcnt(0)
	buffer_wbinvl1_vol
	v_cmp_ne_u64_e32 vcc, v[8:9], v[26:27]
	s_and_saveexec_b64 s[20:21], vcc
	s_cbranch_execz .LBB10_1403
; %bb.1400:                             ;   in Loop: Header=BB10_1343 Depth=1
	s_mov_b64 s[22:23], 0
.LBB10_1401:                            ;   Parent Loop BB10_1343 Depth=1
                                        ; =>  This Inner Loop Header: Depth=2
	s_sleep 1
	global_load_dwordx2 v[24:25], v28, s[44:45] offset:40
	global_load_dwordx2 v[29:30], v28, s[44:45]
	v_mov_b32_e32 v27, v9
	v_mov_b32_e32 v26, v8
	s_waitcnt vmcnt(1)
	v_and_b32_e32 v8, v24, v26
	s_waitcnt vmcnt(0)
	v_mad_u64_u32 v[8:9], s[24:25], v8, 24, v[29:30]
	v_and_b32_e32 v24, v25, v27
	v_mad_u64_u32 v[24:25], s[24:25], v24, 24, v[9:10]
	v_mov_b32_e32 v9, v24
	global_load_dwordx2 v[24:25], v[8:9], off glc
	s_waitcnt vmcnt(0)
	global_atomic_cmpswap_x2 v[8:9], v28, v[24:27], s[44:45] offset:24 glc
	s_waitcnt vmcnt(0)
	buffer_wbinvl1_vol
	v_cmp_eq_u64_e32 vcc, v[8:9], v[26:27]
	s_or_b64 s[22:23], vcc, s[22:23]
	s_andn2_b64 exec, exec, s[22:23]
	s_cbranch_execnz .LBB10_1401
; %bb.1402:                             ;   in Loop: Header=BB10_1343 Depth=1
	s_or_b64 exec, exec, s[22:23]
.LBB10_1403:                            ;   in Loop: Header=BB10_1343 Depth=1
	s_or_b64 exec, exec, s[20:21]
.LBB10_1404:                            ;   in Loop: Header=BB10_1343 Depth=1
	s_or_b64 exec, exec, s[18:19]
	global_load_dwordx2 v[29:30], v28, s[44:45] offset:40
	global_load_dwordx4 v[24:27], v28, s[44:45]
	v_readfirstlane_b32 s18, v8
	v_readfirstlane_b32 s19, v9
	s_mov_b64 s[20:21], exec
	s_waitcnt vmcnt(1)
	v_readfirstlane_b32 s22, v29
	v_readfirstlane_b32 s23, v30
	s_and_b64 s[22:23], s[18:19], s[22:23]
	s_mul_i32 s15, s23, 24
	s_mul_hi_u32 s24, s22, 24
	s_mul_i32 s25, s22, 24
	s_add_i32 s15, s24, s15
	v_mov_b32_e32 v8, s15
	s_waitcnt vmcnt(0)
	v_add_co_u32_e32 v29, vcc, s25, v24
	v_addc_co_u32_e32 v30, vcc, v25, v8, vcc
	s_and_saveexec_b64 s[24:25], s[4:5]
	s_cbranch_execz .LBB10_1406
; %bb.1405:                             ;   in Loop: Header=BB10_1343 Depth=1
	v_mov_b32_e32 v8, s20
	v_mov_b32_e32 v9, s21
	global_store_dwordx4 v[29:30], v[8:11], off offset:8
.LBB10_1406:                            ;   in Loop: Header=BB10_1343 Depth=1
	s_or_b64 exec, exec, s[24:25]
	s_lshl_b64 s[20:21], s[22:23], 12
	v_mov_b32_e32 v8, s21
	v_add_co_u32_e32 v26, vcc, s20, v26
	v_addc_co_u32_e32 v32, vcc, v27, v8, vcc
	v_cmp_gt_u64_e64 vcc, s[10:11], 56
	v_or_b32_e32 v9, v0, v31
	s_lshl_b32 s15, s16, 2
	v_cndmask_b32_e32 v0, v9, v0, vcc
	s_add_i32 s15, s15, 28
	v_or_b32_e32 v8, 0, v1
	s_and_b32 s15, s15, 0x1e0
	v_and_b32_e32 v0, 0xffffff1f, v0
	v_cndmask_b32_e32 v1, v8, v1, vcc
	v_or_b32_e32 v0, s15, v0
	v_readfirstlane_b32 s20, v26
	v_readfirstlane_b32 s21, v32
	s_nop 4
	global_store_dwordx4 v50, v[0:3], s[20:21]
	global_store_dwordx4 v50, v[12:15], s[20:21] offset:16
	global_store_dwordx4 v50, v[16:19], s[20:21] offset:32
	;; [unrolled: 1-line block ×3, first 2 shown]
	s_and_saveexec_b64 s[20:21], s[4:5]
	s_cbranch_execz .LBB10_1414
; %bb.1407:                             ;   in Loop: Header=BB10_1343 Depth=1
	global_load_dwordx2 v[14:15], v28, s[44:45] offset:32 glc
	global_load_dwordx2 v[0:1], v28, s[44:45] offset:40
	v_mov_b32_e32 v12, s18
	v_mov_b32_e32 v13, s19
	s_waitcnt vmcnt(0)
	v_readfirstlane_b32 s22, v0
	v_readfirstlane_b32 s23, v1
	s_and_b64 s[22:23], s[22:23], s[18:19]
	s_mul_i32 s15, s23, 24
	s_mul_hi_u32 s23, s22, 24
	s_mul_i32 s22, s22, 24
	s_add_i32 s15, s23, s15
	v_mov_b32_e32 v0, s15
	v_add_co_u32_e32 v8, vcc, s22, v24
	v_addc_co_u32_e32 v9, vcc, v25, v0, vcc
	global_store_dwordx2 v[8:9], v[14:15], off
	s_waitcnt vmcnt(0)
	global_atomic_cmpswap_x2 v[2:3], v28, v[12:15], s[44:45] offset:32 glc
	s_waitcnt vmcnt(0)
	v_cmp_ne_u64_e32 vcc, v[2:3], v[14:15]
	s_and_saveexec_b64 s[22:23], vcc
	s_cbranch_execz .LBB10_1410
; %bb.1408:                             ;   in Loop: Header=BB10_1343 Depth=1
	s_mov_b64 s[24:25], 0
.LBB10_1409:                            ;   Parent Loop BB10_1343 Depth=1
                                        ; =>  This Inner Loop Header: Depth=2
	s_sleep 1
	global_store_dwordx2 v[8:9], v[2:3], off
	v_mov_b32_e32 v0, s18
	v_mov_b32_e32 v1, s19
	s_waitcnt vmcnt(0)
	global_atomic_cmpswap_x2 v[0:1], v28, v[0:3], s[44:45] offset:32 glc
	s_waitcnt vmcnt(0)
	v_cmp_eq_u64_e32 vcc, v[0:1], v[2:3]
	v_mov_b32_e32 v3, v1
	s_or_b64 s[24:25], vcc, s[24:25]
	v_mov_b32_e32 v2, v0
	s_andn2_b64 exec, exec, s[24:25]
	s_cbranch_execnz .LBB10_1409
.LBB10_1410:                            ;   in Loop: Header=BB10_1343 Depth=1
	s_or_b64 exec, exec, s[22:23]
	global_load_dwordx2 v[0:1], v28, s[44:45] offset:16
	s_mov_b64 s[24:25], exec
	v_mbcnt_lo_u32_b32 v2, s24, 0
	v_mbcnt_hi_u32_b32 v2, s25, v2
	v_cmp_eq_u32_e32 vcc, 0, v2
	s_and_saveexec_b64 s[22:23], vcc
	s_cbranch_execz .LBB10_1412
; %bb.1411:                             ;   in Loop: Header=BB10_1343 Depth=1
	s_bcnt1_i32_b64 s15, s[24:25]
	v_mov_b32_e32 v27, s15
	s_waitcnt vmcnt(0)
	global_atomic_add_x2 v[0:1], v[27:28], off offset:8
.LBB10_1412:                            ;   in Loop: Header=BB10_1343 Depth=1
	s_or_b64 exec, exec, s[22:23]
	s_waitcnt vmcnt(0)
	global_load_dwordx2 v[2:3], v[0:1], off offset:16
	s_waitcnt vmcnt(0)
	v_cmp_eq_u64_e32 vcc, 0, v[2:3]
	s_cbranch_vccnz .LBB10_1414
; %bb.1413:                             ;   in Loop: Header=BB10_1343 Depth=1
	global_load_dword v27, v[0:1], off offset:24
	s_waitcnt vmcnt(0)
	v_and_b32_e32 v0, 0xffffff, v27
	v_readfirstlane_b32 m0, v0
	global_store_dwordx2 v[2:3], v[27:28], off
	s_sendmsg sendmsg(MSG_INTERRUPT)
.LBB10_1414:                            ;   in Loop: Header=BB10_1343 Depth=1
	s_or_b64 exec, exec, s[20:21]
	v_add_co_u32_e32 v0, vcc, v26, v50
	v_addc_co_u32_e32 v1, vcc, 0, v32, vcc
	s_branch .LBB10_1418
.LBB10_1415:                            ;   in Loop: Header=BB10_1418 Depth=2
	s_or_b64 exec, exec, s[20:21]
	v_readfirstlane_b32 s15, v2
	s_cmp_eq_u32 s15, 0
	s_cbranch_scc1 .LBB10_1417
; %bb.1416:                             ;   in Loop: Header=BB10_1418 Depth=2
	s_sleep 1
	s_cbranch_execnz .LBB10_1418
	s_branch .LBB10_1420
.LBB10_1417:                            ;   in Loop: Header=BB10_1343 Depth=1
	s_branch .LBB10_1420
.LBB10_1418:                            ;   Parent Loop BB10_1343 Depth=1
                                        ; =>  This Inner Loop Header: Depth=2
	v_mov_b32_e32 v2, 1
	s_and_saveexec_b64 s[20:21], s[4:5]
	s_cbranch_execz .LBB10_1415
; %bb.1419:                             ;   in Loop: Header=BB10_1418 Depth=2
	global_load_dword v2, v[29:30], off offset:20 glc
	s_waitcnt vmcnt(0)
	buffer_wbinvl1_vol
	v_and_b32_e32 v2, 1, v2
	s_branch .LBB10_1415
.LBB10_1420:                            ;   in Loop: Header=BB10_1343 Depth=1
	global_load_dwordx4 v[0:3], v[0:1], off
	s_and_saveexec_b64 s[20:21], s[4:5]
	s_cbranch_execz .LBB10_1342
; %bb.1421:                             ;   in Loop: Header=BB10_1343 Depth=1
	global_load_dwordx2 v[2:3], v28, s[44:45] offset:40
	global_load_dwordx2 v[8:9], v28, s[44:45] offset:24 glc
	global_load_dwordx2 v[15:16], v28, s[44:45]
	v_mov_b32_e32 v13, s19
	s_waitcnt vmcnt(2)
	v_add_co_u32_e32 v14, vcc, 1, v2
	v_addc_co_u32_e32 v17, vcc, 0, v3, vcc
	v_add_co_u32_e32 v12, vcc, s18, v14
	v_addc_co_u32_e32 v13, vcc, v17, v13, vcc
	v_cmp_eq_u64_e32 vcc, 0, v[12:13]
	v_cndmask_b32_e32 v13, v13, v17, vcc
	v_cndmask_b32_e32 v12, v12, v14, vcc
	v_and_b32_e32 v3, v13, v3
	v_and_b32_e32 v2, v12, v2
	v_mul_lo_u32 v3, v3, 24
	v_mul_hi_u32 v17, v2, 24
	v_mul_lo_u32 v2, v2, 24
	s_waitcnt vmcnt(1)
	v_mov_b32_e32 v14, v8
	v_add_u32_e32 v3, v17, v3
	s_waitcnt vmcnt(0)
	v_add_co_u32_e32 v2, vcc, v15, v2
	v_addc_co_u32_e32 v3, vcc, v16, v3, vcc
	global_store_dwordx2 v[2:3], v[8:9], off
	v_mov_b32_e32 v15, v9
	s_waitcnt vmcnt(0)
	global_atomic_cmpswap_x2 v[14:15], v28, v[12:15], s[44:45] offset:24 glc
	s_waitcnt vmcnt(0)
	v_cmp_ne_u64_e32 vcc, v[14:15], v[8:9]
	s_and_b64 exec, exec, vcc
	s_cbranch_execz .LBB10_1342
; %bb.1422:                             ;   in Loop: Header=BB10_1343 Depth=1
	s_mov_b64 s[4:5], 0
.LBB10_1423:                            ;   Parent Loop BB10_1343 Depth=1
                                        ; =>  This Inner Loop Header: Depth=2
	s_sleep 1
	global_store_dwordx2 v[2:3], v[14:15], off
	s_waitcnt vmcnt(0)
	global_atomic_cmpswap_x2 v[8:9], v28, v[12:15], s[44:45] offset:24 glc
	s_waitcnt vmcnt(0)
	v_cmp_eq_u64_e32 vcc, v[8:9], v[14:15]
	v_mov_b32_e32 v15, v9
	s_or_b64 s[4:5], vcc, s[4:5]
	v_mov_b32_e32 v14, v8
	s_andn2_b64 exec, exec, s[4:5]
	s_cbranch_execnz .LBB10_1423
	s_branch .LBB10_1342
.LBB10_1424:
	s_branch .LBB10_1452
.LBB10_1425:
                                        ; implicit-def: $vgpr0_vgpr1
	s_cbranch_execz .LBB10_1452
; %bb.1426:
	v_readfirstlane_b32 s4, v51
	v_mov_b32_e32 v9, 0
	v_mov_b32_e32 v10, 0
	v_cmp_eq_u32_e64 s[4:5], s4, v51
	s_and_saveexec_b64 s[6:7], s[4:5]
	s_cbranch_execz .LBB10_1432
; %bb.1427:
	s_waitcnt vmcnt(0)
	v_mov_b32_e32 v0, 0
	global_load_dwordx2 v[11:12], v0, s[44:45] offset:24 glc
	s_waitcnt vmcnt(0)
	buffer_wbinvl1_vol
	global_load_dwordx2 v[1:2], v0, s[44:45] offset:40
	global_load_dwordx2 v[8:9], v0, s[44:45]
	s_waitcnt vmcnt(1)
	v_and_b32_e32 v1, v1, v11
	v_and_b32_e32 v2, v2, v12
	v_mul_lo_u32 v2, v2, 24
	v_mul_hi_u32 v3, v1, 24
	v_mul_lo_u32 v1, v1, 24
	v_add_u32_e32 v2, v3, v2
	s_waitcnt vmcnt(0)
	v_add_co_u32_e32 v1, vcc, v8, v1
	v_addc_co_u32_e32 v2, vcc, v9, v2, vcc
	global_load_dwordx2 v[9:10], v[1:2], off glc
	s_waitcnt vmcnt(0)
	global_atomic_cmpswap_x2 v[9:10], v0, v[9:12], s[44:45] offset:24 glc
	s_waitcnt vmcnt(0)
	buffer_wbinvl1_vol
	v_cmp_ne_u64_e32 vcc, v[9:10], v[11:12]
	s_and_saveexec_b64 s[10:11], vcc
	s_cbranch_execz .LBB10_1431
; %bb.1428:
	s_mov_b64 s[16:17], 0
.LBB10_1429:                            ; =>This Inner Loop Header: Depth=1
	s_sleep 1
	global_load_dwordx2 v[1:2], v0, s[44:45] offset:40
	global_load_dwordx2 v[13:14], v0, s[44:45]
	v_mov_b32_e32 v12, v10
	v_mov_b32_e32 v11, v9
	s_waitcnt vmcnt(1)
	v_and_b32_e32 v1, v1, v11
	s_waitcnt vmcnt(0)
	v_mad_u64_u32 v[8:9], s[18:19], v1, 24, v[13:14]
	v_and_b32_e32 v2, v2, v12
	v_mov_b32_e32 v1, v9
	v_mad_u64_u32 v[1:2], s[18:19], v2, 24, v[1:2]
	v_mov_b32_e32 v9, v1
	global_load_dwordx2 v[9:10], v[8:9], off glc
	s_waitcnt vmcnt(0)
	global_atomic_cmpswap_x2 v[9:10], v0, v[9:12], s[44:45] offset:24 glc
	s_waitcnt vmcnt(0)
	buffer_wbinvl1_vol
	v_cmp_eq_u64_e32 vcc, v[9:10], v[11:12]
	s_or_b64 s[16:17], vcc, s[16:17]
	s_andn2_b64 exec, exec, s[16:17]
	s_cbranch_execnz .LBB10_1429
; %bb.1430:
	s_or_b64 exec, exec, s[16:17]
.LBB10_1431:
	s_or_b64 exec, exec, s[10:11]
.LBB10_1432:
	s_or_b64 exec, exec, s[6:7]
	v_mov_b32_e32 v8, 0
	global_load_dwordx2 v[11:12], v8, s[44:45] offset:40
	global_load_dwordx4 v[0:3], v8, s[44:45]
	v_readfirstlane_b32 s6, v9
	v_readfirstlane_b32 s7, v10
	s_mov_b64 s[10:11], exec
	s_waitcnt vmcnt(1)
	v_readfirstlane_b32 s16, v11
	v_readfirstlane_b32 s17, v12
	s_and_b64 s[16:17], s[6:7], s[16:17]
	s_mul_i32 s15, s17, 24
	s_mul_hi_u32 s18, s16, 24
	s_mul_i32 s19, s16, 24
	s_add_i32 s15, s18, s15
	v_mov_b32_e32 v9, s15
	s_waitcnt vmcnt(0)
	v_add_co_u32_e32 v10, vcc, s19, v0
	v_addc_co_u32_e32 v11, vcc, v1, v9, vcc
	s_and_saveexec_b64 s[18:19], s[4:5]
	s_cbranch_execz .LBB10_1434
; %bb.1433:
	v_mov_b32_e32 v13, s11
	v_mov_b32_e32 v12, s10
	;; [unrolled: 1-line block ×4, first 2 shown]
	global_store_dwordx4 v[10:11], v[12:15], off offset:8
.LBB10_1434:
	s_or_b64 exec, exec, s[18:19]
	s_lshl_b64 s[10:11], s[16:17], 12
	v_mov_b32_e32 v9, s11
	v_add_co_u32_e32 v2, vcc, s10, v2
	v_addc_co_u32_e32 v3, vcc, v3, v9, vcc
	s_movk_i32 s10, 0xff1f
	v_and_or_b32 v6, v6, s10, 32
	s_mov_b32 s16, 0
	v_mov_b32_e32 v9, v8
	v_readfirstlane_b32 s10, v2
	v_readfirstlane_b32 s11, v3
	v_add_co_u32_e32 v12, vcc, v2, v50
	s_mov_b32 s17, s16
	s_mov_b32 s18, s16
	;; [unrolled: 1-line block ×3, first 2 shown]
	s_nop 0
	global_store_dwordx4 v50, v[6:9], s[10:11]
	v_addc_co_u32_e32 v13, vcc, 0, v3, vcc
	v_mov_b32_e32 v6, s16
	v_mov_b32_e32 v7, s17
	;; [unrolled: 1-line block ×4, first 2 shown]
	global_store_dwordx4 v50, v[6:9], s[10:11] offset:16
	global_store_dwordx4 v50, v[6:9], s[10:11] offset:32
	;; [unrolled: 1-line block ×3, first 2 shown]
	s_and_saveexec_b64 s[10:11], s[4:5]
	s_cbranch_execz .LBB10_1442
; %bb.1435:
	v_mov_b32_e32 v8, 0
	global_load_dwordx2 v[16:17], v8, s[44:45] offset:32 glc
	global_load_dwordx2 v[2:3], v8, s[44:45] offset:40
	v_mov_b32_e32 v14, s6
	v_mov_b32_e32 v15, s7
	s_waitcnt vmcnt(0)
	v_readfirstlane_b32 s16, v2
	v_readfirstlane_b32 s17, v3
	s_and_b64 s[16:17], s[16:17], s[6:7]
	s_mul_i32 s15, s17, 24
	s_mul_hi_u32 s17, s16, 24
	s_mul_i32 s16, s16, 24
	s_add_i32 s15, s17, s15
	v_mov_b32_e32 v2, s15
	v_add_co_u32_e32 v6, vcc, s16, v0
	v_addc_co_u32_e32 v7, vcc, v1, v2, vcc
	global_store_dwordx2 v[6:7], v[16:17], off
	s_waitcnt vmcnt(0)
	global_atomic_cmpswap_x2 v[2:3], v8, v[14:17], s[44:45] offset:32 glc
	s_waitcnt vmcnt(0)
	v_cmp_ne_u64_e32 vcc, v[2:3], v[16:17]
	s_and_saveexec_b64 s[16:17], vcc
	s_cbranch_execz .LBB10_1438
; %bb.1436:
	s_mov_b64 s[18:19], 0
.LBB10_1437:                            ; =>This Inner Loop Header: Depth=1
	s_sleep 1
	global_store_dwordx2 v[6:7], v[2:3], off
	v_mov_b32_e32 v0, s6
	v_mov_b32_e32 v1, s7
	s_waitcnt vmcnt(0)
	global_atomic_cmpswap_x2 v[0:1], v8, v[0:3], s[44:45] offset:32 glc
	s_waitcnt vmcnt(0)
	v_cmp_eq_u64_e32 vcc, v[0:1], v[2:3]
	v_mov_b32_e32 v3, v1
	s_or_b64 s[18:19], vcc, s[18:19]
	v_mov_b32_e32 v2, v0
	s_andn2_b64 exec, exec, s[18:19]
	s_cbranch_execnz .LBB10_1437
.LBB10_1438:
	s_or_b64 exec, exec, s[16:17]
	v_mov_b32_e32 v3, 0
	global_load_dwordx2 v[0:1], v3, s[44:45] offset:16
	s_mov_b64 s[16:17], exec
	v_mbcnt_lo_u32_b32 v2, s16, 0
	v_mbcnt_hi_u32_b32 v2, s17, v2
	v_cmp_eq_u32_e32 vcc, 0, v2
	s_and_saveexec_b64 s[18:19], vcc
	s_cbranch_execz .LBB10_1440
; %bb.1439:
	s_bcnt1_i32_b64 s15, s[16:17]
	v_mov_b32_e32 v2, s15
	s_waitcnt vmcnt(0)
	global_atomic_add_x2 v[0:1], v[2:3], off offset:8
.LBB10_1440:
	s_or_b64 exec, exec, s[18:19]
	s_waitcnt vmcnt(0)
	global_load_dwordx2 v[2:3], v[0:1], off offset:16
	s_waitcnt vmcnt(0)
	v_cmp_eq_u64_e32 vcc, 0, v[2:3]
	s_cbranch_vccnz .LBB10_1442
; %bb.1441:
	global_load_dword v0, v[0:1], off offset:24
	v_mov_b32_e32 v1, 0
	s_waitcnt vmcnt(0)
	global_store_dwordx2 v[2:3], v[0:1], off
	v_and_b32_e32 v0, 0xffffff, v0
	v_readfirstlane_b32 m0, v0
	s_sendmsg sendmsg(MSG_INTERRUPT)
.LBB10_1442:
	s_or_b64 exec, exec, s[10:11]
	s_branch .LBB10_1446
.LBB10_1443:                            ;   in Loop: Header=BB10_1446 Depth=1
	s_or_b64 exec, exec, s[10:11]
	v_readfirstlane_b32 s10, v0
	s_cmp_eq_u32 s10, 0
	s_cbranch_scc1 .LBB10_1445
; %bb.1444:                             ;   in Loop: Header=BB10_1446 Depth=1
	s_sleep 1
	s_cbranch_execnz .LBB10_1446
	s_branch .LBB10_1448
.LBB10_1445:
	s_branch .LBB10_1448
.LBB10_1446:                            ; =>This Inner Loop Header: Depth=1
	v_mov_b32_e32 v0, 1
	s_and_saveexec_b64 s[10:11], s[4:5]
	s_cbranch_execz .LBB10_1443
; %bb.1447:                             ;   in Loop: Header=BB10_1446 Depth=1
	global_load_dword v0, v[10:11], off offset:20 glc
	s_waitcnt vmcnt(0)
	buffer_wbinvl1_vol
	v_and_b32_e32 v0, 1, v0
	s_branch .LBB10_1443
.LBB10_1448:
	global_load_dwordx2 v[0:1], v[12:13], off
	s_and_saveexec_b64 s[10:11], s[4:5]
	s_cbranch_execz .LBB10_1451
; %bb.1449:
	v_mov_b32_e32 v10, 0
	global_load_dwordx2 v[2:3], v10, s[44:45] offset:40
	global_load_dwordx2 v[11:12], v10, s[44:45] offset:24 glc
	global_load_dwordx2 v[13:14], v10, s[44:45]
	v_mov_b32_e32 v7, s7
	s_mov_b64 s[4:5], 0
	s_waitcnt vmcnt(2)
	v_add_co_u32_e32 v8, vcc, 1, v2
	v_addc_co_u32_e32 v9, vcc, 0, v3, vcc
	v_add_co_u32_e32 v6, vcc, s6, v8
	v_addc_co_u32_e32 v7, vcc, v9, v7, vcc
	v_cmp_eq_u64_e32 vcc, 0, v[6:7]
	v_cndmask_b32_e32 v7, v7, v9, vcc
	v_cndmask_b32_e32 v6, v6, v8, vcc
	v_and_b32_e32 v3, v7, v3
	v_and_b32_e32 v2, v6, v2
	v_mul_lo_u32 v3, v3, 24
	v_mul_hi_u32 v9, v2, 24
	v_mul_lo_u32 v2, v2, 24
	s_waitcnt vmcnt(1)
	v_mov_b32_e32 v8, v11
	v_add_u32_e32 v3, v9, v3
	s_waitcnt vmcnt(0)
	v_add_co_u32_e32 v2, vcc, v13, v2
	v_addc_co_u32_e32 v3, vcc, v14, v3, vcc
	global_store_dwordx2 v[2:3], v[11:12], off
	v_mov_b32_e32 v9, v12
	s_waitcnt vmcnt(0)
	global_atomic_cmpswap_x2 v[8:9], v10, v[6:9], s[44:45] offset:24 glc
	s_waitcnt vmcnt(0)
	v_cmp_ne_u64_e32 vcc, v[8:9], v[11:12]
	s_and_b64 exec, exec, vcc
	s_cbranch_execz .LBB10_1451
.LBB10_1450:                            ; =>This Inner Loop Header: Depth=1
	s_sleep 1
	global_store_dwordx2 v[2:3], v[8:9], off
	s_waitcnt vmcnt(0)
	global_atomic_cmpswap_x2 v[11:12], v10, v[6:9], s[44:45] offset:24 glc
	s_waitcnt vmcnt(0)
	v_cmp_eq_u64_e32 vcc, v[11:12], v[8:9]
	v_mov_b32_e32 v8, v11
	s_or_b64 s[4:5], vcc, s[4:5]
	v_mov_b32_e32 v9, v12
	s_andn2_b64 exec, exec, s[4:5]
	s_cbranch_execnz .LBB10_1450
.LBB10_1451:
	s_or_b64 exec, exec, s[10:11]
.LBB10_1452:
	s_getpc_b64 s[6:7]
	s_add_u32 s6, s6, .str.4@rel32@lo+4
	s_addc_u32 s7, s7, .str.4@rel32@hi+12
	s_cmp_lg_u64 s[6:7], 0
	s_cbranch_scc0 .LBB10_1537
; %bb.1453:
	s_waitcnt vmcnt(0)
	v_and_b32_e32 v10, -3, v0
	v_mov_b32_e32 v11, v1
	s_mov_b64 s[10:11], 13
	v_mov_b32_e32 v3, 0
	v_mov_b32_e32 v8, 2
	;; [unrolled: 1-line block ×3, first 2 shown]
	s_branch .LBB10_1455
.LBB10_1454:                            ;   in Loop: Header=BB10_1455 Depth=1
	s_or_b64 exec, exec, s[20:21]
	s_sub_u32 s10, s10, s16
	s_subb_u32 s11, s11, s17
	s_add_u32 s6, s6, s16
	s_addc_u32 s7, s7, s17
	s_cmp_lg_u64 s[10:11], 0
	s_cbranch_scc0 .LBB10_1536
.LBB10_1455:                            ; =>This Loop Header: Depth=1
                                        ;     Child Loop BB10_1458 Depth 2
                                        ;     Child Loop BB10_1465 Depth 2
	;; [unrolled: 1-line block ×11, first 2 shown]
	v_cmp_lt_u64_e64 s[4:5], s[10:11], 56
	v_cmp_gt_u64_e64 s[18:19], s[10:11], 7
	s_and_b64 s[4:5], s[4:5], exec
	s_cselect_b32 s17, s11, 0
	s_cselect_b32 s16, s10, 56
	s_and_b64 vcc, exec, s[18:19]
	s_cbranch_vccnz .LBB10_1460
; %bb.1456:                             ;   in Loop: Header=BB10_1455 Depth=1
	s_waitcnt vmcnt(0)
	v_mov_b32_e32 v12, 0
	s_cmp_eq_u64 s[10:11], 0
	v_mov_b32_e32 v13, 0
	s_mov_b64 s[4:5], 0
	s_cbranch_scc1 .LBB10_1459
; %bb.1457:                             ;   in Loop: Header=BB10_1455 Depth=1
	v_mov_b32_e32 v12, 0
	s_lshl_b64 s[18:19], s[16:17], 3
	s_mov_b64 s[20:21], 0
	v_mov_b32_e32 v13, 0
	s_mov_b64 s[22:23], s[6:7]
.LBB10_1458:                            ;   Parent Loop BB10_1455 Depth=1
                                        ; =>  This Inner Loop Header: Depth=2
	global_load_ubyte v2, v3, s[22:23]
	s_waitcnt vmcnt(0)
	v_and_b32_e32 v2, 0xffff, v2
	v_lshlrev_b64 v[6:7], s20, v[2:3]
	s_add_u32 s20, s20, 8
	s_addc_u32 s21, s21, 0
	s_add_u32 s22, s22, 1
	s_addc_u32 s23, s23, 0
	v_or_b32_e32 v12, v6, v12
	s_cmp_lg_u32 s18, s20
	v_or_b32_e32 v13, v7, v13
	s_cbranch_scc1 .LBB10_1458
.LBB10_1459:                            ;   in Loop: Header=BB10_1455 Depth=1
	s_mov_b32 s15, 0
	s_andn2_b64 vcc, exec, s[4:5]
	s_mov_b64 s[4:5], s[6:7]
	s_cbranch_vccz .LBB10_1461
	s_branch .LBB10_1462
.LBB10_1460:                            ;   in Loop: Header=BB10_1455 Depth=1
                                        ; implicit-def: $sgpr15
	s_mov_b64 s[4:5], s[6:7]
.LBB10_1461:                            ;   in Loop: Header=BB10_1455 Depth=1
	global_load_dwordx2 v[12:13], v3, s[6:7]
	s_add_i32 s15, s16, -8
	s_add_u32 s4, s6, 8
	s_addc_u32 s5, s7, 0
.LBB10_1462:                            ;   in Loop: Header=BB10_1455 Depth=1
	s_cmp_gt_u32 s15, 7
	s_cbranch_scc1 .LBB10_1466
; %bb.1463:                             ;   in Loop: Header=BB10_1455 Depth=1
	s_cmp_eq_u32 s15, 0
	s_cbranch_scc1 .LBB10_1467
; %bb.1464:                             ;   in Loop: Header=BB10_1455 Depth=1
	v_mov_b32_e32 v14, 0
	s_mov_b64 s[18:19], 0
	v_mov_b32_e32 v15, 0
	s_mov_b64 s[20:21], 0
.LBB10_1465:                            ;   Parent Loop BB10_1455 Depth=1
                                        ; =>  This Inner Loop Header: Depth=2
	s_add_u32 s22, s4, s20
	s_addc_u32 s23, s5, s21
	global_load_ubyte v2, v3, s[22:23]
	s_add_u32 s20, s20, 1
	s_addc_u32 s21, s21, 0
	s_waitcnt vmcnt(0)
	v_and_b32_e32 v2, 0xffff, v2
	v_lshlrev_b64 v[6:7], s18, v[2:3]
	s_add_u32 s18, s18, 8
	s_addc_u32 s19, s19, 0
	v_or_b32_e32 v14, v6, v14
	s_cmp_lg_u32 s15, s20
	v_or_b32_e32 v15, v7, v15
	s_cbranch_scc1 .LBB10_1465
	s_branch .LBB10_1468
.LBB10_1466:                            ;   in Loop: Header=BB10_1455 Depth=1
                                        ; implicit-def: $vgpr14_vgpr15
                                        ; implicit-def: $sgpr22
	s_branch .LBB10_1469
.LBB10_1467:                            ;   in Loop: Header=BB10_1455 Depth=1
	v_mov_b32_e32 v14, 0
	v_mov_b32_e32 v15, 0
.LBB10_1468:                            ;   in Loop: Header=BB10_1455 Depth=1
	s_mov_b32 s22, 0
	s_cbranch_execnz .LBB10_1470
.LBB10_1469:                            ;   in Loop: Header=BB10_1455 Depth=1
	global_load_dwordx2 v[14:15], v3, s[4:5]
	s_add_i32 s22, s15, -8
	s_add_u32 s4, s4, 8
	s_addc_u32 s5, s5, 0
.LBB10_1470:                            ;   in Loop: Header=BB10_1455 Depth=1
	s_cmp_gt_u32 s22, 7
	s_cbranch_scc1 .LBB10_1474
; %bb.1471:                             ;   in Loop: Header=BB10_1455 Depth=1
	s_cmp_eq_u32 s22, 0
	s_cbranch_scc1 .LBB10_1475
; %bb.1472:                             ;   in Loop: Header=BB10_1455 Depth=1
	v_mov_b32_e32 v16, 0
	s_mov_b64 s[18:19], 0
	v_mov_b32_e32 v17, 0
	s_mov_b64 s[20:21], 0
.LBB10_1473:                            ;   Parent Loop BB10_1455 Depth=1
                                        ; =>  This Inner Loop Header: Depth=2
	s_add_u32 s24, s4, s20
	s_addc_u32 s25, s5, s21
	global_load_ubyte v2, v3, s[24:25]
	s_add_u32 s20, s20, 1
	s_addc_u32 s21, s21, 0
	s_waitcnt vmcnt(0)
	v_and_b32_e32 v2, 0xffff, v2
	v_lshlrev_b64 v[6:7], s18, v[2:3]
	s_add_u32 s18, s18, 8
	s_addc_u32 s19, s19, 0
	v_or_b32_e32 v16, v6, v16
	s_cmp_lg_u32 s22, s20
	v_or_b32_e32 v17, v7, v17
	s_cbranch_scc1 .LBB10_1473
	s_branch .LBB10_1476
.LBB10_1474:                            ;   in Loop: Header=BB10_1455 Depth=1
                                        ; implicit-def: $sgpr15
	s_branch .LBB10_1477
.LBB10_1475:                            ;   in Loop: Header=BB10_1455 Depth=1
	v_mov_b32_e32 v16, 0
	v_mov_b32_e32 v17, 0
.LBB10_1476:                            ;   in Loop: Header=BB10_1455 Depth=1
	s_mov_b32 s15, 0
	s_cbranch_execnz .LBB10_1478
.LBB10_1477:                            ;   in Loop: Header=BB10_1455 Depth=1
	global_load_dwordx2 v[16:17], v3, s[4:5]
	s_add_i32 s15, s22, -8
	s_add_u32 s4, s4, 8
	s_addc_u32 s5, s5, 0
.LBB10_1478:                            ;   in Loop: Header=BB10_1455 Depth=1
	s_cmp_gt_u32 s15, 7
	s_cbranch_scc1 .LBB10_1482
; %bb.1479:                             ;   in Loop: Header=BB10_1455 Depth=1
	s_cmp_eq_u32 s15, 0
	s_cbranch_scc1 .LBB10_1483
; %bb.1480:                             ;   in Loop: Header=BB10_1455 Depth=1
	v_mov_b32_e32 v18, 0
	s_mov_b64 s[18:19], 0
	v_mov_b32_e32 v19, 0
	s_mov_b64 s[20:21], 0
.LBB10_1481:                            ;   Parent Loop BB10_1455 Depth=1
                                        ; =>  This Inner Loop Header: Depth=2
	s_add_u32 s22, s4, s20
	s_addc_u32 s23, s5, s21
	global_load_ubyte v2, v3, s[22:23]
	s_add_u32 s20, s20, 1
	s_addc_u32 s21, s21, 0
	s_waitcnt vmcnt(0)
	v_and_b32_e32 v2, 0xffff, v2
	v_lshlrev_b64 v[6:7], s18, v[2:3]
	s_add_u32 s18, s18, 8
	s_addc_u32 s19, s19, 0
	v_or_b32_e32 v18, v6, v18
	s_cmp_lg_u32 s15, s20
	v_or_b32_e32 v19, v7, v19
	s_cbranch_scc1 .LBB10_1481
	s_branch .LBB10_1484
.LBB10_1482:                            ;   in Loop: Header=BB10_1455 Depth=1
                                        ; implicit-def: $vgpr18_vgpr19
                                        ; implicit-def: $sgpr22
	s_branch .LBB10_1485
.LBB10_1483:                            ;   in Loop: Header=BB10_1455 Depth=1
	v_mov_b32_e32 v18, 0
	v_mov_b32_e32 v19, 0
.LBB10_1484:                            ;   in Loop: Header=BB10_1455 Depth=1
	s_mov_b32 s22, 0
	s_cbranch_execnz .LBB10_1486
.LBB10_1485:                            ;   in Loop: Header=BB10_1455 Depth=1
	global_load_dwordx2 v[18:19], v3, s[4:5]
	s_add_i32 s22, s15, -8
	s_add_u32 s4, s4, 8
	s_addc_u32 s5, s5, 0
.LBB10_1486:                            ;   in Loop: Header=BB10_1455 Depth=1
	s_cmp_gt_u32 s22, 7
	s_cbranch_scc1 .LBB10_1490
; %bb.1487:                             ;   in Loop: Header=BB10_1455 Depth=1
	s_cmp_eq_u32 s22, 0
	s_cbranch_scc1 .LBB10_1491
; %bb.1488:                             ;   in Loop: Header=BB10_1455 Depth=1
	v_mov_b32_e32 v20, 0
	s_mov_b64 s[18:19], 0
	v_mov_b32_e32 v21, 0
	s_mov_b64 s[20:21], 0
.LBB10_1489:                            ;   Parent Loop BB10_1455 Depth=1
                                        ; =>  This Inner Loop Header: Depth=2
	s_add_u32 s24, s4, s20
	s_addc_u32 s25, s5, s21
	global_load_ubyte v2, v3, s[24:25]
	s_add_u32 s20, s20, 1
	s_addc_u32 s21, s21, 0
	s_waitcnt vmcnt(0)
	v_and_b32_e32 v2, 0xffff, v2
	v_lshlrev_b64 v[6:7], s18, v[2:3]
	s_add_u32 s18, s18, 8
	s_addc_u32 s19, s19, 0
	v_or_b32_e32 v20, v6, v20
	s_cmp_lg_u32 s22, s20
	v_or_b32_e32 v21, v7, v21
	s_cbranch_scc1 .LBB10_1489
	s_branch .LBB10_1492
.LBB10_1490:                            ;   in Loop: Header=BB10_1455 Depth=1
                                        ; implicit-def: $sgpr15
	s_branch .LBB10_1493
.LBB10_1491:                            ;   in Loop: Header=BB10_1455 Depth=1
	v_mov_b32_e32 v20, 0
	v_mov_b32_e32 v21, 0
.LBB10_1492:                            ;   in Loop: Header=BB10_1455 Depth=1
	s_mov_b32 s15, 0
	s_cbranch_execnz .LBB10_1494
.LBB10_1493:                            ;   in Loop: Header=BB10_1455 Depth=1
	global_load_dwordx2 v[20:21], v3, s[4:5]
	s_add_i32 s15, s22, -8
	s_add_u32 s4, s4, 8
	s_addc_u32 s5, s5, 0
.LBB10_1494:                            ;   in Loop: Header=BB10_1455 Depth=1
	s_cmp_gt_u32 s15, 7
	s_cbranch_scc1 .LBB10_1498
; %bb.1495:                             ;   in Loop: Header=BB10_1455 Depth=1
	s_cmp_eq_u32 s15, 0
	s_cbranch_scc1 .LBB10_1499
; %bb.1496:                             ;   in Loop: Header=BB10_1455 Depth=1
	v_mov_b32_e32 v22, 0
	s_mov_b64 s[18:19], 0
	v_mov_b32_e32 v23, 0
	s_mov_b64 s[20:21], 0
.LBB10_1497:                            ;   Parent Loop BB10_1455 Depth=1
                                        ; =>  This Inner Loop Header: Depth=2
	s_add_u32 s22, s4, s20
	s_addc_u32 s23, s5, s21
	global_load_ubyte v2, v3, s[22:23]
	s_add_u32 s20, s20, 1
	s_addc_u32 s21, s21, 0
	s_waitcnt vmcnt(0)
	v_and_b32_e32 v2, 0xffff, v2
	v_lshlrev_b64 v[6:7], s18, v[2:3]
	s_add_u32 s18, s18, 8
	s_addc_u32 s19, s19, 0
	v_or_b32_e32 v22, v6, v22
	s_cmp_lg_u32 s15, s20
	v_or_b32_e32 v23, v7, v23
	s_cbranch_scc1 .LBB10_1497
	s_branch .LBB10_1500
.LBB10_1498:                            ;   in Loop: Header=BB10_1455 Depth=1
                                        ; implicit-def: $vgpr22_vgpr23
                                        ; implicit-def: $sgpr22
	s_branch .LBB10_1501
.LBB10_1499:                            ;   in Loop: Header=BB10_1455 Depth=1
	v_mov_b32_e32 v22, 0
	v_mov_b32_e32 v23, 0
.LBB10_1500:                            ;   in Loop: Header=BB10_1455 Depth=1
	s_mov_b32 s22, 0
	s_cbranch_execnz .LBB10_1502
.LBB10_1501:                            ;   in Loop: Header=BB10_1455 Depth=1
	global_load_dwordx2 v[22:23], v3, s[4:5]
	s_add_i32 s22, s15, -8
	s_add_u32 s4, s4, 8
	s_addc_u32 s5, s5, 0
.LBB10_1502:                            ;   in Loop: Header=BB10_1455 Depth=1
	s_cmp_gt_u32 s22, 7
	s_cbranch_scc1 .LBB10_1506
; %bb.1503:                             ;   in Loop: Header=BB10_1455 Depth=1
	s_cmp_eq_u32 s22, 0
	s_cbranch_scc1 .LBB10_1507
; %bb.1504:                             ;   in Loop: Header=BB10_1455 Depth=1
	v_mov_b32_e32 v24, 0
	s_mov_b64 s[18:19], 0
	v_mov_b32_e32 v25, 0
	s_mov_b64 s[20:21], s[4:5]
.LBB10_1505:                            ;   Parent Loop BB10_1455 Depth=1
                                        ; =>  This Inner Loop Header: Depth=2
	global_load_ubyte v2, v3, s[20:21]
	s_add_i32 s22, s22, -1
	s_waitcnt vmcnt(0)
	v_and_b32_e32 v2, 0xffff, v2
	v_lshlrev_b64 v[6:7], s18, v[2:3]
	s_add_u32 s18, s18, 8
	s_addc_u32 s19, s19, 0
	s_add_u32 s20, s20, 1
	s_addc_u32 s21, s21, 0
	v_or_b32_e32 v24, v6, v24
	s_cmp_lg_u32 s22, 0
	v_or_b32_e32 v25, v7, v25
	s_cbranch_scc1 .LBB10_1505
	s_branch .LBB10_1508
.LBB10_1506:                            ;   in Loop: Header=BB10_1455 Depth=1
	s_branch .LBB10_1509
.LBB10_1507:                            ;   in Loop: Header=BB10_1455 Depth=1
	v_mov_b32_e32 v24, 0
	v_mov_b32_e32 v25, 0
.LBB10_1508:                            ;   in Loop: Header=BB10_1455 Depth=1
	s_cbranch_execnz .LBB10_1510
.LBB10_1509:                            ;   in Loop: Header=BB10_1455 Depth=1
	global_load_dwordx2 v[24:25], v3, s[4:5]
.LBB10_1510:                            ;   in Loop: Header=BB10_1455 Depth=1
	v_readfirstlane_b32 s4, v51
	v_mov_b32_e32 v6, 0
	v_mov_b32_e32 v7, 0
	v_cmp_eq_u32_e64 s[4:5], s4, v51
	s_and_saveexec_b64 s[18:19], s[4:5]
	s_cbranch_execz .LBB10_1516
; %bb.1511:                             ;   in Loop: Header=BB10_1455 Depth=1
	global_load_dwordx2 v[28:29], v3, s[44:45] offset:24 glc
	s_waitcnt vmcnt(0)
	buffer_wbinvl1_vol
	global_load_dwordx2 v[6:7], v3, s[44:45] offset:40
	global_load_dwordx2 v[26:27], v3, s[44:45]
	s_waitcnt vmcnt(1)
	v_and_b32_e32 v2, v6, v28
	v_and_b32_e32 v6, v7, v29
	v_mul_lo_u32 v6, v6, 24
	v_mul_hi_u32 v7, v2, 24
	v_mul_lo_u32 v2, v2, 24
	v_add_u32_e32 v7, v7, v6
	s_waitcnt vmcnt(0)
	v_add_co_u32_e32 v6, vcc, v26, v2
	v_addc_co_u32_e32 v7, vcc, v27, v7, vcc
	global_load_dwordx2 v[26:27], v[6:7], off glc
	s_waitcnt vmcnt(0)
	global_atomic_cmpswap_x2 v[6:7], v3, v[26:29], s[44:45] offset:24 glc
	s_waitcnt vmcnt(0)
	buffer_wbinvl1_vol
	v_cmp_ne_u64_e32 vcc, v[6:7], v[28:29]
	s_and_saveexec_b64 s[20:21], vcc
	s_cbranch_execz .LBB10_1515
; %bb.1512:                             ;   in Loop: Header=BB10_1455 Depth=1
	s_mov_b64 s[22:23], 0
.LBB10_1513:                            ;   Parent Loop BB10_1455 Depth=1
                                        ; =>  This Inner Loop Header: Depth=2
	s_sleep 1
	global_load_dwordx2 v[26:27], v3, s[44:45] offset:40
	global_load_dwordx2 v[30:31], v3, s[44:45]
	v_mov_b32_e32 v29, v7
	v_mov_b32_e32 v28, v6
	s_waitcnt vmcnt(1)
	v_and_b32_e32 v2, v26, v28
	s_waitcnt vmcnt(0)
	v_mad_u64_u32 v[6:7], s[24:25], v2, 24, v[30:31]
	v_and_b32_e32 v26, v27, v29
	v_mov_b32_e32 v2, v7
	v_mad_u64_u32 v[26:27], s[24:25], v26, 24, v[2:3]
	v_mov_b32_e32 v7, v26
	global_load_dwordx2 v[26:27], v[6:7], off glc
	s_waitcnt vmcnt(0)
	global_atomic_cmpswap_x2 v[6:7], v3, v[26:29], s[44:45] offset:24 glc
	s_waitcnt vmcnt(0)
	buffer_wbinvl1_vol
	v_cmp_eq_u64_e32 vcc, v[6:7], v[28:29]
	s_or_b64 s[22:23], vcc, s[22:23]
	s_andn2_b64 exec, exec, s[22:23]
	s_cbranch_execnz .LBB10_1513
; %bb.1514:                             ;   in Loop: Header=BB10_1455 Depth=1
	s_or_b64 exec, exec, s[22:23]
.LBB10_1515:                            ;   in Loop: Header=BB10_1455 Depth=1
	s_or_b64 exec, exec, s[20:21]
.LBB10_1516:                            ;   in Loop: Header=BB10_1455 Depth=1
	s_or_b64 exec, exec, s[18:19]
	global_load_dwordx2 v[30:31], v3, s[44:45] offset:40
	global_load_dwordx4 v[26:29], v3, s[44:45]
	v_readfirstlane_b32 s18, v6
	v_readfirstlane_b32 s19, v7
	s_mov_b64 s[20:21], exec
	s_waitcnt vmcnt(1)
	v_readfirstlane_b32 s22, v30
	v_readfirstlane_b32 s23, v31
	s_and_b64 s[22:23], s[18:19], s[22:23]
	s_mul_i32 s15, s23, 24
	s_mul_hi_u32 s24, s22, 24
	s_mul_i32 s25, s22, 24
	s_add_i32 s15, s24, s15
	v_mov_b32_e32 v2, s15
	s_waitcnt vmcnt(0)
	v_add_co_u32_e32 v30, vcc, s25, v26
	v_addc_co_u32_e32 v31, vcc, v27, v2, vcc
	s_and_saveexec_b64 s[24:25], s[4:5]
	s_cbranch_execz .LBB10_1518
; %bb.1517:                             ;   in Loop: Header=BB10_1455 Depth=1
	v_mov_b32_e32 v6, s20
	v_mov_b32_e32 v7, s21
	global_store_dwordx4 v[30:31], v[6:9], off offset:8
.LBB10_1518:                            ;   in Loop: Header=BB10_1455 Depth=1
	s_or_b64 exec, exec, s[24:25]
	s_lshl_b64 s[20:21], s[22:23], 12
	v_mov_b32_e32 v2, s21
	v_add_co_u32_e32 v28, vcc, s20, v28
	v_addc_co_u32_e32 v29, vcc, v29, v2, vcc
	v_cmp_gt_u64_e64 vcc, s[10:11], 56
	v_or_b32_e32 v2, 2, v10
	s_lshl_b32 s15, s16, 2
	v_cndmask_b32_e32 v2, v2, v10, vcc
	s_add_i32 s15, s15, 28
	s_and_b32 s15, s15, 0x1e0
	v_and_b32_e32 v2, 0xffffff1f, v2
	v_or_b32_e32 v10, s15, v2
	v_readfirstlane_b32 s20, v28
	v_readfirstlane_b32 s21, v29
	s_nop 4
	global_store_dwordx4 v50, v[10:13], s[20:21]
	global_store_dwordx4 v50, v[14:17], s[20:21] offset:16
	global_store_dwordx4 v50, v[18:21], s[20:21] offset:32
	;; [unrolled: 1-line block ×3, first 2 shown]
	s_and_saveexec_b64 s[20:21], s[4:5]
	s_cbranch_execz .LBB10_1526
; %bb.1519:                             ;   in Loop: Header=BB10_1455 Depth=1
	global_load_dwordx2 v[14:15], v3, s[44:45] offset:32 glc
	global_load_dwordx2 v[6:7], v3, s[44:45] offset:40
	v_mov_b32_e32 v12, s18
	v_mov_b32_e32 v13, s19
	s_waitcnt vmcnt(0)
	v_readfirstlane_b32 s22, v6
	v_readfirstlane_b32 s23, v7
	s_and_b64 s[22:23], s[22:23], s[18:19]
	s_mul_i32 s15, s23, 24
	s_mul_hi_u32 s23, s22, 24
	s_mul_i32 s22, s22, 24
	s_add_i32 s15, s23, s15
	v_mov_b32_e32 v2, s15
	v_add_co_u32_e32 v6, vcc, s22, v26
	v_addc_co_u32_e32 v7, vcc, v27, v2, vcc
	global_store_dwordx2 v[6:7], v[14:15], off
	s_waitcnt vmcnt(0)
	global_atomic_cmpswap_x2 v[12:13], v3, v[12:15], s[44:45] offset:32 glc
	s_waitcnt vmcnt(0)
	v_cmp_ne_u64_e32 vcc, v[12:13], v[14:15]
	s_and_saveexec_b64 s[22:23], vcc
	s_cbranch_execz .LBB10_1522
; %bb.1520:                             ;   in Loop: Header=BB10_1455 Depth=1
	s_mov_b64 s[24:25], 0
.LBB10_1521:                            ;   Parent Loop BB10_1455 Depth=1
                                        ; =>  This Inner Loop Header: Depth=2
	s_sleep 1
	global_store_dwordx2 v[6:7], v[12:13], off
	v_mov_b32_e32 v10, s18
	v_mov_b32_e32 v11, s19
	s_waitcnt vmcnt(0)
	global_atomic_cmpswap_x2 v[10:11], v3, v[10:13], s[44:45] offset:32 glc
	s_waitcnt vmcnt(0)
	v_cmp_eq_u64_e32 vcc, v[10:11], v[12:13]
	v_mov_b32_e32 v13, v11
	s_or_b64 s[24:25], vcc, s[24:25]
	v_mov_b32_e32 v12, v10
	s_andn2_b64 exec, exec, s[24:25]
	s_cbranch_execnz .LBB10_1521
.LBB10_1522:                            ;   in Loop: Header=BB10_1455 Depth=1
	s_or_b64 exec, exec, s[22:23]
	global_load_dwordx2 v[6:7], v3, s[44:45] offset:16
	s_mov_b64 s[24:25], exec
	v_mbcnt_lo_u32_b32 v2, s24, 0
	v_mbcnt_hi_u32_b32 v2, s25, v2
	v_cmp_eq_u32_e32 vcc, 0, v2
	s_and_saveexec_b64 s[22:23], vcc
	s_cbranch_execz .LBB10_1524
; %bb.1523:                             ;   in Loop: Header=BB10_1455 Depth=1
	s_bcnt1_i32_b64 s15, s[24:25]
	v_mov_b32_e32 v2, s15
	s_waitcnt vmcnt(0)
	global_atomic_add_x2 v[6:7], v[2:3], off offset:8
.LBB10_1524:                            ;   in Loop: Header=BB10_1455 Depth=1
	s_or_b64 exec, exec, s[22:23]
	s_waitcnt vmcnt(0)
	global_load_dwordx2 v[10:11], v[6:7], off offset:16
	s_waitcnt vmcnt(0)
	v_cmp_eq_u64_e32 vcc, 0, v[10:11]
	s_cbranch_vccnz .LBB10_1526
; %bb.1525:                             ;   in Loop: Header=BB10_1455 Depth=1
	global_load_dword v2, v[6:7], off offset:24
	s_waitcnt vmcnt(0)
	global_store_dwordx2 v[10:11], v[2:3], off
	v_and_b32_e32 v2, 0xffffff, v2
	v_readfirstlane_b32 m0, v2
	s_sendmsg sendmsg(MSG_INTERRUPT)
.LBB10_1526:                            ;   in Loop: Header=BB10_1455 Depth=1
	s_or_b64 exec, exec, s[20:21]
	v_add_co_u32_e32 v6, vcc, v28, v50
	v_addc_co_u32_e32 v7, vcc, 0, v29, vcc
	s_branch .LBB10_1530
.LBB10_1527:                            ;   in Loop: Header=BB10_1530 Depth=2
	s_or_b64 exec, exec, s[20:21]
	v_readfirstlane_b32 s15, v2
	s_cmp_eq_u32 s15, 0
	s_cbranch_scc1 .LBB10_1529
; %bb.1528:                             ;   in Loop: Header=BB10_1530 Depth=2
	s_sleep 1
	s_cbranch_execnz .LBB10_1530
	s_branch .LBB10_1532
.LBB10_1529:                            ;   in Loop: Header=BB10_1455 Depth=1
	s_branch .LBB10_1532
.LBB10_1530:                            ;   Parent Loop BB10_1455 Depth=1
                                        ; =>  This Inner Loop Header: Depth=2
	v_mov_b32_e32 v2, 1
	s_and_saveexec_b64 s[20:21], s[4:5]
	s_cbranch_execz .LBB10_1527
; %bb.1531:                             ;   in Loop: Header=BB10_1530 Depth=2
	global_load_dword v2, v[30:31], off offset:20 glc
	s_waitcnt vmcnt(0)
	buffer_wbinvl1_vol
	v_and_b32_e32 v2, 1, v2
	s_branch .LBB10_1527
.LBB10_1532:                            ;   in Loop: Header=BB10_1455 Depth=1
	global_load_dwordx4 v[10:13], v[6:7], off
	s_and_saveexec_b64 s[20:21], s[4:5]
	s_cbranch_execz .LBB10_1454
; %bb.1533:                             ;   in Loop: Header=BB10_1455 Depth=1
	global_load_dwordx2 v[6:7], v3, s[44:45] offset:40
	global_load_dwordx2 v[16:17], v3, s[44:45] offset:24 glc
	global_load_dwordx2 v[18:19], v3, s[44:45]
	v_mov_b32_e32 v2, s19
	s_waitcnt vmcnt(2)
	v_add_co_u32_e32 v14, vcc, 1, v6
	v_addc_co_u32_e32 v15, vcc, 0, v7, vcc
	v_add_co_u32_e32 v12, vcc, s18, v14
	v_addc_co_u32_e32 v13, vcc, v15, v2, vcc
	v_cmp_eq_u64_e32 vcc, 0, v[12:13]
	v_cndmask_b32_e32 v13, v13, v15, vcc
	v_cndmask_b32_e32 v12, v12, v14, vcc
	v_and_b32_e32 v2, v13, v7
	v_and_b32_e32 v6, v12, v6
	v_mul_lo_u32 v2, v2, 24
	v_mul_hi_u32 v7, v6, 24
	v_mul_lo_u32 v6, v6, 24
	s_waitcnt vmcnt(1)
	v_mov_b32_e32 v14, v16
	v_mov_b32_e32 v15, v17
	v_add_u32_e32 v2, v7, v2
	s_waitcnt vmcnt(0)
	v_add_co_u32_e32 v6, vcc, v18, v6
	v_addc_co_u32_e32 v7, vcc, v19, v2, vcc
	global_store_dwordx2 v[6:7], v[16:17], off
	s_waitcnt vmcnt(0)
	global_atomic_cmpswap_x2 v[14:15], v3, v[12:15], s[44:45] offset:24 glc
	s_waitcnt vmcnt(0)
	v_cmp_ne_u64_e32 vcc, v[14:15], v[16:17]
	s_and_b64 exec, exec, vcc
	s_cbranch_execz .LBB10_1454
; %bb.1534:                             ;   in Loop: Header=BB10_1455 Depth=1
	s_mov_b64 s[4:5], 0
.LBB10_1535:                            ;   Parent Loop BB10_1455 Depth=1
                                        ; =>  This Inner Loop Header: Depth=2
	s_sleep 1
	global_store_dwordx2 v[6:7], v[14:15], off
	s_waitcnt vmcnt(0)
	global_atomic_cmpswap_x2 v[16:17], v3, v[12:15], s[44:45] offset:24 glc
	s_waitcnt vmcnt(0)
	v_cmp_eq_u64_e32 vcc, v[16:17], v[14:15]
	v_mov_b32_e32 v14, v16
	s_or_b64 s[4:5], vcc, s[4:5]
	v_mov_b32_e32 v15, v17
	s_andn2_b64 exec, exec, s[4:5]
	s_cbranch_execnz .LBB10_1535
	s_branch .LBB10_1454
.LBB10_1536:
	s_mov_b64 s[4:5], 0
	s_branch .LBB10_1538
.LBB10_1537:
	s_mov_b64 s[4:5], -1
.LBB10_1538:
	s_mov_b32 s48, s12
	s_mov_b32 s49, s13
	s_mov_b32 s50, s14
	s_and_b64 vcc, exec, s[4:5]
	s_cbranch_vccz .LBB10_1565
; %bb.1539:
	v_readfirstlane_b32 s4, v51
	s_waitcnt vmcnt(0)
	v_mov_b32_e32 v10, 0
	v_mov_b32_e32 v11, 0
	v_cmp_eq_u32_e64 s[4:5], s4, v51
	s_and_saveexec_b64 s[6:7], s[4:5]
	s_cbranch_execz .LBB10_1545
; %bb.1540:
	v_mov_b32_e32 v2, 0
	global_load_dwordx2 v[8:9], v2, s[44:45] offset:24 glc
	s_waitcnt vmcnt(0)
	buffer_wbinvl1_vol
	global_load_dwordx2 v[6:7], v2, s[44:45] offset:40
	global_load_dwordx2 v[10:11], v2, s[44:45]
	s_waitcnt vmcnt(1)
	v_and_b32_e32 v3, v6, v8
	v_and_b32_e32 v6, v7, v9
	v_mul_lo_u32 v6, v6, 24
	v_mul_hi_u32 v7, v3, 24
	v_mul_lo_u32 v3, v3, 24
	v_add_u32_e32 v7, v7, v6
	s_waitcnt vmcnt(0)
	v_add_co_u32_e32 v6, vcc, v10, v3
	v_addc_co_u32_e32 v7, vcc, v11, v7, vcc
	global_load_dwordx2 v[6:7], v[6:7], off glc
	s_waitcnt vmcnt(0)
	global_atomic_cmpswap_x2 v[10:11], v2, v[6:9], s[44:45] offset:24 glc
	s_waitcnt vmcnt(0)
	buffer_wbinvl1_vol
	v_cmp_ne_u64_e32 vcc, v[10:11], v[8:9]
	s_and_saveexec_b64 s[10:11], vcc
	s_cbranch_execz .LBB10_1544
; %bb.1541:
	s_mov_b64 s[12:13], 0
.LBB10_1542:                            ; =>This Inner Loop Header: Depth=1
	s_sleep 1
	global_load_dwordx2 v[6:7], v2, s[44:45] offset:40
	global_load_dwordx2 v[12:13], v2, s[44:45]
	v_mov_b32_e32 v8, v10
	v_mov_b32_e32 v9, v11
	s_waitcnt vmcnt(1)
	v_and_b32_e32 v3, v6, v8
	s_waitcnt vmcnt(0)
	v_mad_u64_u32 v[10:11], s[14:15], v3, 24, v[12:13]
	v_and_b32_e32 v6, v7, v9
	v_mov_b32_e32 v3, v11
	v_mad_u64_u32 v[6:7], s[14:15], v6, 24, v[3:4]
	v_mov_b32_e32 v11, v6
	global_load_dwordx2 v[6:7], v[10:11], off glc
	s_waitcnt vmcnt(0)
	global_atomic_cmpswap_x2 v[10:11], v2, v[6:9], s[44:45] offset:24 glc
	s_waitcnt vmcnt(0)
	buffer_wbinvl1_vol
	v_cmp_eq_u64_e32 vcc, v[10:11], v[8:9]
	s_or_b64 s[12:13], vcc, s[12:13]
	s_andn2_b64 exec, exec, s[12:13]
	s_cbranch_execnz .LBB10_1542
; %bb.1543:
	s_or_b64 exec, exec, s[12:13]
.LBB10_1544:
	s_or_b64 exec, exec, s[10:11]
.LBB10_1545:
	s_or_b64 exec, exec, s[6:7]
	v_mov_b32_e32 v2, 0
	global_load_dwordx2 v[12:13], v2, s[44:45] offset:40
	global_load_dwordx4 v[6:9], v2, s[44:45]
	v_readfirstlane_b32 s6, v10
	v_readfirstlane_b32 s7, v11
	s_mov_b64 s[10:11], exec
	s_waitcnt vmcnt(1)
	v_readfirstlane_b32 s12, v12
	v_readfirstlane_b32 s13, v13
	s_and_b64 s[12:13], s[6:7], s[12:13]
	s_mul_i32 s14, s13, 24
	s_mul_hi_u32 s15, s12, 24
	s_mul_i32 s16, s12, 24
	s_add_i32 s14, s15, s14
	v_mov_b32_e32 v3, s14
	s_waitcnt vmcnt(0)
	v_add_co_u32_e32 v10, vcc, s16, v6
	v_addc_co_u32_e32 v11, vcc, v7, v3, vcc
	s_and_saveexec_b64 s[14:15], s[4:5]
	s_cbranch_execz .LBB10_1547
; %bb.1546:
	v_mov_b32_e32 v13, s11
	v_mov_b32_e32 v12, s10
	;; [unrolled: 1-line block ×4, first 2 shown]
	global_store_dwordx4 v[10:11], v[12:15], off offset:8
.LBB10_1547:
	s_or_b64 exec, exec, s[14:15]
	s_lshl_b64 s[10:11], s[12:13], 12
	v_mov_b32_e32 v3, s11
	v_add_co_u32_e32 v8, vcc, s10, v8
	v_addc_co_u32_e32 v9, vcc, v9, v3, vcc
	s_movk_i32 s10, 0xff1d
	v_and_or_b32 v0, v0, s10, 34
	s_mov_b32 s12, 0
	v_mov_b32_e32 v3, v2
	v_readfirstlane_b32 s10, v8
	v_readfirstlane_b32 s11, v9
	s_mov_b32 s13, s12
	s_mov_b32 s14, s12
	;; [unrolled: 1-line block ×3, first 2 shown]
	s_nop 1
	global_store_dwordx4 v50, v[0:3], s[10:11]
	s_nop 0
	v_mov_b32_e32 v0, s12
	v_mov_b32_e32 v1, s13
	;; [unrolled: 1-line block ×4, first 2 shown]
	global_store_dwordx4 v50, v[0:3], s[10:11] offset:16
	global_store_dwordx4 v50, v[0:3], s[10:11] offset:32
	;; [unrolled: 1-line block ×3, first 2 shown]
	s_and_saveexec_b64 s[10:11], s[4:5]
	s_cbranch_execz .LBB10_1555
; %bb.1548:
	v_mov_b32_e32 v8, 0
	global_load_dwordx2 v[14:15], v8, s[44:45] offset:32 glc
	global_load_dwordx2 v[0:1], v8, s[44:45] offset:40
	v_mov_b32_e32 v12, s6
	v_mov_b32_e32 v13, s7
	s_waitcnt vmcnt(0)
	v_readfirstlane_b32 s12, v0
	v_readfirstlane_b32 s13, v1
	s_and_b64 s[12:13], s[12:13], s[6:7]
	s_mul_i32 s13, s13, 24
	s_mul_hi_u32 s14, s12, 24
	s_mul_i32 s12, s12, 24
	s_add_i32 s13, s14, s13
	v_mov_b32_e32 v0, s13
	v_add_co_u32_e32 v6, vcc, s12, v6
	v_addc_co_u32_e32 v7, vcc, v7, v0, vcc
	global_store_dwordx2 v[6:7], v[14:15], off
	s_waitcnt vmcnt(0)
	global_atomic_cmpswap_x2 v[2:3], v8, v[12:15], s[44:45] offset:32 glc
	s_waitcnt vmcnt(0)
	v_cmp_ne_u64_e32 vcc, v[2:3], v[14:15]
	s_and_saveexec_b64 s[12:13], vcc
	s_cbranch_execz .LBB10_1551
; %bb.1549:
	s_mov_b64 s[14:15], 0
.LBB10_1550:                            ; =>This Inner Loop Header: Depth=1
	s_sleep 1
	global_store_dwordx2 v[6:7], v[2:3], off
	v_mov_b32_e32 v0, s6
	v_mov_b32_e32 v1, s7
	s_waitcnt vmcnt(0)
	global_atomic_cmpswap_x2 v[0:1], v8, v[0:3], s[44:45] offset:32 glc
	s_waitcnt vmcnt(0)
	v_cmp_eq_u64_e32 vcc, v[0:1], v[2:3]
	v_mov_b32_e32 v3, v1
	s_or_b64 s[14:15], vcc, s[14:15]
	v_mov_b32_e32 v2, v0
	s_andn2_b64 exec, exec, s[14:15]
	s_cbranch_execnz .LBB10_1550
.LBB10_1551:
	s_or_b64 exec, exec, s[12:13]
	v_mov_b32_e32 v3, 0
	global_load_dwordx2 v[0:1], v3, s[44:45] offset:16
	s_mov_b64 s[12:13], exec
	v_mbcnt_lo_u32_b32 v2, s12, 0
	v_mbcnt_hi_u32_b32 v2, s13, v2
	v_cmp_eq_u32_e32 vcc, 0, v2
	s_and_saveexec_b64 s[14:15], vcc
	s_cbranch_execz .LBB10_1553
; %bb.1552:
	s_bcnt1_i32_b64 s12, s[12:13]
	v_mov_b32_e32 v2, s12
	s_waitcnt vmcnt(0)
	global_atomic_add_x2 v[0:1], v[2:3], off offset:8
.LBB10_1553:
	s_or_b64 exec, exec, s[14:15]
	s_waitcnt vmcnt(0)
	global_load_dwordx2 v[2:3], v[0:1], off offset:16
	s_waitcnt vmcnt(0)
	v_cmp_eq_u64_e32 vcc, 0, v[2:3]
	s_cbranch_vccnz .LBB10_1555
; %bb.1554:
	global_load_dword v0, v[0:1], off offset:24
	v_mov_b32_e32 v1, 0
	s_waitcnt vmcnt(0)
	global_store_dwordx2 v[2:3], v[0:1], off
	v_and_b32_e32 v0, 0xffffff, v0
	v_readfirstlane_b32 m0, v0
	s_sendmsg sendmsg(MSG_INTERRUPT)
.LBB10_1555:
	s_or_b64 exec, exec, s[10:11]
	s_branch .LBB10_1559
.LBB10_1556:                            ;   in Loop: Header=BB10_1559 Depth=1
	s_or_b64 exec, exec, s[10:11]
	v_readfirstlane_b32 s10, v0
	s_cmp_eq_u32 s10, 0
	s_cbranch_scc1 .LBB10_1558
; %bb.1557:                             ;   in Loop: Header=BB10_1559 Depth=1
	s_sleep 1
	s_cbranch_execnz .LBB10_1559
	s_branch .LBB10_1561
.LBB10_1558:
	s_branch .LBB10_1561
.LBB10_1559:                            ; =>This Inner Loop Header: Depth=1
	v_mov_b32_e32 v0, 1
	s_and_saveexec_b64 s[10:11], s[4:5]
	s_cbranch_execz .LBB10_1556
; %bb.1560:                             ;   in Loop: Header=BB10_1559 Depth=1
	global_load_dword v0, v[10:11], off offset:20 glc
	s_waitcnt vmcnt(0)
	buffer_wbinvl1_vol
	v_and_b32_e32 v0, 1, v0
	s_branch .LBB10_1556
.LBB10_1561:
	s_and_saveexec_b64 s[10:11], s[4:5]
	s_cbranch_execz .LBB10_1564
; %bb.1562:
	v_mov_b32_e32 v8, 0
	global_load_dwordx2 v[2:3], v8, s[44:45] offset:40
	global_load_dwordx2 v[9:10], v8, s[44:45] offset:24 glc
	global_load_dwordx2 v[6:7], v8, s[44:45]
	v_mov_b32_e32 v1, s7
	s_mov_b64 s[4:5], 0
	s_waitcnt vmcnt(2)
	v_add_co_u32_e32 v11, vcc, 1, v2
	v_addc_co_u32_e32 v12, vcc, 0, v3, vcc
	v_add_co_u32_e32 v0, vcc, s6, v11
	v_addc_co_u32_e32 v1, vcc, v12, v1, vcc
	v_cmp_eq_u64_e32 vcc, 0, v[0:1]
	v_cndmask_b32_e32 v1, v1, v12, vcc
	v_cndmask_b32_e32 v0, v0, v11, vcc
	v_and_b32_e32 v3, v1, v3
	v_and_b32_e32 v2, v0, v2
	v_mul_lo_u32 v3, v3, 24
	v_mul_hi_u32 v11, v2, 24
	v_mul_lo_u32 v12, v2, 24
	s_waitcnt vmcnt(1)
	v_mov_b32_e32 v2, v9
	v_add_u32_e32 v3, v11, v3
	s_waitcnt vmcnt(0)
	v_add_co_u32_e32 v6, vcc, v6, v12
	v_addc_co_u32_e32 v7, vcc, v7, v3, vcc
	global_store_dwordx2 v[6:7], v[9:10], off
	v_mov_b32_e32 v3, v10
	s_waitcnt vmcnt(0)
	global_atomic_cmpswap_x2 v[2:3], v8, v[0:3], s[44:45] offset:24 glc
	s_waitcnt vmcnt(0)
	v_cmp_ne_u64_e32 vcc, v[2:3], v[9:10]
	s_and_b64 exec, exec, vcc
	s_cbranch_execz .LBB10_1564
.LBB10_1563:                            ; =>This Inner Loop Header: Depth=1
	s_sleep 1
	global_store_dwordx2 v[6:7], v[2:3], off
	s_waitcnt vmcnt(0)
	global_atomic_cmpswap_x2 v[9:10], v8, v[0:3], s[44:45] offset:24 glc
	s_waitcnt vmcnt(0)
	v_cmp_eq_u64_e32 vcc, v[9:10], v[2:3]
	v_mov_b32_e32 v2, v9
	s_or_b64 s[4:5], vcc, s[4:5]
	v_mov_b32_e32 v3, v10
	s_andn2_b64 exec, exec, s[4:5]
	s_cbranch_execnz .LBB10_1563
.LBB10_1564:
	s_or_b64 exec, exec, s[10:11]
.LBB10_1565:
	s_waitcnt vmcnt(0)
	v_mov_b32_e32 v0, v4
	v_mov_b32_e32 v1, v5
	s_getpc_b64 s[52:53]
	s_add_u32 s52, s52, _ZNK8migraphx13basic_printerIZNS_4coutEvEUlT_E_ElsEPKc@rel32@lo+4
	s_addc_u32 s53, s53, _ZNK8migraphx13basic_printerIZNS_4coutEvEUlT_E_ElsEPKc@rel32@hi+12
	s_mov_b64 s[38:39], s[8:9]
	s_swappc_b64 s[30:31], s[52:53]
	s_getpc_b64 s[4:5]
	s_add_u32 s4, s4, .str.5@rel32@lo+4
	s_addc_u32 s5, s5, .str.5@rel32@hi+12
	s_mov_b64 s[8:9], s[38:39]
	v_mov_b32_e32 v0, s4
	v_mov_b32_e32 v1, s5
	s_swappc_b64 s[30:31], s[52:53]
	s_mov_b64 s[8:9], s[38:39]
	v_mov_b32_e32 v0, v36
	v_mov_b32_e32 v1, v37
	s_getpc_b64 s[4:5]
	s_add_u32 s4, s4, _ZN8migraphx4testlsIKNS_13basic_printerIZNS_4coutEvEUlT_E_EEEERS3_S7_RKNS0_10expressionINS0_14lhs_expressionIiNS0_3nopEEEiNS0_5equalEEE@rel32@lo+4
	s_addc_u32 s5, s5, _ZN8migraphx4testlsIKNS_13basic_printerIZNS_4coutEvEUlT_E_EEEERS3_S7_RKNS0_10expressionINS0_14lhs_expressionIiNS0_3nopEEEiNS0_5equalEEE@rel32@hi+12
	s_swappc_b64 s[30:31], s[4:5]
	s_getpc_b64 s[4:5]
	s_add_u32 s4, s4, .str.6@rel32@lo+4
	s_addc_u32 s5, s5, .str.6@rel32@hi+12
	s_mov_b64 s[8:9], s[38:39]
	v_mov_b32_e32 v0, s4
	v_mov_b32_e32 v1, s5
	s_mov_b64 s[24:25], s[38:39]
	s_swappc_b64 s[30:31], s[52:53]
	v_readfirstlane_b32 s4, v51
	v_mov_b32_e32 v5, 0
	v_mov_b32_e32 v6, 0
	v_cmp_eq_u32_e64 s[4:5], s4, v51
	s_and_saveexec_b64 s[6:7], s[4:5]
	s_mov_b32 s14, s50
	s_mov_b32 s13, s49
	;; [unrolled: 1-line block ×3, first 2 shown]
	s_cbranch_execz .LBB10_1571
; %bb.1566:
	v_mov_b32_e32 v0, 0
	global_load_dwordx2 v[3:4], v0, s[44:45] offset:24 glc
	s_waitcnt vmcnt(0)
	buffer_wbinvl1_vol
	global_load_dwordx2 v[1:2], v0, s[44:45] offset:40
	global_load_dwordx2 v[5:6], v0, s[44:45]
	s_waitcnt vmcnt(1)
	v_and_b32_e32 v1, v1, v3
	v_and_b32_e32 v2, v2, v4
	v_mul_lo_u32 v2, v2, 24
	v_mul_hi_u32 v7, v1, 24
	v_mul_lo_u32 v1, v1, 24
	v_add_u32_e32 v2, v7, v2
	s_waitcnt vmcnt(0)
	v_add_co_u32_e32 v1, vcc, v5, v1
	v_addc_co_u32_e32 v2, vcc, v6, v2, vcc
	global_load_dwordx2 v[1:2], v[1:2], off glc
	s_waitcnt vmcnt(0)
	global_atomic_cmpswap_x2 v[5:6], v0, v[1:4], s[44:45] offset:24 glc
	s_waitcnt vmcnt(0)
	buffer_wbinvl1_vol
	v_cmp_ne_u64_e32 vcc, v[5:6], v[3:4]
	s_and_saveexec_b64 s[8:9], vcc
	s_cbranch_execz .LBB10_1570
; %bb.1567:
	s_mov_b64 s[10:11], 0
.LBB10_1568:                            ; =>This Inner Loop Header: Depth=1
	s_sleep 1
	global_load_dwordx2 v[1:2], v0, s[44:45] offset:40
	global_load_dwordx2 v[7:8], v0, s[44:45]
	v_mov_b32_e32 v3, v5
	v_mov_b32_e32 v4, v6
	s_waitcnt vmcnt(1)
	v_and_b32_e32 v1, v1, v3
	s_waitcnt vmcnt(0)
	v_mad_u64_u32 v[5:6], s[16:17], v1, 24, v[7:8]
	v_and_b32_e32 v2, v2, v4
	v_mov_b32_e32 v1, v6
	v_mad_u64_u32 v[1:2], s[16:17], v2, 24, v[1:2]
	v_mov_b32_e32 v6, v1
	global_load_dwordx2 v[1:2], v[5:6], off glc
	s_waitcnt vmcnt(0)
	global_atomic_cmpswap_x2 v[5:6], v0, v[1:4], s[44:45] offset:24 glc
	s_waitcnt vmcnt(0)
	buffer_wbinvl1_vol
	v_cmp_eq_u64_e32 vcc, v[5:6], v[3:4]
	s_or_b64 s[10:11], vcc, s[10:11]
	s_andn2_b64 exec, exec, s[10:11]
	s_cbranch_execnz .LBB10_1568
; %bb.1569:
	s_or_b64 exec, exec, s[10:11]
.LBB10_1570:
	s_or_b64 exec, exec, s[8:9]
.LBB10_1571:
	s_or_b64 exec, exec, s[6:7]
	v_mov_b32_e32 v4, 0
	global_load_dwordx2 v[7:8], v4, s[44:45] offset:40
	global_load_dwordx4 v[0:3], v4, s[44:45]
	v_readfirstlane_b32 s6, v5
	v_readfirstlane_b32 s7, v6
	s_mov_b64 s[8:9], exec
	s_waitcnt vmcnt(1)
	v_readfirstlane_b32 s10, v7
	v_readfirstlane_b32 s11, v8
	s_and_b64 s[10:11], s[6:7], s[10:11]
	s_mul_i32 s15, s11, 24
	s_mul_hi_u32 s16, s10, 24
	s_mul_i32 s17, s10, 24
	s_add_i32 s15, s16, s15
	v_mov_b32_e32 v5, s15
	s_waitcnt vmcnt(0)
	v_add_co_u32_e32 v7, vcc, s17, v0
	v_addc_co_u32_e32 v8, vcc, v1, v5, vcc
	s_and_saveexec_b64 s[16:17], s[4:5]
	s_cbranch_execz .LBB10_1573
; %bb.1572:
	v_mov_b32_e32 v10, s9
	v_mov_b32_e32 v9, s8
	;; [unrolled: 1-line block ×4, first 2 shown]
	global_store_dwordx4 v[7:8], v[9:12], off offset:8
.LBB10_1573:
	s_or_b64 exec, exec, s[16:17]
	s_lshl_b64 s[8:9], s[10:11], 12
	v_mov_b32_e32 v5, s9
	v_add_co_u32_e32 v2, vcc, s8, v2
	v_addc_co_u32_e32 v11, vcc, v3, v5, vcc
	s_mov_b32 s8, 0
	v_mov_b32_e32 v3, 33
	v_mov_b32_e32 v5, v4
	;; [unrolled: 1-line block ×3, first 2 shown]
	v_readfirstlane_b32 s16, v2
	v_readfirstlane_b32 s17, v11
	v_add_co_u32_e32 v9, vcc, v2, v50
	s_mov_b32 s9, s8
	s_mov_b32 s10, s8
	;; [unrolled: 1-line block ×3, first 2 shown]
	s_nop 0
	global_store_dwordx4 v50, v[3:6], s[16:17]
	v_mov_b32_e32 v2, s8
	v_addc_co_u32_e32 v10, vcc, 0, v11, vcc
	v_mov_b32_e32 v3, s9
	v_mov_b32_e32 v4, s10
	;; [unrolled: 1-line block ×3, first 2 shown]
	global_store_dwordx4 v50, v[2:5], s[16:17] offset:16
	global_store_dwordx4 v50, v[2:5], s[16:17] offset:32
	global_store_dwordx4 v50, v[2:5], s[16:17] offset:48
	s_and_saveexec_b64 s[10:11], s[4:5]
	s_mov_b64 s[8:9], s[24:25]
	s_cbranch_execz .LBB10_1581
; %bb.1574:
	v_mov_b32_e32 v6, 0
	global_load_dwordx2 v[13:14], v6, s[44:45] offset:32 glc
	global_load_dwordx2 v[2:3], v6, s[44:45] offset:40
	v_mov_b32_e32 v11, s6
	v_mov_b32_e32 v12, s7
	s_waitcnt vmcnt(0)
	v_readfirstlane_b32 s16, v2
	v_readfirstlane_b32 s17, v3
	s_and_b64 s[16:17], s[16:17], s[6:7]
	s_mul_i32 s15, s17, 24
	s_mul_hi_u32 s17, s16, 24
	s_mul_i32 s16, s16, 24
	s_add_i32 s15, s17, s15
	v_mov_b32_e32 v2, s15
	v_add_co_u32_e32 v4, vcc, s16, v0
	v_addc_co_u32_e32 v5, vcc, v1, v2, vcc
	global_store_dwordx2 v[4:5], v[13:14], off
	s_waitcnt vmcnt(0)
	global_atomic_cmpswap_x2 v[2:3], v6, v[11:14], s[44:45] offset:32 glc
	s_waitcnt vmcnt(0)
	v_cmp_ne_u64_e32 vcc, v[2:3], v[13:14]
	s_and_saveexec_b64 s[16:17], vcc
	s_cbranch_execz .LBB10_1577
; %bb.1575:
	s_mov_b64 s[18:19], 0
.LBB10_1576:                            ; =>This Inner Loop Header: Depth=1
	s_sleep 1
	global_store_dwordx2 v[4:5], v[2:3], off
	v_mov_b32_e32 v0, s6
	v_mov_b32_e32 v1, s7
	s_waitcnt vmcnt(0)
	global_atomic_cmpswap_x2 v[0:1], v6, v[0:3], s[44:45] offset:32 glc
	s_waitcnt vmcnt(0)
	v_cmp_eq_u64_e32 vcc, v[0:1], v[2:3]
	v_mov_b32_e32 v3, v1
	s_or_b64 s[18:19], vcc, s[18:19]
	v_mov_b32_e32 v2, v0
	s_andn2_b64 exec, exec, s[18:19]
	s_cbranch_execnz .LBB10_1576
.LBB10_1577:
	s_or_b64 exec, exec, s[16:17]
	v_mov_b32_e32 v3, 0
	global_load_dwordx2 v[0:1], v3, s[44:45] offset:16
	s_mov_b64 s[16:17], exec
	v_mbcnt_lo_u32_b32 v2, s16, 0
	v_mbcnt_hi_u32_b32 v2, s17, v2
	v_cmp_eq_u32_e32 vcc, 0, v2
	s_and_saveexec_b64 s[18:19], vcc
	s_cbranch_execz .LBB10_1579
; %bb.1578:
	s_bcnt1_i32_b64 s15, s[16:17]
	v_mov_b32_e32 v2, s15
	s_waitcnt vmcnt(0)
	global_atomic_add_x2 v[0:1], v[2:3], off offset:8
.LBB10_1579:
	s_or_b64 exec, exec, s[18:19]
	s_waitcnt vmcnt(0)
	global_load_dwordx2 v[2:3], v[0:1], off offset:16
	s_waitcnt vmcnt(0)
	v_cmp_eq_u64_e32 vcc, 0, v[2:3]
	s_cbranch_vccnz .LBB10_1581
; %bb.1580:
	global_load_dword v0, v[0:1], off offset:24
	v_mov_b32_e32 v1, 0
	s_waitcnt vmcnt(0)
	global_store_dwordx2 v[2:3], v[0:1], off
	v_and_b32_e32 v0, 0xffffff, v0
	v_readfirstlane_b32 m0, v0
	s_sendmsg sendmsg(MSG_INTERRUPT)
.LBB10_1581:
	s_or_b64 exec, exec, s[10:11]
	s_branch .LBB10_1585
.LBB10_1582:                            ;   in Loop: Header=BB10_1585 Depth=1
	s_or_b64 exec, exec, s[10:11]
	v_readfirstlane_b32 s10, v0
	s_cmp_eq_u32 s10, 0
	s_cbranch_scc1 .LBB10_1584
; %bb.1583:                             ;   in Loop: Header=BB10_1585 Depth=1
	s_sleep 1
	s_cbranch_execnz .LBB10_1585
	s_branch .LBB10_1587
.LBB10_1584:
	s_branch .LBB10_1587
.LBB10_1585:                            ; =>This Inner Loop Header: Depth=1
	v_mov_b32_e32 v0, 1
	s_and_saveexec_b64 s[10:11], s[4:5]
	s_cbranch_execz .LBB10_1582
; %bb.1586:                             ;   in Loop: Header=BB10_1585 Depth=1
	global_load_dword v0, v[7:8], off offset:20 glc
	s_waitcnt vmcnt(0)
	buffer_wbinvl1_vol
	v_and_b32_e32 v0, 1, v0
	s_branch .LBB10_1582
.LBB10_1587:
	global_load_dwordx2 v[0:1], v[9:10], off
	s_and_saveexec_b64 s[10:11], s[4:5]
	s_cbranch_execz .LBB10_1590
; %bb.1588:
	v_mov_b32_e32 v8, 0
	global_load_dwordx2 v[4:5], v8, s[44:45] offset:40
	global_load_dwordx2 v[9:10], v8, s[44:45] offset:24 glc
	global_load_dwordx2 v[6:7], v8, s[44:45]
	v_mov_b32_e32 v3, s7
	s_mov_b64 s[4:5], 0
	s_waitcnt vmcnt(2)
	v_add_co_u32_e32 v11, vcc, 1, v4
	v_addc_co_u32_e32 v12, vcc, 0, v5, vcc
	v_add_co_u32_e32 v2, vcc, s6, v11
	v_addc_co_u32_e32 v3, vcc, v12, v3, vcc
	v_cmp_eq_u64_e32 vcc, 0, v[2:3]
	v_cndmask_b32_e32 v3, v3, v12, vcc
	v_cndmask_b32_e32 v2, v2, v11, vcc
	v_and_b32_e32 v5, v3, v5
	v_and_b32_e32 v4, v2, v4
	v_mul_lo_u32 v5, v5, 24
	v_mul_hi_u32 v11, v4, 24
	v_mul_lo_u32 v12, v4, 24
	s_waitcnt vmcnt(1)
	v_mov_b32_e32 v4, v9
	v_add_u32_e32 v5, v11, v5
	s_waitcnt vmcnt(0)
	v_add_co_u32_e32 v6, vcc, v6, v12
	v_addc_co_u32_e32 v7, vcc, v7, v5, vcc
	global_store_dwordx2 v[6:7], v[9:10], off
	v_mov_b32_e32 v5, v10
	s_waitcnt vmcnt(0)
	global_atomic_cmpswap_x2 v[4:5], v8, v[2:5], s[44:45] offset:24 glc
	s_waitcnt vmcnt(0)
	v_cmp_ne_u64_e32 vcc, v[4:5], v[9:10]
	s_and_b64 exec, exec, vcc
	s_cbranch_execz .LBB10_1590
.LBB10_1589:                            ; =>This Inner Loop Header: Depth=1
	s_sleep 1
	global_store_dwordx2 v[6:7], v[4:5], off
	s_waitcnt vmcnt(0)
	global_atomic_cmpswap_x2 v[9:10], v8, v[2:5], s[44:45] offset:24 glc
	s_waitcnt vmcnt(0)
	v_cmp_eq_u64_e32 vcc, v[9:10], v[4:5]
	v_mov_b32_e32 v4, v9
	s_or_b64 s[4:5], vcc, s[4:5]
	v_mov_b32_e32 v5, v10
	s_andn2_b64 exec, exec, s[4:5]
	s_cbranch_execnz .LBB10_1589
.LBB10_1590:
	s_or_b64 exec, exec, s[10:11]
	s_and_b64 vcc, exec, s[46:47]
	s_cbranch_vccz .LBB10_1675
; %bb.1591:
	s_waitcnt vmcnt(0)
	v_and_b32_e32 v31, 2, v0
	v_mov_b32_e32 v28, 0
	v_and_b32_e32 v2, -3, v0
	v_mov_b32_e32 v3, v1
	s_mov_b64 s[10:11], 3
	v_mov_b32_e32 v6, 2
	v_mov_b32_e32 v7, 1
	s_getpc_b64 s[6:7]
	s_add_u32 s6, s6, .str.8@rel32@lo+4
	s_addc_u32 s7, s7, .str.8@rel32@hi+12
	s_branch .LBB10_1593
.LBB10_1592:                            ;   in Loop: Header=BB10_1593 Depth=1
	s_or_b64 exec, exec, s[20:21]
	s_sub_u32 s10, s10, s16
	s_subb_u32 s11, s11, s17
	s_add_u32 s6, s6, s16
	s_addc_u32 s7, s7, s17
	s_cmp_lg_u64 s[10:11], 0
	s_cbranch_scc0 .LBB10_1674
.LBB10_1593:                            ; =>This Loop Header: Depth=1
                                        ;     Child Loop BB10_1596 Depth 2
                                        ;     Child Loop BB10_1603 Depth 2
	;; [unrolled: 1-line block ×11, first 2 shown]
	v_cmp_lt_u64_e64 s[4:5], s[10:11], 56
	v_cmp_gt_u64_e64 s[18:19], s[10:11], 7
	s_and_b64 s[4:5], s[4:5], exec
	s_cselect_b32 s17, s11, 0
	s_cselect_b32 s16, s10, 56
	s_and_b64 vcc, exec, s[18:19]
	s_cbranch_vccnz .LBB10_1598
; %bb.1594:                             ;   in Loop: Header=BB10_1593 Depth=1
	v_mov_b32_e32 v10, 0
	s_cmp_eq_u64 s[10:11], 0
	v_mov_b32_e32 v11, 0
	s_mov_b64 s[4:5], 0
	s_cbranch_scc1 .LBB10_1597
; %bb.1595:                             ;   in Loop: Header=BB10_1593 Depth=1
	v_mov_b32_e32 v10, 0
	s_lshl_b64 s[18:19], s[16:17], 3
	s_mov_b64 s[20:21], 0
	v_mov_b32_e32 v11, 0
	s_mov_b64 s[22:23], s[6:7]
.LBB10_1596:                            ;   Parent Loop BB10_1593 Depth=1
                                        ; =>  This Inner Loop Header: Depth=2
	global_load_ubyte v4, v28, s[22:23]
	s_waitcnt vmcnt(0)
	v_and_b32_e32 v27, 0xffff, v4
	v_lshlrev_b64 v[4:5], s20, v[27:28]
	s_add_u32 s20, s20, 8
	s_addc_u32 s21, s21, 0
	s_add_u32 s22, s22, 1
	s_addc_u32 s23, s23, 0
	v_or_b32_e32 v10, v4, v10
	s_cmp_lg_u32 s18, s20
	v_or_b32_e32 v11, v5, v11
	s_cbranch_scc1 .LBB10_1596
.LBB10_1597:                            ;   in Loop: Header=BB10_1593 Depth=1
	s_mov_b32 s15, 0
	s_andn2_b64 vcc, exec, s[4:5]
	s_mov_b64 s[4:5], s[6:7]
	s_cbranch_vccz .LBB10_1599
	s_branch .LBB10_1600
.LBB10_1598:                            ;   in Loop: Header=BB10_1593 Depth=1
                                        ; implicit-def: $vgpr10_vgpr11
                                        ; implicit-def: $sgpr15
	s_mov_b64 s[4:5], s[6:7]
.LBB10_1599:                            ;   in Loop: Header=BB10_1593 Depth=1
	global_load_dwordx2 v[10:11], v28, s[6:7]
	s_add_i32 s15, s16, -8
	s_add_u32 s4, s6, 8
	s_addc_u32 s5, s7, 0
.LBB10_1600:                            ;   in Loop: Header=BB10_1593 Depth=1
	s_cmp_gt_u32 s15, 7
	s_cbranch_scc1 .LBB10_1604
; %bb.1601:                             ;   in Loop: Header=BB10_1593 Depth=1
	s_cmp_eq_u32 s15, 0
	s_cbranch_scc1 .LBB10_1605
; %bb.1602:                             ;   in Loop: Header=BB10_1593 Depth=1
	v_mov_b32_e32 v12, 0
	s_mov_b64 s[18:19], 0
	v_mov_b32_e32 v13, 0
	s_mov_b64 s[20:21], 0
.LBB10_1603:                            ;   Parent Loop BB10_1593 Depth=1
                                        ; =>  This Inner Loop Header: Depth=2
	s_add_u32 s22, s4, s20
	s_addc_u32 s23, s5, s21
	global_load_ubyte v4, v28, s[22:23]
	s_add_u32 s20, s20, 1
	s_addc_u32 s21, s21, 0
	s_waitcnt vmcnt(0)
	v_and_b32_e32 v27, 0xffff, v4
	v_lshlrev_b64 v[4:5], s18, v[27:28]
	s_add_u32 s18, s18, 8
	s_addc_u32 s19, s19, 0
	v_or_b32_e32 v12, v4, v12
	s_cmp_lg_u32 s15, s20
	v_or_b32_e32 v13, v5, v13
	s_cbranch_scc1 .LBB10_1603
	s_branch .LBB10_1606
.LBB10_1604:                            ;   in Loop: Header=BB10_1593 Depth=1
                                        ; implicit-def: $vgpr12_vgpr13
                                        ; implicit-def: $sgpr22
	s_branch .LBB10_1607
.LBB10_1605:                            ;   in Loop: Header=BB10_1593 Depth=1
	v_mov_b32_e32 v12, 0
	v_mov_b32_e32 v13, 0
.LBB10_1606:                            ;   in Loop: Header=BB10_1593 Depth=1
	s_mov_b32 s22, 0
	s_cbranch_execnz .LBB10_1608
.LBB10_1607:                            ;   in Loop: Header=BB10_1593 Depth=1
	global_load_dwordx2 v[12:13], v28, s[4:5]
	s_add_i32 s22, s15, -8
	s_add_u32 s4, s4, 8
	s_addc_u32 s5, s5, 0
.LBB10_1608:                            ;   in Loop: Header=BB10_1593 Depth=1
	s_cmp_gt_u32 s22, 7
	s_cbranch_scc1 .LBB10_1612
; %bb.1609:                             ;   in Loop: Header=BB10_1593 Depth=1
	s_cmp_eq_u32 s22, 0
	s_cbranch_scc1 .LBB10_1613
; %bb.1610:                             ;   in Loop: Header=BB10_1593 Depth=1
	v_mov_b32_e32 v14, 0
	s_mov_b64 s[18:19], 0
	v_mov_b32_e32 v15, 0
	s_mov_b64 s[20:21], 0
.LBB10_1611:                            ;   Parent Loop BB10_1593 Depth=1
                                        ; =>  This Inner Loop Header: Depth=2
	s_add_u32 s24, s4, s20
	s_addc_u32 s25, s5, s21
	global_load_ubyte v4, v28, s[24:25]
	s_add_u32 s20, s20, 1
	s_addc_u32 s21, s21, 0
	s_waitcnt vmcnt(0)
	v_and_b32_e32 v27, 0xffff, v4
	v_lshlrev_b64 v[4:5], s18, v[27:28]
	s_add_u32 s18, s18, 8
	s_addc_u32 s19, s19, 0
	v_or_b32_e32 v14, v4, v14
	s_cmp_lg_u32 s22, s20
	v_or_b32_e32 v15, v5, v15
	s_cbranch_scc1 .LBB10_1611
	s_branch .LBB10_1614
.LBB10_1612:                            ;   in Loop: Header=BB10_1593 Depth=1
                                        ; implicit-def: $sgpr15
	s_branch .LBB10_1615
.LBB10_1613:                            ;   in Loop: Header=BB10_1593 Depth=1
	v_mov_b32_e32 v14, 0
	v_mov_b32_e32 v15, 0
.LBB10_1614:                            ;   in Loop: Header=BB10_1593 Depth=1
	s_mov_b32 s15, 0
	s_cbranch_execnz .LBB10_1616
.LBB10_1615:                            ;   in Loop: Header=BB10_1593 Depth=1
	global_load_dwordx2 v[14:15], v28, s[4:5]
	s_add_i32 s15, s22, -8
	s_add_u32 s4, s4, 8
	s_addc_u32 s5, s5, 0
.LBB10_1616:                            ;   in Loop: Header=BB10_1593 Depth=1
	s_cmp_gt_u32 s15, 7
	s_cbranch_scc1 .LBB10_1620
; %bb.1617:                             ;   in Loop: Header=BB10_1593 Depth=1
	s_cmp_eq_u32 s15, 0
	s_cbranch_scc1 .LBB10_1621
; %bb.1618:                             ;   in Loop: Header=BB10_1593 Depth=1
	v_mov_b32_e32 v16, 0
	s_mov_b64 s[18:19], 0
	v_mov_b32_e32 v17, 0
	s_mov_b64 s[20:21], 0
.LBB10_1619:                            ;   Parent Loop BB10_1593 Depth=1
                                        ; =>  This Inner Loop Header: Depth=2
	s_add_u32 s22, s4, s20
	s_addc_u32 s23, s5, s21
	global_load_ubyte v4, v28, s[22:23]
	s_add_u32 s20, s20, 1
	s_addc_u32 s21, s21, 0
	s_waitcnt vmcnt(0)
	v_and_b32_e32 v27, 0xffff, v4
	v_lshlrev_b64 v[4:5], s18, v[27:28]
	s_add_u32 s18, s18, 8
	s_addc_u32 s19, s19, 0
	v_or_b32_e32 v16, v4, v16
	s_cmp_lg_u32 s15, s20
	v_or_b32_e32 v17, v5, v17
	s_cbranch_scc1 .LBB10_1619
	s_branch .LBB10_1622
.LBB10_1620:                            ;   in Loop: Header=BB10_1593 Depth=1
                                        ; implicit-def: $vgpr16_vgpr17
                                        ; implicit-def: $sgpr22
	s_branch .LBB10_1623
.LBB10_1621:                            ;   in Loop: Header=BB10_1593 Depth=1
	v_mov_b32_e32 v16, 0
	v_mov_b32_e32 v17, 0
.LBB10_1622:                            ;   in Loop: Header=BB10_1593 Depth=1
	s_mov_b32 s22, 0
	s_cbranch_execnz .LBB10_1624
.LBB10_1623:                            ;   in Loop: Header=BB10_1593 Depth=1
	global_load_dwordx2 v[16:17], v28, s[4:5]
	s_add_i32 s22, s15, -8
	s_add_u32 s4, s4, 8
	s_addc_u32 s5, s5, 0
.LBB10_1624:                            ;   in Loop: Header=BB10_1593 Depth=1
	s_cmp_gt_u32 s22, 7
	s_cbranch_scc1 .LBB10_1628
; %bb.1625:                             ;   in Loop: Header=BB10_1593 Depth=1
	s_cmp_eq_u32 s22, 0
	s_cbranch_scc1 .LBB10_1629
; %bb.1626:                             ;   in Loop: Header=BB10_1593 Depth=1
	v_mov_b32_e32 v18, 0
	s_mov_b64 s[18:19], 0
	v_mov_b32_e32 v19, 0
	s_mov_b64 s[20:21], 0
.LBB10_1627:                            ;   Parent Loop BB10_1593 Depth=1
                                        ; =>  This Inner Loop Header: Depth=2
	s_add_u32 s24, s4, s20
	s_addc_u32 s25, s5, s21
	global_load_ubyte v4, v28, s[24:25]
	s_add_u32 s20, s20, 1
	s_addc_u32 s21, s21, 0
	s_waitcnt vmcnt(0)
	v_and_b32_e32 v27, 0xffff, v4
	v_lshlrev_b64 v[4:5], s18, v[27:28]
	s_add_u32 s18, s18, 8
	s_addc_u32 s19, s19, 0
	v_or_b32_e32 v18, v4, v18
	s_cmp_lg_u32 s22, s20
	v_or_b32_e32 v19, v5, v19
	s_cbranch_scc1 .LBB10_1627
	s_branch .LBB10_1630
.LBB10_1628:                            ;   in Loop: Header=BB10_1593 Depth=1
                                        ; implicit-def: $sgpr15
	s_branch .LBB10_1631
.LBB10_1629:                            ;   in Loop: Header=BB10_1593 Depth=1
	v_mov_b32_e32 v18, 0
	v_mov_b32_e32 v19, 0
.LBB10_1630:                            ;   in Loop: Header=BB10_1593 Depth=1
	s_mov_b32 s15, 0
	s_cbranch_execnz .LBB10_1632
.LBB10_1631:                            ;   in Loop: Header=BB10_1593 Depth=1
	global_load_dwordx2 v[18:19], v28, s[4:5]
	s_add_i32 s15, s22, -8
	s_add_u32 s4, s4, 8
	s_addc_u32 s5, s5, 0
.LBB10_1632:                            ;   in Loop: Header=BB10_1593 Depth=1
	s_cmp_gt_u32 s15, 7
	s_cbranch_scc1 .LBB10_1636
; %bb.1633:                             ;   in Loop: Header=BB10_1593 Depth=1
	s_cmp_eq_u32 s15, 0
	s_cbranch_scc1 .LBB10_1637
; %bb.1634:                             ;   in Loop: Header=BB10_1593 Depth=1
	v_mov_b32_e32 v20, 0
	s_mov_b64 s[18:19], 0
	v_mov_b32_e32 v21, 0
	s_mov_b64 s[20:21], 0
.LBB10_1635:                            ;   Parent Loop BB10_1593 Depth=1
                                        ; =>  This Inner Loop Header: Depth=2
	s_add_u32 s22, s4, s20
	s_addc_u32 s23, s5, s21
	global_load_ubyte v4, v28, s[22:23]
	s_add_u32 s20, s20, 1
	s_addc_u32 s21, s21, 0
	s_waitcnt vmcnt(0)
	v_and_b32_e32 v27, 0xffff, v4
	v_lshlrev_b64 v[4:5], s18, v[27:28]
	s_add_u32 s18, s18, 8
	s_addc_u32 s19, s19, 0
	v_or_b32_e32 v20, v4, v20
	s_cmp_lg_u32 s15, s20
	v_or_b32_e32 v21, v5, v21
	s_cbranch_scc1 .LBB10_1635
	s_branch .LBB10_1638
.LBB10_1636:                            ;   in Loop: Header=BB10_1593 Depth=1
                                        ; implicit-def: $vgpr20_vgpr21
                                        ; implicit-def: $sgpr22
	s_branch .LBB10_1639
.LBB10_1637:                            ;   in Loop: Header=BB10_1593 Depth=1
	v_mov_b32_e32 v20, 0
	v_mov_b32_e32 v21, 0
.LBB10_1638:                            ;   in Loop: Header=BB10_1593 Depth=1
	s_mov_b32 s22, 0
	s_cbranch_execnz .LBB10_1640
.LBB10_1639:                            ;   in Loop: Header=BB10_1593 Depth=1
	global_load_dwordx2 v[20:21], v28, s[4:5]
	s_add_i32 s22, s15, -8
	s_add_u32 s4, s4, 8
	s_addc_u32 s5, s5, 0
.LBB10_1640:                            ;   in Loop: Header=BB10_1593 Depth=1
	s_cmp_gt_u32 s22, 7
	s_cbranch_scc1 .LBB10_1644
; %bb.1641:                             ;   in Loop: Header=BB10_1593 Depth=1
	s_cmp_eq_u32 s22, 0
	s_cbranch_scc1 .LBB10_1645
; %bb.1642:                             ;   in Loop: Header=BB10_1593 Depth=1
	v_mov_b32_e32 v22, 0
	s_mov_b64 s[18:19], 0
	v_mov_b32_e32 v23, 0
	s_mov_b64 s[20:21], s[4:5]
.LBB10_1643:                            ;   Parent Loop BB10_1593 Depth=1
                                        ; =>  This Inner Loop Header: Depth=2
	global_load_ubyte v4, v28, s[20:21]
	s_add_i32 s22, s22, -1
	s_waitcnt vmcnt(0)
	v_and_b32_e32 v27, 0xffff, v4
	v_lshlrev_b64 v[4:5], s18, v[27:28]
	s_add_u32 s18, s18, 8
	s_addc_u32 s19, s19, 0
	s_add_u32 s20, s20, 1
	s_addc_u32 s21, s21, 0
	v_or_b32_e32 v22, v4, v22
	s_cmp_lg_u32 s22, 0
	v_or_b32_e32 v23, v5, v23
	s_cbranch_scc1 .LBB10_1643
	s_branch .LBB10_1646
.LBB10_1644:                            ;   in Loop: Header=BB10_1593 Depth=1
	s_branch .LBB10_1647
.LBB10_1645:                            ;   in Loop: Header=BB10_1593 Depth=1
	v_mov_b32_e32 v22, 0
	v_mov_b32_e32 v23, 0
.LBB10_1646:                            ;   in Loop: Header=BB10_1593 Depth=1
	s_cbranch_execnz .LBB10_1648
.LBB10_1647:                            ;   in Loop: Header=BB10_1593 Depth=1
	global_load_dwordx2 v[22:23], v28, s[4:5]
.LBB10_1648:                            ;   in Loop: Header=BB10_1593 Depth=1
	v_readfirstlane_b32 s4, v51
	s_waitcnt vmcnt(0)
	v_mov_b32_e32 v4, 0
	v_mov_b32_e32 v5, 0
	v_cmp_eq_u32_e64 s[4:5], s4, v51
	s_and_saveexec_b64 s[18:19], s[4:5]
	s_cbranch_execz .LBB10_1654
; %bb.1649:                             ;   in Loop: Header=BB10_1593 Depth=1
	global_load_dwordx2 v[26:27], v28, s[44:45] offset:24 glc
	s_waitcnt vmcnt(0)
	buffer_wbinvl1_vol
	global_load_dwordx2 v[4:5], v28, s[44:45] offset:40
	global_load_dwordx2 v[8:9], v28, s[44:45]
	s_waitcnt vmcnt(1)
	v_and_b32_e32 v4, v4, v26
	v_and_b32_e32 v5, v5, v27
	v_mul_lo_u32 v5, v5, 24
	v_mul_hi_u32 v24, v4, 24
	v_mul_lo_u32 v4, v4, 24
	v_add_u32_e32 v5, v24, v5
	s_waitcnt vmcnt(0)
	v_add_co_u32_e32 v4, vcc, v8, v4
	v_addc_co_u32_e32 v5, vcc, v9, v5, vcc
	global_load_dwordx2 v[24:25], v[4:5], off glc
	s_waitcnt vmcnt(0)
	global_atomic_cmpswap_x2 v[4:5], v28, v[24:27], s[44:45] offset:24 glc
	s_waitcnt vmcnt(0)
	buffer_wbinvl1_vol
	v_cmp_ne_u64_e32 vcc, v[4:5], v[26:27]
	s_and_saveexec_b64 s[20:21], vcc
	s_cbranch_execz .LBB10_1653
; %bb.1650:                             ;   in Loop: Header=BB10_1593 Depth=1
	s_mov_b64 s[22:23], 0
.LBB10_1651:                            ;   Parent Loop BB10_1593 Depth=1
                                        ; =>  This Inner Loop Header: Depth=2
	s_sleep 1
	global_load_dwordx2 v[8:9], v28, s[44:45] offset:40
	global_load_dwordx2 v[24:25], v28, s[44:45]
	v_mov_b32_e32 v27, v5
	v_mov_b32_e32 v26, v4
	s_waitcnt vmcnt(1)
	v_and_b32_e32 v4, v8, v26
	s_waitcnt vmcnt(0)
	v_mad_u64_u32 v[4:5], s[24:25], v4, 24, v[24:25]
	v_and_b32_e32 v8, v9, v27
	v_mad_u64_u32 v[8:9], s[24:25], v8, 24, v[5:6]
	v_mov_b32_e32 v5, v8
	global_load_dwordx2 v[24:25], v[4:5], off glc
	s_waitcnt vmcnt(0)
	global_atomic_cmpswap_x2 v[4:5], v28, v[24:27], s[44:45] offset:24 glc
	s_waitcnt vmcnt(0)
	buffer_wbinvl1_vol
	v_cmp_eq_u64_e32 vcc, v[4:5], v[26:27]
	s_or_b64 s[22:23], vcc, s[22:23]
	s_andn2_b64 exec, exec, s[22:23]
	s_cbranch_execnz .LBB10_1651
; %bb.1652:                             ;   in Loop: Header=BB10_1593 Depth=1
	s_or_b64 exec, exec, s[22:23]
.LBB10_1653:                            ;   in Loop: Header=BB10_1593 Depth=1
	s_or_b64 exec, exec, s[20:21]
.LBB10_1654:                            ;   in Loop: Header=BB10_1593 Depth=1
	s_or_b64 exec, exec, s[18:19]
	global_load_dwordx2 v[8:9], v28, s[44:45] offset:40
	global_load_dwordx4 v[24:27], v28, s[44:45]
	v_readfirstlane_b32 s18, v4
	v_readfirstlane_b32 s19, v5
	s_mov_b64 s[20:21], exec
	s_waitcnt vmcnt(1)
	v_readfirstlane_b32 s22, v8
	v_readfirstlane_b32 s23, v9
	s_and_b64 s[22:23], s[18:19], s[22:23]
	s_mul_i32 s15, s23, 24
	s_mul_hi_u32 s24, s22, 24
	s_mul_i32 s25, s22, 24
	s_add_i32 s15, s24, s15
	v_mov_b32_e32 v4, s15
	s_waitcnt vmcnt(0)
	v_add_co_u32_e32 v29, vcc, s25, v24
	v_addc_co_u32_e32 v30, vcc, v25, v4, vcc
	s_and_saveexec_b64 s[24:25], s[4:5]
	s_cbranch_execz .LBB10_1656
; %bb.1655:                             ;   in Loop: Header=BB10_1593 Depth=1
	v_mov_b32_e32 v4, s20
	v_mov_b32_e32 v5, s21
	global_store_dwordx4 v[29:30], v[4:7], off offset:8
.LBB10_1656:                            ;   in Loop: Header=BB10_1593 Depth=1
	s_or_b64 exec, exec, s[24:25]
	s_lshl_b64 s[20:21], s[22:23], 12
	v_mov_b32_e32 v4, s21
	v_add_co_u32_e32 v26, vcc, s20, v26
	v_addc_co_u32_e32 v32, vcc, v27, v4, vcc
	v_cmp_gt_u64_e64 vcc, s[10:11], 56
	v_or_b32_e32 v5, v2, v31
	s_lshl_b32 s15, s16, 2
	v_cndmask_b32_e32 v2, v5, v2, vcc
	s_add_i32 s15, s15, 28
	v_or_b32_e32 v4, 0, v3
	s_and_b32 s15, s15, 0x1e0
	v_and_b32_e32 v2, 0xffffff1f, v2
	v_cndmask_b32_e32 v9, v4, v3, vcc
	v_or_b32_e32 v8, s15, v2
	v_readfirstlane_b32 s20, v26
	v_readfirstlane_b32 s21, v32
	s_nop 4
	global_store_dwordx4 v50, v[8:11], s[20:21]
	global_store_dwordx4 v50, v[12:15], s[20:21] offset:16
	global_store_dwordx4 v50, v[16:19], s[20:21] offset:32
	;; [unrolled: 1-line block ×3, first 2 shown]
	s_and_saveexec_b64 s[20:21], s[4:5]
	s_cbranch_execz .LBB10_1664
; %bb.1657:                             ;   in Loop: Header=BB10_1593 Depth=1
	global_load_dwordx2 v[12:13], v28, s[44:45] offset:32 glc
	global_load_dwordx2 v[2:3], v28, s[44:45] offset:40
	v_mov_b32_e32 v10, s18
	v_mov_b32_e32 v11, s19
	s_waitcnt vmcnt(0)
	v_readfirstlane_b32 s22, v2
	v_readfirstlane_b32 s23, v3
	s_and_b64 s[22:23], s[22:23], s[18:19]
	s_mul_i32 s15, s23, 24
	s_mul_hi_u32 s23, s22, 24
	s_mul_i32 s22, s22, 24
	s_add_i32 s15, s23, s15
	v_mov_b32_e32 v2, s15
	v_add_co_u32_e32 v8, vcc, s22, v24
	v_addc_co_u32_e32 v9, vcc, v25, v2, vcc
	global_store_dwordx2 v[8:9], v[12:13], off
	s_waitcnt vmcnt(0)
	global_atomic_cmpswap_x2 v[4:5], v28, v[10:13], s[44:45] offset:32 glc
	s_waitcnt vmcnt(0)
	v_cmp_ne_u64_e32 vcc, v[4:5], v[12:13]
	s_and_saveexec_b64 s[22:23], vcc
	s_cbranch_execz .LBB10_1660
; %bb.1658:                             ;   in Loop: Header=BB10_1593 Depth=1
	s_mov_b64 s[24:25], 0
.LBB10_1659:                            ;   Parent Loop BB10_1593 Depth=1
                                        ; =>  This Inner Loop Header: Depth=2
	s_sleep 1
	global_store_dwordx2 v[8:9], v[4:5], off
	v_mov_b32_e32 v2, s18
	v_mov_b32_e32 v3, s19
	s_waitcnt vmcnt(0)
	global_atomic_cmpswap_x2 v[2:3], v28, v[2:5], s[44:45] offset:32 glc
	s_waitcnt vmcnt(0)
	v_cmp_eq_u64_e32 vcc, v[2:3], v[4:5]
	v_mov_b32_e32 v5, v3
	s_or_b64 s[24:25], vcc, s[24:25]
	v_mov_b32_e32 v4, v2
	s_andn2_b64 exec, exec, s[24:25]
	s_cbranch_execnz .LBB10_1659
.LBB10_1660:                            ;   in Loop: Header=BB10_1593 Depth=1
	s_or_b64 exec, exec, s[22:23]
	global_load_dwordx2 v[2:3], v28, s[44:45] offset:16
	s_mov_b64 s[24:25], exec
	v_mbcnt_lo_u32_b32 v4, s24, 0
	v_mbcnt_hi_u32_b32 v4, s25, v4
	v_cmp_eq_u32_e32 vcc, 0, v4
	s_and_saveexec_b64 s[22:23], vcc
	s_cbranch_execz .LBB10_1662
; %bb.1661:                             ;   in Loop: Header=BB10_1593 Depth=1
	s_bcnt1_i32_b64 s15, s[24:25]
	v_mov_b32_e32 v27, s15
	s_waitcnt vmcnt(0)
	global_atomic_add_x2 v[2:3], v[27:28], off offset:8
.LBB10_1662:                            ;   in Loop: Header=BB10_1593 Depth=1
	s_or_b64 exec, exec, s[22:23]
	s_waitcnt vmcnt(0)
	global_load_dwordx2 v[4:5], v[2:3], off offset:16
	s_waitcnt vmcnt(0)
	v_cmp_eq_u64_e32 vcc, 0, v[4:5]
	s_cbranch_vccnz .LBB10_1664
; %bb.1663:                             ;   in Loop: Header=BB10_1593 Depth=1
	global_load_dword v27, v[2:3], off offset:24
	s_waitcnt vmcnt(0)
	v_and_b32_e32 v2, 0xffffff, v27
	v_readfirstlane_b32 m0, v2
	global_store_dwordx2 v[4:5], v[27:28], off
	s_sendmsg sendmsg(MSG_INTERRUPT)
.LBB10_1664:                            ;   in Loop: Header=BB10_1593 Depth=1
	s_or_b64 exec, exec, s[20:21]
	v_add_co_u32_e32 v2, vcc, v26, v50
	v_addc_co_u32_e32 v3, vcc, 0, v32, vcc
	s_branch .LBB10_1668
.LBB10_1665:                            ;   in Loop: Header=BB10_1668 Depth=2
	s_or_b64 exec, exec, s[20:21]
	v_readfirstlane_b32 s15, v4
	s_cmp_eq_u32 s15, 0
	s_cbranch_scc1 .LBB10_1667
; %bb.1666:                             ;   in Loop: Header=BB10_1668 Depth=2
	s_sleep 1
	s_cbranch_execnz .LBB10_1668
	s_branch .LBB10_1670
.LBB10_1667:                            ;   in Loop: Header=BB10_1593 Depth=1
	s_branch .LBB10_1670
.LBB10_1668:                            ;   Parent Loop BB10_1593 Depth=1
                                        ; =>  This Inner Loop Header: Depth=2
	v_mov_b32_e32 v4, 1
	s_and_saveexec_b64 s[20:21], s[4:5]
	s_cbranch_execz .LBB10_1665
; %bb.1669:                             ;   in Loop: Header=BB10_1668 Depth=2
	global_load_dword v4, v[29:30], off offset:20 glc
	s_waitcnt vmcnt(0)
	buffer_wbinvl1_vol
	v_and_b32_e32 v4, 1, v4
	s_branch .LBB10_1665
.LBB10_1670:                            ;   in Loop: Header=BB10_1593 Depth=1
	global_load_dwordx4 v[2:5], v[2:3], off
	s_and_saveexec_b64 s[20:21], s[4:5]
	s_cbranch_execz .LBB10_1592
; %bb.1671:                             ;   in Loop: Header=BB10_1593 Depth=1
	global_load_dwordx2 v[4:5], v28, s[44:45] offset:40
	global_load_dwordx2 v[12:13], v28, s[44:45] offset:24 glc
	global_load_dwordx2 v[14:15], v28, s[44:45]
	v_mov_b32_e32 v9, s19
	s_waitcnt vmcnt(2)
	v_add_co_u32_e32 v10, vcc, 1, v4
	v_addc_co_u32_e32 v11, vcc, 0, v5, vcc
	v_add_co_u32_e32 v8, vcc, s18, v10
	v_addc_co_u32_e32 v9, vcc, v11, v9, vcc
	v_cmp_eq_u64_e32 vcc, 0, v[8:9]
	v_cndmask_b32_e32 v9, v9, v11, vcc
	v_cndmask_b32_e32 v8, v8, v10, vcc
	v_and_b32_e32 v5, v9, v5
	v_and_b32_e32 v4, v8, v4
	v_mul_lo_u32 v5, v5, 24
	v_mul_hi_u32 v11, v4, 24
	v_mul_lo_u32 v4, v4, 24
	s_waitcnt vmcnt(1)
	v_mov_b32_e32 v10, v12
	v_add_u32_e32 v5, v11, v5
	s_waitcnt vmcnt(0)
	v_add_co_u32_e32 v4, vcc, v14, v4
	v_addc_co_u32_e32 v5, vcc, v15, v5, vcc
	global_store_dwordx2 v[4:5], v[12:13], off
	v_mov_b32_e32 v11, v13
	s_waitcnt vmcnt(0)
	global_atomic_cmpswap_x2 v[10:11], v28, v[8:11], s[44:45] offset:24 glc
	s_waitcnt vmcnt(0)
	v_cmp_ne_u64_e32 vcc, v[10:11], v[12:13]
	s_and_b64 exec, exec, vcc
	s_cbranch_execz .LBB10_1592
; %bb.1672:                             ;   in Loop: Header=BB10_1593 Depth=1
	s_mov_b64 s[4:5], 0
.LBB10_1673:                            ;   Parent Loop BB10_1593 Depth=1
                                        ; =>  This Inner Loop Header: Depth=2
	s_sleep 1
	global_store_dwordx2 v[4:5], v[10:11], off
	s_waitcnt vmcnt(0)
	global_atomic_cmpswap_x2 v[12:13], v28, v[8:11], s[44:45] offset:24 glc
	s_waitcnt vmcnt(0)
	v_cmp_eq_u64_e32 vcc, v[12:13], v[10:11]
	v_mov_b32_e32 v10, v12
	s_or_b64 s[4:5], vcc, s[4:5]
	v_mov_b32_e32 v11, v13
	s_andn2_b64 exec, exec, s[4:5]
	s_cbranch_execnz .LBB10_1673
	s_branch .LBB10_1592
.LBB10_1674:
	s_branch .LBB10_1702
.LBB10_1675:
                                        ; implicit-def: $vgpr2_vgpr3
	s_cbranch_execz .LBB10_1702
; %bb.1676:
	v_readfirstlane_b32 s4, v51
	v_mov_b32_e32 v8, 0
	v_mov_b32_e32 v9, 0
	v_cmp_eq_u32_e64 s[4:5], s4, v51
	s_and_saveexec_b64 s[6:7], s[4:5]
	s_cbranch_execz .LBB10_1682
; %bb.1677:
	s_waitcnt vmcnt(0)
	v_mov_b32_e32 v2, 0
	global_load_dwordx2 v[5:6], v2, s[44:45] offset:24 glc
	s_waitcnt vmcnt(0)
	buffer_wbinvl1_vol
	global_load_dwordx2 v[3:4], v2, s[44:45] offset:40
	global_load_dwordx2 v[7:8], v2, s[44:45]
	s_waitcnt vmcnt(1)
	v_and_b32_e32 v3, v3, v5
	v_and_b32_e32 v4, v4, v6
	v_mul_lo_u32 v4, v4, 24
	v_mul_hi_u32 v9, v3, 24
	v_mul_lo_u32 v3, v3, 24
	v_add_u32_e32 v4, v9, v4
	s_waitcnt vmcnt(0)
	v_add_co_u32_e32 v3, vcc, v7, v3
	v_addc_co_u32_e32 v4, vcc, v8, v4, vcc
	global_load_dwordx2 v[3:4], v[3:4], off glc
	s_waitcnt vmcnt(0)
	global_atomic_cmpswap_x2 v[8:9], v2, v[3:6], s[44:45] offset:24 glc
	s_waitcnt vmcnt(0)
	buffer_wbinvl1_vol
	v_cmp_ne_u64_e32 vcc, v[8:9], v[5:6]
	s_and_saveexec_b64 s[10:11], vcc
	s_cbranch_execz .LBB10_1681
; %bb.1678:
	s_mov_b64 s[16:17], 0
.LBB10_1679:                            ; =>This Inner Loop Header: Depth=1
	s_sleep 1
	global_load_dwordx2 v[3:4], v2, s[44:45] offset:40
	global_load_dwordx2 v[10:11], v2, s[44:45]
	v_mov_b32_e32 v5, v8
	v_mov_b32_e32 v6, v9
	s_waitcnt vmcnt(1)
	v_and_b32_e32 v3, v3, v5
	s_waitcnt vmcnt(0)
	v_mad_u64_u32 v[7:8], s[18:19], v3, 24, v[10:11]
	v_and_b32_e32 v4, v4, v6
	v_mov_b32_e32 v3, v8
	v_mad_u64_u32 v[3:4], s[18:19], v4, 24, v[3:4]
	v_mov_b32_e32 v8, v3
	global_load_dwordx2 v[3:4], v[7:8], off glc
	s_waitcnt vmcnt(0)
	global_atomic_cmpswap_x2 v[8:9], v2, v[3:6], s[44:45] offset:24 glc
	s_waitcnt vmcnt(0)
	buffer_wbinvl1_vol
	v_cmp_eq_u64_e32 vcc, v[8:9], v[5:6]
	s_or_b64 s[16:17], vcc, s[16:17]
	s_andn2_b64 exec, exec, s[16:17]
	s_cbranch_execnz .LBB10_1679
; %bb.1680:
	s_or_b64 exec, exec, s[16:17]
.LBB10_1681:
	s_or_b64 exec, exec, s[10:11]
.LBB10_1682:
	s_or_b64 exec, exec, s[6:7]
	s_waitcnt vmcnt(0)
	v_mov_b32_e32 v2, 0
	global_load_dwordx2 v[10:11], v2, s[44:45] offset:40
	global_load_dwordx4 v[4:7], v2, s[44:45]
	v_readfirstlane_b32 s6, v8
	v_readfirstlane_b32 s7, v9
	s_mov_b64 s[10:11], exec
	s_waitcnt vmcnt(1)
	v_readfirstlane_b32 s16, v10
	v_readfirstlane_b32 s17, v11
	s_and_b64 s[16:17], s[6:7], s[16:17]
	s_mul_i32 s15, s17, 24
	s_mul_hi_u32 s18, s16, 24
	s_mul_i32 s19, s16, 24
	s_add_i32 s15, s18, s15
	v_mov_b32_e32 v3, s15
	s_waitcnt vmcnt(0)
	v_add_co_u32_e32 v8, vcc, s19, v4
	v_addc_co_u32_e32 v9, vcc, v5, v3, vcc
	s_and_saveexec_b64 s[18:19], s[4:5]
	s_cbranch_execz .LBB10_1684
; %bb.1683:
	v_mov_b32_e32 v10, s10
	v_mov_b32_e32 v11, s11
	;; [unrolled: 1-line block ×4, first 2 shown]
	global_store_dwordx4 v[8:9], v[10:13], off offset:8
.LBB10_1684:
	s_or_b64 exec, exec, s[18:19]
	s_lshl_b64 s[10:11], s[16:17], 12
	v_mov_b32_e32 v3, s11
	v_add_co_u32_e32 v10, vcc, s10, v6
	v_addc_co_u32_e32 v11, vcc, v7, v3, vcc
	s_movk_i32 s10, 0xff1f
	v_and_or_b32 v0, v0, s10, 32
	s_mov_b32 s16, 0
	v_mov_b32_e32 v3, v2
	v_readfirstlane_b32 s10, v10
	v_readfirstlane_b32 s11, v11
	v_add_co_u32_e32 v6, vcc, v10, v50
	s_mov_b32 s17, s16
	s_mov_b32 s18, s16
	s_mov_b32 s19, s16
	s_nop 0
	global_store_dwordx4 v50, v[0:3], s[10:11]
	v_addc_co_u32_e32 v7, vcc, 0, v11, vcc
	v_mov_b32_e32 v0, s16
	v_mov_b32_e32 v1, s17
	;; [unrolled: 1-line block ×4, first 2 shown]
	global_store_dwordx4 v50, v[0:3], s[10:11] offset:16
	global_store_dwordx4 v50, v[0:3], s[10:11] offset:32
	;; [unrolled: 1-line block ×3, first 2 shown]
	s_and_saveexec_b64 s[10:11], s[4:5]
	s_cbranch_execz .LBB10_1692
; %bb.1685:
	v_mov_b32_e32 v10, 0
	global_load_dwordx2 v[13:14], v10, s[44:45] offset:32 glc
	global_load_dwordx2 v[0:1], v10, s[44:45] offset:40
	v_mov_b32_e32 v11, s6
	v_mov_b32_e32 v12, s7
	s_waitcnt vmcnt(0)
	v_readfirstlane_b32 s16, v0
	v_readfirstlane_b32 s17, v1
	s_and_b64 s[16:17], s[16:17], s[6:7]
	s_mul_i32 s15, s17, 24
	s_mul_hi_u32 s17, s16, 24
	s_mul_i32 s16, s16, 24
	s_add_i32 s15, s17, s15
	v_mov_b32_e32 v0, s15
	v_add_co_u32_e32 v4, vcc, s16, v4
	v_addc_co_u32_e32 v5, vcc, v5, v0, vcc
	global_store_dwordx2 v[4:5], v[13:14], off
	s_waitcnt vmcnt(0)
	global_atomic_cmpswap_x2 v[2:3], v10, v[11:14], s[44:45] offset:32 glc
	s_waitcnt vmcnt(0)
	v_cmp_ne_u64_e32 vcc, v[2:3], v[13:14]
	s_and_saveexec_b64 s[16:17], vcc
	s_cbranch_execz .LBB10_1688
; %bb.1686:
	s_mov_b64 s[18:19], 0
.LBB10_1687:                            ; =>This Inner Loop Header: Depth=1
	s_sleep 1
	global_store_dwordx2 v[4:5], v[2:3], off
	v_mov_b32_e32 v0, s6
	v_mov_b32_e32 v1, s7
	s_waitcnt vmcnt(0)
	global_atomic_cmpswap_x2 v[0:1], v10, v[0:3], s[44:45] offset:32 glc
	s_waitcnt vmcnt(0)
	v_cmp_eq_u64_e32 vcc, v[0:1], v[2:3]
	v_mov_b32_e32 v3, v1
	s_or_b64 s[18:19], vcc, s[18:19]
	v_mov_b32_e32 v2, v0
	s_andn2_b64 exec, exec, s[18:19]
	s_cbranch_execnz .LBB10_1687
.LBB10_1688:
	s_or_b64 exec, exec, s[16:17]
	v_mov_b32_e32 v3, 0
	global_load_dwordx2 v[0:1], v3, s[44:45] offset:16
	s_mov_b64 s[16:17], exec
	v_mbcnt_lo_u32_b32 v2, s16, 0
	v_mbcnt_hi_u32_b32 v2, s17, v2
	v_cmp_eq_u32_e32 vcc, 0, v2
	s_and_saveexec_b64 s[18:19], vcc
	s_cbranch_execz .LBB10_1690
; %bb.1689:
	s_bcnt1_i32_b64 s15, s[16:17]
	v_mov_b32_e32 v2, s15
	s_waitcnt vmcnt(0)
	global_atomic_add_x2 v[0:1], v[2:3], off offset:8
.LBB10_1690:
	s_or_b64 exec, exec, s[18:19]
	s_waitcnt vmcnt(0)
	global_load_dwordx2 v[2:3], v[0:1], off offset:16
	s_waitcnt vmcnt(0)
	v_cmp_eq_u64_e32 vcc, 0, v[2:3]
	s_cbranch_vccnz .LBB10_1692
; %bb.1691:
	global_load_dword v0, v[0:1], off offset:24
	v_mov_b32_e32 v1, 0
	s_waitcnt vmcnt(0)
	global_store_dwordx2 v[2:3], v[0:1], off
	v_and_b32_e32 v0, 0xffffff, v0
	v_readfirstlane_b32 m0, v0
	s_sendmsg sendmsg(MSG_INTERRUPT)
.LBB10_1692:
	s_or_b64 exec, exec, s[10:11]
	s_branch .LBB10_1696
.LBB10_1693:                            ;   in Loop: Header=BB10_1696 Depth=1
	s_or_b64 exec, exec, s[10:11]
	v_readfirstlane_b32 s10, v0
	s_cmp_eq_u32 s10, 0
	s_cbranch_scc1 .LBB10_1695
; %bb.1694:                             ;   in Loop: Header=BB10_1696 Depth=1
	s_sleep 1
	s_cbranch_execnz .LBB10_1696
	s_branch .LBB10_1698
.LBB10_1695:
	s_branch .LBB10_1698
.LBB10_1696:                            ; =>This Inner Loop Header: Depth=1
	v_mov_b32_e32 v0, 1
	s_and_saveexec_b64 s[10:11], s[4:5]
	s_cbranch_execz .LBB10_1693
; %bb.1697:                             ;   in Loop: Header=BB10_1696 Depth=1
	global_load_dword v0, v[8:9], off offset:20 glc
	s_waitcnt vmcnt(0)
	buffer_wbinvl1_vol
	v_and_b32_e32 v0, 1, v0
	s_branch .LBB10_1693
.LBB10_1698:
	global_load_dwordx2 v[2:3], v[6:7], off
	s_and_saveexec_b64 s[10:11], s[4:5]
	s_cbranch_execz .LBB10_1701
; %bb.1699:
	v_mov_b32_e32 v8, 0
	global_load_dwordx2 v[0:1], v8, s[44:45] offset:40
	global_load_dwordx2 v[9:10], v8, s[44:45] offset:24 glc
	global_load_dwordx2 v[11:12], v8, s[44:45]
	v_mov_b32_e32 v5, s7
	s_mov_b64 s[4:5], 0
	s_waitcnt vmcnt(2)
	v_add_co_u32_e32 v6, vcc, 1, v0
	v_addc_co_u32_e32 v7, vcc, 0, v1, vcc
	v_add_co_u32_e32 v4, vcc, s6, v6
	v_addc_co_u32_e32 v5, vcc, v7, v5, vcc
	v_cmp_eq_u64_e32 vcc, 0, v[4:5]
	v_cndmask_b32_e32 v5, v5, v7, vcc
	v_cndmask_b32_e32 v4, v4, v6, vcc
	v_and_b32_e32 v1, v5, v1
	v_and_b32_e32 v0, v4, v0
	v_mul_lo_u32 v1, v1, 24
	v_mul_hi_u32 v7, v0, 24
	v_mul_lo_u32 v0, v0, 24
	s_waitcnt vmcnt(1)
	v_mov_b32_e32 v6, v9
	v_add_u32_e32 v1, v7, v1
	s_waitcnt vmcnt(0)
	v_add_co_u32_e32 v0, vcc, v11, v0
	v_addc_co_u32_e32 v1, vcc, v12, v1, vcc
	global_store_dwordx2 v[0:1], v[9:10], off
	v_mov_b32_e32 v7, v10
	s_waitcnt vmcnt(0)
	global_atomic_cmpswap_x2 v[6:7], v8, v[4:7], s[44:45] offset:24 glc
	s_waitcnt vmcnt(0)
	v_cmp_ne_u64_e32 vcc, v[6:7], v[9:10]
	s_and_b64 exec, exec, vcc
	s_cbranch_execz .LBB10_1701
.LBB10_1700:                            ; =>This Inner Loop Header: Depth=1
	s_sleep 1
	global_store_dwordx2 v[0:1], v[6:7], off
	s_waitcnt vmcnt(0)
	global_atomic_cmpswap_x2 v[9:10], v8, v[4:7], s[44:45] offset:24 glc
	s_waitcnt vmcnt(0)
	v_cmp_eq_u64_e32 vcc, v[9:10], v[6:7]
	v_mov_b32_e32 v6, v9
	s_or_b64 s[4:5], vcc, s[4:5]
	v_mov_b32_e32 v7, v10
	s_andn2_b64 exec, exec, s[4:5]
	s_cbranch_execnz .LBB10_1700
.LBB10_1701:
	s_or_b64 exec, exec, s[10:11]
.LBB10_1702:
	v_readfirstlane_b32 s4, v51
	s_waitcnt vmcnt(0)
	v_mov_b32_e32 v0, 0
	v_mov_b32_e32 v1, 0
	v_cmp_eq_u32_e64 s[4:5], s4, v51
	s_and_saveexec_b64 s[6:7], s[4:5]
	s_cbranch_execz .LBB10_1708
; %bb.1703:
	v_mov_b32_e32 v4, 0
	global_load_dwordx2 v[7:8], v4, s[44:45] offset:24 glc
	s_waitcnt vmcnt(0)
	buffer_wbinvl1_vol
	global_load_dwordx2 v[0:1], v4, s[44:45] offset:40
	global_load_dwordx2 v[5:6], v4, s[44:45]
	s_waitcnt vmcnt(1)
	v_and_b32_e32 v0, v0, v7
	v_and_b32_e32 v1, v1, v8
	v_mul_lo_u32 v1, v1, 24
	v_mul_hi_u32 v9, v0, 24
	v_mul_lo_u32 v0, v0, 24
	v_add_u32_e32 v1, v9, v1
	s_waitcnt vmcnt(0)
	v_add_co_u32_e32 v0, vcc, v5, v0
	v_addc_co_u32_e32 v1, vcc, v6, v1, vcc
	global_load_dwordx2 v[5:6], v[0:1], off glc
	s_waitcnt vmcnt(0)
	global_atomic_cmpswap_x2 v[0:1], v4, v[5:8], s[44:45] offset:24 glc
	s_waitcnt vmcnt(0)
	buffer_wbinvl1_vol
	v_cmp_ne_u64_e32 vcc, v[0:1], v[7:8]
	s_and_saveexec_b64 s[10:11], vcc
	s_cbranch_execz .LBB10_1707
; %bb.1704:
	s_mov_b64 s[16:17], 0
.LBB10_1705:                            ; =>This Inner Loop Header: Depth=1
	s_sleep 1
	global_load_dwordx2 v[5:6], v4, s[44:45] offset:40
	global_load_dwordx2 v[9:10], v4, s[44:45]
	v_mov_b32_e32 v8, v1
	v_mov_b32_e32 v7, v0
	s_waitcnt vmcnt(1)
	v_and_b32_e32 v0, v5, v7
	s_waitcnt vmcnt(0)
	v_mad_u64_u32 v[0:1], s[18:19], v0, 24, v[9:10]
	v_and_b32_e32 v5, v6, v8
	v_mad_u64_u32 v[5:6], s[18:19], v5, 24, v[1:2]
	v_mov_b32_e32 v1, v5
	global_load_dwordx2 v[5:6], v[0:1], off glc
	s_waitcnt vmcnt(0)
	global_atomic_cmpswap_x2 v[0:1], v4, v[5:8], s[44:45] offset:24 glc
	s_waitcnt vmcnt(0)
	buffer_wbinvl1_vol
	v_cmp_eq_u64_e32 vcc, v[0:1], v[7:8]
	s_or_b64 s[16:17], vcc, s[16:17]
	s_andn2_b64 exec, exec, s[16:17]
	s_cbranch_execnz .LBB10_1705
; %bb.1706:
	s_or_b64 exec, exec, s[16:17]
.LBB10_1707:
	s_or_b64 exec, exec, s[10:11]
.LBB10_1708:
	s_or_b64 exec, exec, s[6:7]
	v_mov_b32_e32 v5, 0
	global_load_dwordx2 v[10:11], v5, s[44:45] offset:40
	global_load_dwordx4 v[6:9], v5, s[44:45]
	v_readfirstlane_b32 s6, v0
	v_readfirstlane_b32 s7, v1
	s_mov_b64 s[10:11], exec
	s_waitcnt vmcnt(1)
	v_readfirstlane_b32 s16, v10
	v_readfirstlane_b32 s17, v11
	s_and_b64 s[16:17], s[6:7], s[16:17]
	s_mul_i32 s15, s17, 24
	s_mul_hi_u32 s18, s16, 24
	s_mul_i32 s19, s16, 24
	s_add_i32 s15, s18, s15
	v_mov_b32_e32 v0, s15
	s_waitcnt vmcnt(0)
	v_add_co_u32_e32 v10, vcc, s19, v6
	v_addc_co_u32_e32 v11, vcc, v7, v0, vcc
	s_and_saveexec_b64 s[18:19], s[4:5]
	s_cbranch_execz .LBB10_1710
; %bb.1709:
	v_mov_b32_e32 v13, s11
	v_mov_b32_e32 v12, s10
	;; [unrolled: 1-line block ×4, first 2 shown]
	global_store_dwordx4 v[10:11], v[12:15], off offset:8
.LBB10_1710:
	s_or_b64 exec, exec, s[18:19]
	s_lshl_b64 s[10:11], s[16:17], 12
	v_mov_b32_e32 v0, s11
	v_add_co_u32_e32 v1, vcc, s10, v8
	v_addc_co_u32_e32 v0, vcc, v9, v0, vcc
	s_movk_i32 s10, 0xff1d
	v_and_or_b32 v2, v2, s10, 34
	s_mov_b32 s16, 0
	v_mov_b32_e32 v4, 10
	v_readfirstlane_b32 s10, v1
	v_readfirstlane_b32 s11, v0
	s_mov_b32 s17, s16
	s_mov_b32 s18, s16
	;; [unrolled: 1-line block ×3, first 2 shown]
	s_nop 1
	global_store_dwordx4 v50, v[2:5], s[10:11]
	v_mov_b32_e32 v0, s16
	v_mov_b32_e32 v1, s17
	;; [unrolled: 1-line block ×4, first 2 shown]
	global_store_dwordx4 v50, v[0:3], s[10:11] offset:16
	global_store_dwordx4 v50, v[0:3], s[10:11] offset:32
	;; [unrolled: 1-line block ×3, first 2 shown]
	s_and_saveexec_b64 s[10:11], s[4:5]
	s_cbranch_execz .LBB10_1718
; %bb.1711:
	v_mov_b32_e32 v8, 0
	global_load_dwordx2 v[14:15], v8, s[44:45] offset:32 glc
	global_load_dwordx2 v[0:1], v8, s[44:45] offset:40
	v_mov_b32_e32 v12, s6
	v_mov_b32_e32 v13, s7
	s_waitcnt vmcnt(0)
	v_readfirstlane_b32 s16, v0
	v_readfirstlane_b32 s17, v1
	s_and_b64 s[16:17], s[16:17], s[6:7]
	s_mul_i32 s15, s17, 24
	s_mul_hi_u32 s17, s16, 24
	s_mul_i32 s16, s16, 24
	s_add_i32 s15, s17, s15
	v_mov_b32_e32 v0, s15
	v_add_co_u32_e32 v4, vcc, s16, v6
	v_addc_co_u32_e32 v5, vcc, v7, v0, vcc
	global_store_dwordx2 v[4:5], v[14:15], off
	s_waitcnt vmcnt(0)
	global_atomic_cmpswap_x2 v[2:3], v8, v[12:15], s[44:45] offset:32 glc
	s_waitcnt vmcnt(0)
	v_cmp_ne_u64_e32 vcc, v[2:3], v[14:15]
	s_and_saveexec_b64 s[16:17], vcc
	s_cbranch_execz .LBB10_1714
; %bb.1712:
	s_mov_b64 s[18:19], 0
.LBB10_1713:                            ; =>This Inner Loop Header: Depth=1
	s_sleep 1
	global_store_dwordx2 v[4:5], v[2:3], off
	v_mov_b32_e32 v0, s6
	v_mov_b32_e32 v1, s7
	s_waitcnt vmcnt(0)
	global_atomic_cmpswap_x2 v[0:1], v8, v[0:3], s[44:45] offset:32 glc
	s_waitcnt vmcnt(0)
	v_cmp_eq_u64_e32 vcc, v[0:1], v[2:3]
	v_mov_b32_e32 v3, v1
	s_or_b64 s[18:19], vcc, s[18:19]
	v_mov_b32_e32 v2, v0
	s_andn2_b64 exec, exec, s[18:19]
	s_cbranch_execnz .LBB10_1713
.LBB10_1714:
	s_or_b64 exec, exec, s[16:17]
	v_mov_b32_e32 v3, 0
	global_load_dwordx2 v[0:1], v3, s[44:45] offset:16
	s_mov_b64 s[16:17], exec
	v_mbcnt_lo_u32_b32 v2, s16, 0
	v_mbcnt_hi_u32_b32 v2, s17, v2
	v_cmp_eq_u32_e32 vcc, 0, v2
	s_and_saveexec_b64 s[18:19], vcc
	s_cbranch_execz .LBB10_1716
; %bb.1715:
	s_bcnt1_i32_b64 s15, s[16:17]
	v_mov_b32_e32 v2, s15
	s_waitcnt vmcnt(0)
	global_atomic_add_x2 v[0:1], v[2:3], off offset:8
.LBB10_1716:
	s_or_b64 exec, exec, s[18:19]
	s_waitcnt vmcnt(0)
	global_load_dwordx2 v[2:3], v[0:1], off offset:16
	s_waitcnt vmcnt(0)
	v_cmp_eq_u64_e32 vcc, 0, v[2:3]
	s_cbranch_vccnz .LBB10_1718
; %bb.1717:
	global_load_dword v0, v[0:1], off offset:24
	v_mov_b32_e32 v1, 0
	s_waitcnt vmcnt(0)
	global_store_dwordx2 v[2:3], v[0:1], off
	v_and_b32_e32 v0, 0xffffff, v0
	v_readfirstlane_b32 m0, v0
	s_sendmsg sendmsg(MSG_INTERRUPT)
.LBB10_1718:
	s_or_b64 exec, exec, s[10:11]
	s_branch .LBB10_1722
.LBB10_1719:                            ;   in Loop: Header=BB10_1722 Depth=1
	s_or_b64 exec, exec, s[10:11]
	v_readfirstlane_b32 s10, v0
	s_cmp_eq_u32 s10, 0
	s_cbranch_scc1 .LBB10_1721
; %bb.1720:                             ;   in Loop: Header=BB10_1722 Depth=1
	s_sleep 1
	s_cbranch_execnz .LBB10_1722
	s_branch .LBB10_1724
.LBB10_1721:
	s_branch .LBB10_1724
.LBB10_1722:                            ; =>This Inner Loop Header: Depth=1
	v_mov_b32_e32 v0, 1
	s_and_saveexec_b64 s[10:11], s[4:5]
	s_cbranch_execz .LBB10_1719
; %bb.1723:                             ;   in Loop: Header=BB10_1722 Depth=1
	global_load_dword v0, v[10:11], off offset:20 glc
	s_waitcnt vmcnt(0)
	buffer_wbinvl1_vol
	v_and_b32_e32 v0, 1, v0
	s_branch .LBB10_1719
.LBB10_1724:
	s_and_saveexec_b64 s[10:11], s[4:5]
	s_cbranch_execz .LBB10_1727
; %bb.1725:
	v_mov_b32_e32 v6, 0
	global_load_dwordx2 v[2:3], v6, s[44:45] offset:40
	global_load_dwordx2 v[7:8], v6, s[44:45] offset:24 glc
	global_load_dwordx2 v[4:5], v6, s[44:45]
	v_mov_b32_e32 v1, s7
	s_mov_b64 s[4:5], 0
	s_waitcnt vmcnt(2)
	v_add_co_u32_e32 v9, vcc, 1, v2
	v_addc_co_u32_e32 v10, vcc, 0, v3, vcc
	v_add_co_u32_e32 v0, vcc, s6, v9
	v_addc_co_u32_e32 v1, vcc, v10, v1, vcc
	v_cmp_eq_u64_e32 vcc, 0, v[0:1]
	v_cndmask_b32_e32 v1, v1, v10, vcc
	v_cndmask_b32_e32 v0, v0, v9, vcc
	v_and_b32_e32 v3, v1, v3
	v_and_b32_e32 v2, v0, v2
	v_mul_lo_u32 v3, v3, 24
	v_mul_hi_u32 v9, v2, 24
	v_mul_lo_u32 v10, v2, 24
	s_waitcnt vmcnt(1)
	v_mov_b32_e32 v2, v7
	v_add_u32_e32 v3, v9, v3
	s_waitcnt vmcnt(0)
	v_add_co_u32_e32 v4, vcc, v4, v10
	v_addc_co_u32_e32 v5, vcc, v5, v3, vcc
	global_store_dwordx2 v[4:5], v[7:8], off
	v_mov_b32_e32 v3, v8
	s_waitcnt vmcnt(0)
	global_atomic_cmpswap_x2 v[2:3], v6, v[0:3], s[44:45] offset:24 glc
	s_waitcnt vmcnt(0)
	v_cmp_ne_u64_e32 vcc, v[2:3], v[7:8]
	s_and_b64 exec, exec, vcc
	s_cbranch_execz .LBB10_1727
.LBB10_1726:                            ; =>This Inner Loop Header: Depth=1
	s_sleep 1
	global_store_dwordx2 v[4:5], v[2:3], off
	s_waitcnt vmcnt(0)
	global_atomic_cmpswap_x2 v[7:8], v6, v[0:3], s[44:45] offset:24 glc
	s_waitcnt vmcnt(0)
	v_cmp_eq_u64_e32 vcc, v[7:8], v[2:3]
	v_mov_b32_e32 v2, v7
	s_or_b64 s[4:5], vcc, s[4:5]
	v_mov_b32_e32 v3, v8
	s_andn2_b64 exec, exec, s[4:5]
	s_cbranch_execnz .LBB10_1726
.LBB10_1727:
	s_or_b64 exec, exec, s[10:11]
	flat_load_dwordx2 v[0:1], v[48:49]
	s_waitcnt vmcnt(0) lgkmcnt(0)
	flat_load_dword v2, v[0:1]
	s_waitcnt vmcnt(0) lgkmcnt(0)
	v_add_u32_e32 v2, 1, v2
	flat_store_dword v[0:1], v2
.LBB10_1728:
	s_or_b64 exec, exec, s[42:43]
	s_getpc_b64 s[4:5]
	s_add_u32 s4, s4, _ZN8migraphx4test4failEv@rel32@lo+4
	s_addc_u32 s5, s5, _ZN8migraphx4test4failEv@rel32@hi+12
	s_swappc_b64 s[30:31], s[4:5]
	; divergent unreachable
.LBB10_1729:
	s_or_b64 exec, exec, s[40:41]
	v_readlane_b32 s30, v41, 0
	v_readlane_b32 s31, v41, 1
	;; [unrolled: 1-line block ×3, first 2 shown]
	s_or_saveexec_b64 s[6:7], -1
	buffer_load_dword v41, off, s[0:3], s33 ; 4-byte Folded Reload
	s_mov_b64 exec, s[6:7]
	s_addk_i32 s32, 0xfc00
	s_mov_b32 s33, s4
	s_waitcnt vmcnt(0)
	s_setpc_b64 s[30:31]
.Lfunc_end10:
	.size	_ZN8migraphx4test12test_manager6failedINS0_10expressionINS0_14lhs_expressionIiNS0_3nopEEEiNS0_5equalEEEPFvvEEEvRKT_PKcSF_SF_iT0_, .Lfunc_end10-_ZN8migraphx4test12test_manager6failedINS0_10expressionINS0_14lhs_expressionIiNS0_3nopEEEiNS0_5equalEEEPFvvEEEvRKT_PKcSF_SF_iT0_
                                        ; -- End function
	.section	.AMDGPU.csdata,"",@progbits
; Function info:
; codeLenInByte = 59680
; NumSgprs: 58
; NumVgprs: 52
; ScratchSize: 32
; MemoryBound: 0
	.text
	.protected	gpu_test_kernel         ; -- Begin function gpu_test_kernel
	.globl	gpu_test_kernel
	.p2align	8
	.type	gpu_test_kernel,@function
gpu_test_kernel:                        ; @gpu_test_kernel
; %bb.0:
	s_mov_b64 s[54:55], s[6:7]
	s_load_dwordx2 s[6:7], s[6:7], 0x8
	s_add_u32 flat_scratch_lo, s8, s13
	s_load_dword s59, s[54:55], 0x0
	s_addc_u32 flat_scratch_hi, s9, 0
	s_add_u32 s0, s0, s13
	s_addc_u32 s1, s1, 0
	v_mov_b32_e32 v42, v0
	s_waitcnt lgkmcnt(0)
	v_mov_b32_e32 v0, s7
	buffer_store_dword v0, off, s[0:3], 0 offset:428
	v_mov_b32_e32 v0, s6
	s_mov_b32 s56, s12
	s_mov_b32 s57, s11
	;; [unrolled: 1-line block ×3, first 2 shown]
	s_cmp_lt_i32 s59, 3
	s_mov_b64 s[62:63], src_private_base
	s_movk_i32 s32, 0x7000
	buffer_store_dword v0, off, s[0:3], 0 offset:424
	s_cbranch_scc1 .LBB11_13
; %bb.1:
	s_cmp_lt_i32 s59, 4
	s_mov_b64 s[6:7], -1
	s_cbranch_scc1 .LBB11_9
; %bb.2:
	s_load_dwordx2 s[4:5], s[4:5], 0x4
	s_waitcnt lgkmcnt(0)
	s_lshr_b32 s4, s4, 16
	s_mul_i32 s4, s4, s5
	v_mul_lo_u32 v0, s4, v42
	v_mul_u32_u24_e32 v1, s5, v1
	s_cmp_lt_i32 s59, 5
	s_mov_b64 s[4:5], -1
	v_add3_u32 v41, v0, v1, v2
	s_cbranch_scc1 .LBB11_6
; %bb.3:
	s_cmp_eq_u32 s59, 5
	s_cbranch_scc0 .LBB11_5
; %bb.4:
	s_add_u32 s46, s54, 16
	s_addc_u32 s47, s55, 0
	s_getpc_b64 s[6:7]
	s_add_u32 s6, s6, .str.33@rel32@lo+4
	s_addc_u32 s7, s7, .str.33@rel32@hi+12
	s_mov_b64 s[4:5], src_shared_base
	s_getpc_b64 s[50:51]
	s_add_u32 s50, s50, __PRETTY_FUNCTION__._ZL22array_type_conversionsRN8migraphx4test12test_managerE@rel32@lo+4
	s_addc_u32 s51, s51, __PRETTY_FUNCTION__._ZL22array_type_conversionsRN8migraphx4test12test_managerE@rel32@hi+12
	v_mov_b32_e32 v43, 1
	s_mov_b64 s[8:9], s[46:47]
	s_mov_b32 s12, s58
	s_mov_b32 s13, s57
	;; [unrolled: 1-line block ×3, first 2 shown]
	v_mov_b32_e32 v31, v42
	v_mov_b32_e32 v0, 0x1a8
	;; [unrolled: 1-line block ×10, first 2 shown]
	s_mov_b64 s[48:49], src_private_base
	ds_write_b8 v41, v43
	s_getpc_b64 s[52:53]
	s_add_u32 s52, s52, _ZN8migraphx4test12test_manager6failedINS0_14lhs_expressionIbNS0_3nopEEEPFvvEEEvRKT_PKcSC_SC_iT0_@rel32@lo+4
	s_addc_u32 s53, s53, _ZN8migraphx4test12test_manager6failedINS0_14lhs_expressionIbNS0_3nopEEEPFvvEEEvRKT_PKcSC_SC_iT0_@rel32@hi+12
	s_swappc_b64 s[30:31], s[52:53]
	s_getpc_b64 s[4:5]
	s_add_u32 s4, s4, .str.34@rel32@lo+4
	s_addc_u32 s5, s5, .str.34@rel32@hi+12
	s_mov_b64 s[8:9], s[46:47]
	s_mov_b32 s12, s58
	s_mov_b32 s13, s57
	;; [unrolled: 1-line block ×3, first 2 shown]
	v_mov_b32_e32 v31, v42
	v_mov_b32_e32 v0, 0x1a8
	;; [unrolled: 1-line block ×10, first 2 shown]
	buffer_store_byte v43, off, s[0:3], 0 offset:8
	s_swappc_b64 s[30:31], s[52:53]
.LBB11_5:
	s_mov_b64 s[4:5], 0
.LBB11_6:
	s_andn2_b64 vcc, exec, s[4:5]
	s_cbranch_vccnz .LBB11_8
; %bb.7:
	s_add_u32 s60, s54, 16
	s_addc_u32 s61, s55, 0
	v_lshlrev_b32_e32 v0, 3, v41
	s_getpc_b64 s[4:5]
	s_add_u32 s4, s4, .str.30@rel32@lo+4
	s_addc_u32 s5, s5, .str.30@rel32@hi+12
	v_add_u32_e32 v2, 0x4400, v0
	v_add_u32_e32 v43, 0x2400, v0
	;; [unrolled: 1-line block ×3, first 2 shown]
	s_mov_b64 s[64:65], src_shared_base
	v_mov_b32_e32 v0, 0
	s_getpc_b64 s[66:67]
	s_add_u32 s66, s66, __PRETTY_FUNCTION__._ZL21array_math_edge_casesRN8migraphx4test12test_managerE@rel32@lo+4
	s_addc_u32 s67, s67, __PRETTY_FUNCTION__._ZL21array_math_edge_casesRN8migraphx4test12test_managerE@rel32@hi+12
	ds_write2_b32 v2, v0, v0 offset1:1
	s_mov_b64 s[8:9], s[60:61]
	s_mov_b32 s12, s58
	s_mov_b32 s13, s57
	;; [unrolled: 1-line block ×3, first 2 shown]
	v_mov_b32_e32 v31, v42
	v_mov_b32_e32 v0, 0x1a8
	;; [unrolled: 1-line block ×9, first 2 shown]
	s_getpc_b64 s[68:69]
	s_add_u32 s68, s68, _ZN8migraphx4test12test_manager6failedINS0_10expressionINS0_14lhs_expressionIiNS0_3nopEEEiNS0_5equalEEEPFvvEEEvRKT_PKcSF_SF_iT0_@rel32@lo+4
	s_addc_u32 s69, s69, _ZN8migraphx4test12test_manager6failedINS0_10expressionINS0_14lhs_expressionIiNS0_3nopEEEiNS0_5equalEEEPFvvEEEvRKT_PKcSF_SF_iT0_@rel32@hi+12
	s_swappc_b64 s[30:31], s[68:69]
	v_mov_b32_e32 v0, 1
	s_getpc_b64 s[4:5]
	s_add_u32 s4, s4, .str.31@rel32@lo+4
	s_addc_u32 s5, s5, .str.31@rel32@hi+12
	ds_write2_b32 v43, v0, v0 offset1:1
	s_mov_b64 s[8:9], s[60:61]
	s_mov_b32 s12, s58
	s_mov_b32 s13, s57
	;; [unrolled: 1-line block ×3, first 2 shown]
	v_mov_b32_e32 v31, v42
	v_mov_b32_e32 v0, 0x1a8
	;; [unrolled: 1-line block ×10, first 2 shown]
	s_swappc_b64 s[30:31], s[68:69]
	v_mov_b32_e32 v0, 6
	s_getpc_b64 s[4:5]
	s_add_u32 s4, s4, .str.32@rel32@lo+4
	s_addc_u32 s5, s5, .str.32@rel32@hi+12
	ds_write2_b32 v44, v0, v0 offset1:1
	s_mov_b64 s[8:9], s[60:61]
	s_mov_b32 s12, s58
	s_mov_b32 s13, s57
	;; [unrolled: 1-line block ×3, first 2 shown]
	v_mov_b32_e32 v31, v42
	v_mov_b32_e32 v0, 0x1a8
	;; [unrolled: 1-line block ×10, first 2 shown]
	s_swappc_b64 s[30:31], s[68:69]
.LBB11_8:
	s_mov_b64 s[6:7], 0
.LBB11_9:
	s_andn2_b64 vcc, exec, s[6:7]
	s_cbranch_vccnz .LBB11_11
; %bb.10:
	s_add_u32 s60, s54, 16
	s_addc_u32 s61, s55, 0
	s_mov_b64 s[64:65], src_private_base
	s_getpc_b64 s[4:5]
	s_add_u32 s4, s4, .str.24@rel32@lo+4
	s_addc_u32 s5, s5, .str.24@rel32@hi+12
	v_mov_b32_e32 v43, 42
	v_mov_b32_e32 v44, s65
	;; [unrolled: 1-line block ×3, first 2 shown]
	s_getpc_b64 s[68:69]
	s_add_u32 s68, s68, __PRETTY_FUNCTION__._ZL20array_single_elementRN8migraphx4test12test_managerE@rel32@lo+4
	s_addc_u32 s69, s69, __PRETTY_FUNCTION__._ZL20array_single_elementRN8migraphx4test12test_managerE@rel32@hi+12
	buffer_store_dword v43, off, s[0:3], 0 offset:408
	buffer_store_dword v44, off, s[0:3], 0 offset:12
	;; [unrolled: 1-line block ×4, first 2 shown]
	s_mov_b64 s[8:9], s[60:61]
	s_mov_b32 s12, s58
	s_mov_b32 s13, s57
	;; [unrolled: 1-line block ×3, first 2 shown]
	v_mov_b32_e32 v31, v42
	v_mov_b32_e32 v0, 0x1a8
	;; [unrolled: 1-line block ×10, first 2 shown]
	s_getpc_b64 s[66:67]
	s_add_u32 s66, s66, _ZN8migraphx4test12test_manager6failedINS0_10expressionINS0_14lhs_expressionIRiNS0_3nopEEEiNS0_5equalEEEPFvvEEEvRKT_PKcSG_SG_iT0_@rel32@lo+4
	s_addc_u32 s67, s67, _ZN8migraphx4test12test_manager6failedINS0_10expressionINS0_14lhs_expressionIRiNS0_3nopEEEiNS0_5equalEEEPFvvEEEvRKT_PKcSG_SG_iT0_@rel32@hi+12
	s_swappc_b64 s[30:31], s[66:67]
	v_mov_b32_e32 v0, 0
	buffer_store_dword v0, off, s[0:3], 0 offset:8
	v_mov_b32_e32 v0, 1
	buffer_store_dword v0, off, s[0:3], 0 offset:12
	s_mov_b64 s[8:9], s[60:61]
	s_mov_b32 s12, s58
	s_mov_b32 s13, s57
	;; [unrolled: 1-line block ×3, first 2 shown]
	v_mov_b32_e32 v31, v42
	v_mov_b32_e32 v0, 0x1a8
	;; [unrolled: 1-line block ×5, first 2 shown]
	s_getpc_b64 s[4:5]
	s_add_u32 s4, s4, _ZN8migraphx4test12test_manager6failedINS0_10expressionINS0_14lhs_expressionINS_17integral_constantIjLj1EEENS0_3nopEEEiNS0_5equalEEEPFvvEEEvRKT_PKcSH_SH_iT0_@rel32@lo+4
	s_addc_u32 s5, s5, _ZN8migraphx4test12test_manager6failedINS0_10expressionINS0_14lhs_expressionINS_17integral_constantIjLj1EEENS0_3nopEEEiNS0_5equalEEEPFvvEEEvRKT_PKcSH_SH_iT0_@rel32@hi+12
	s_swappc_b64 s[30:31], s[4:5]
	buffer_load_dword v0, off, s[0:3], 0 offset:408
	s_getpc_b64 s[4:5]
	s_add_u32 s4, s4, .str.27@rel32@lo+4
	s_addc_u32 s5, s5, .str.27@rel32@hi+12
	s_mov_b64 s[8:9], s[60:61]
	s_mov_b32 s12, s58
	s_mov_b32 s13, s57
	;; [unrolled: 1-line block ×3, first 2 shown]
	v_mov_b32_e32 v31, v42
	v_mov_b32_e32 v1, s63
	;; [unrolled: 1-line block ×9, first 2 shown]
	buffer_store_dword v43, off, s[0:3], 0 offset:12
	s_getpc_b64 s[6:7]
	s_add_u32 s6, s6, _ZN8migraphx4test12test_manager6failedINS0_10expressionINS0_14lhs_expressionIiNS0_3nopEEEiNS0_5equalEEEPFvvEEEvRKT_PKcSF_SF_iT0_@rel32@lo+4
	s_addc_u32 s7, s7, _ZN8migraphx4test12test_manager6failedINS0_10expressionINS0_14lhs_expressionIiNS0_3nopEEEiNS0_5equalEEEPFvvEEEvRKT_PKcSF_SF_iT0_@rel32@hi+12
	s_waitcnt vmcnt(1)
	buffer_store_dword v0, off, s[0:3], 0 offset:8
	v_mov_b32_e32 v0, 0x1a8
	s_swappc_b64 s[30:31], s[6:7]
	buffer_load_dword v0, off, s[0:3], 0 offset:408
	v_mov_b32_e32 v1, 0
	v_mov_b32_e32 v2, 0x54
	s_getpc_b64 s[4:5]
	s_add_u32 s4, s4, .str.28@rel32@lo+4
	s_addc_u32 s5, s5, .str.28@rel32@hi+12
	buffer_store_dword v44, off, s[0:3], 0 offset:12
	buffer_store_dword v1, off, s[0:3], 0 offset:8
	buffer_store_dword v2, off, s[0:3], 0 offset:16
	s_mov_b64 s[8:9], s[60:61]
	s_mov_b32 s12, s58
	s_mov_b32 s13, s57
	;; [unrolled: 1-line block ×3, first 2 shown]
	v_mov_b32_e32 v31, v42
	v_mov_b32_e32 v1, s63
	v_mov_b32_e32 v2, 8
	v_mov_b32_e32 v3, s65
	v_mov_b32_e32 v6, s68
	v_mov_b32_e32 v7, s69
	v_mov_b32_e32 v4, s4
	v_mov_b32_e32 v5, s5
	v_mov_b32_e32 v8, 0x3b6
	s_waitcnt vmcnt(3)
	v_lshlrev_b32_e32 v0, 1, v0
	buffer_store_dword v0, off, s[0:3], 0
	v_mov_b32_e32 v0, 0x1a8
	s_swappc_b64 s[30:31], s[66:67]
.LBB11_11:
	s_mov_b64 s[4:5], -1
	s_cbranch_execz .LBB11_14
.LBB11_12:
	s_and_saveexec_b64 s[6:7], s[4:5]
	s_endpgm
.LBB11_13:
	s_mov_b64 s[4:5], 0
.LBB11_14:
	s_cmp_gt_i32 s59, 0
	s_mov_b64 s[6:7], -1
	s_cbranch_scc0 .LBB11_20
; %bb.15:
	s_cmp_gt_i32 s59, 1
	s_mov_b64 s[4:5], -1
	s_cbranch_scc0 .LBB11_17
; %bb.16:
	s_add_u32 s60, s54, 16
	s_addc_u32 s61, s55, 0
	v_mov_b32_e32 v0, 0
	s_mov_b64 s[64:65], src_private_base
	s_getpc_b64 s[4:5]
	s_add_u32 s4, s4, .str.19@rel32@lo+4
	s_addc_u32 s5, s5, .str.19@rel32@hi+12
	buffer_store_dword v0, off, s[0:3], 0 offset:8
	buffer_store_dword v0, off, s[0:3], 0 offset:12
	;; [unrolled: 1-line block ×84, first 2 shown]
	v_mov_b32_e32 v43, 42
	v_mov_b32_e32 v0, 8
	;; [unrolled: 1-line block ×3, first 2 shown]
	s_getpc_b64 s[66:67]
	s_add_u32 s66, s66, __PRETTY_FUNCTION__._ZL16array_large_sizeRN8migraphx4test12test_managerE@rel32@lo+4
	s_addc_u32 s67, s67, __PRETTY_FUNCTION__._ZL16array_large_sizeRN8migraphx4test12test_managerE@rel32@hi+12
	buffer_store_dword v43, off, s[0:3], 0 offset:8
	buffer_store_dword v43, off, s[0:3], 0 offset:12
	;; [unrolled: 1-line block ×103, first 2 shown]
	s_mov_b64 s[8:9], s[60:61]
	s_mov_b32 s12, s58
	s_mov_b32 s13, s57
	;; [unrolled: 1-line block ×3, first 2 shown]
	v_mov_b32_e32 v31, v42
	v_mov_b32_e32 v0, 0x1a8
	v_mov_b32_e32 v1, s63
	v_mov_b32_e32 v2, 0x198
	v_mov_b32_e32 v3, s65
	v_mov_b32_e32 v4, s4
	v_mov_b32_e32 v5, s5
	v_mov_b32_e32 v6, s66
	v_mov_b32_e32 v7, s67
	v_mov_b32_e32 v8, 0x3a5
	s_getpc_b64 s[68:69]
	s_add_u32 s68, s68, _ZN8migraphx4test12test_manager6failedINS0_10expressionINS0_14lhs_expressionIRiNS0_3nopEEEiNS0_5equalEEEPFvvEEEvRKT_PKcSG_SG_iT0_@rel32@lo+4
	s_addc_u32 s69, s69, _ZN8migraphx4test12test_manager6failedINS0_10expressionINS0_14lhs_expressionIRiNS0_3nopEEEiNS0_5equalEEEPFvvEEEvRKT_PKcSG_SG_iT0_@rel32@hi+12
	s_swappc_b64 s[30:31], s[68:69]
	s_movk_i32 s4, 0xc8
	s_add_u32 s4, 8, s4
	s_addc_u32 s5, s65, 0
	v_mov_b32_e32 v0, s5
	buffer_store_dword v0, off, s[0:3], 0 offset:412
	v_mov_b32_e32 v0, s4
	s_getpc_b64 s[4:5]
	s_add_u32 s4, s4, .str.20@rel32@lo+4
	s_addc_u32 s5, s5, .str.20@rel32@hi+12
	buffer_store_dword v0, off, s[0:3], 0 offset:408
	buffer_store_dword v43, off, s[0:3], 0 offset:416
	s_mov_b64 s[8:9], s[60:61]
	s_mov_b32 s12, s58
	s_mov_b32 s13, s57
	;; [unrolled: 1-line block ×3, first 2 shown]
	v_mov_b32_e32 v31, v42
	v_mov_b32_e32 v0, 0x1a8
	;; [unrolled: 1-line block ×10, first 2 shown]
	s_swappc_b64 s[30:31], s[68:69]
	s_movk_i32 s4, 0x18c
	s_add_u32 s4, 8, s4
	s_addc_u32 s5, s65, 0
	v_mov_b32_e32 v0, s5
	buffer_store_dword v0, off, s[0:3], 0 offset:412
	v_mov_b32_e32 v0, s4
	s_getpc_b64 s[4:5]
	s_add_u32 s4, s4, .str.21@rel32@lo+4
	s_addc_u32 s5, s5, .str.21@rel32@hi+12
	buffer_store_dword v0, off, s[0:3], 0 offset:408
	buffer_store_dword v43, off, s[0:3], 0 offset:416
	s_mov_b64 s[8:9], s[60:61]
	s_mov_b32 s12, s58
	s_mov_b32 s13, s57
	;; [unrolled: 1-line block ×3, first 2 shown]
	v_mov_b32_e32 v31, v42
	v_mov_b32_e32 v0, 0x1a8
	;; [unrolled: 1-line block ×10, first 2 shown]
	s_swappc_b64 s[30:31], s[68:69]
	s_mov_b64 s[4:5], 0
.LBB11_17:
	s_andn2_b64 vcc, exec, s[4:5]
	s_cbranch_vccnz .LBB11_19
; %bb.18:
	s_add_u32 s46, s54, 16
	s_addc_u32 s47, s55, 0
	s_getpc_b64 s[4:5]
	s_add_u32 s4, s4, .str.16@rel32@lo+4
	s_addc_u32 s5, s5, .str.16@rel32@hi+12
	s_mov_b64 s[48:49], src_private_base
	s_getpc_b64 s[50:51]
	s_add_u32 s50, s50, __PRETTY_FUNCTION__._ZL27array_mixed_type_operationsRN8migraphx4test12test_managerE@rel32@lo+4
	s_addc_u32 s51, s51, __PRETTY_FUNCTION__._ZL27array_mixed_type_operationsRN8migraphx4test12test_managerE@rel32@hi+12
	v_mov_b32_e32 v41, 1
	s_mov_b64 s[8:9], s[46:47]
	s_mov_b32 s12, s58
	s_mov_b32 s13, s57
	;; [unrolled: 1-line block ×3, first 2 shown]
	v_mov_b32_e32 v31, v42
	v_mov_b32_e32 v0, 0x1a8
	v_mov_b32_e32 v1, s63
	v_mov_b32_e32 v2, 8
	v_mov_b32_e32 v3, s49
	v_mov_b32_e32 v4, s4
	v_mov_b32_e32 v5, s5
	v_mov_b32_e32 v6, s50
	v_mov_b32_e32 v7, s51
	v_mov_b32_e32 v8, 0x39b
	buffer_store_byte v41, off, s[0:3], 0 offset:8
	s_getpc_b64 s[52:53]
	s_add_u32 s52, s52, _ZN8migraphx4test12test_manager6failedINS0_14lhs_expressionIbNS0_3nopEEEPFvvEEEvRKT_PKcSC_SC_iT0_@rel32@lo+4
	s_addc_u32 s53, s53, _ZN8migraphx4test12test_manager6failedINS0_14lhs_expressionIbNS0_3nopEEEPFvvEEEvRKT_PKcSC_SC_iT0_@rel32@hi+12
	s_swappc_b64 s[30:31], s[52:53]
	s_getpc_b64 s[4:5]
	s_add_u32 s4, s4, .str.17@rel32@lo+4
	s_addc_u32 s5, s5, .str.17@rel32@hi+12
	s_mov_b64 s[8:9], s[46:47]
	s_mov_b32 s12, s58
	s_mov_b32 s13, s57
	;; [unrolled: 1-line block ×3, first 2 shown]
	v_mov_b32_e32 v31, v42
	v_mov_b32_e32 v0, 0x1a8
	v_mov_b32_e32 v1, s63
	v_mov_b32_e32 v2, 8
	v_mov_b32_e32 v3, s49
	v_mov_b32_e32 v4, s4
	v_mov_b32_e32 v5, s5
	v_mov_b32_e32 v6, s50
	v_mov_b32_e32 v7, s51
	v_mov_b32_e32 v8, 0x39c
	buffer_store_byte v41, off, s[0:3], 0 offset:8
	s_swappc_b64 s[30:31], s[52:53]
.LBB11_19:
	s_mov_b64 s[6:7], 0
	s_mov_b64 s[4:5], -1
.LBB11_20:
	s_andn2_b64 vcc, exec, s[6:7]
	s_cbranch_vccnz .LBB11_12
; %bb.21:
	s_cmp_eq_u32 s59, 0
	s_mov_b64 s[4:5], -1
	s_cbranch_scc0 .LBB11_12
; %bb.22:
	s_add_u32 s8, s54, 16
	v_mov_b32_e32 v0, 0x198
	s_addc_u32 s9, s55, 0
	v_or_b32_e32 v41, 2, v0
	v_mov_b32_e32 v0, 0x6261
	s_getpc_b64 s[4:5]
	s_add_u32 s4, s4, .str.2@rel32@lo+4
	s_addc_u32 s5, s5, .str.2@rel32@hi+12
	s_mov_b64 s[46:47], src_private_base
	buffer_store_short v0, off, s[0:3], 0 offset:408
	v_mov_b32_e32 v0, 1
	s_getpc_b64 s[6:7]
	s_add_u32 s6, s6, __PRETTY_FUNCTION__._ZL21array_different_typesRN8migraphx4test12test_managerE@rel32@lo+4
	s_addc_u32 s7, s7, __PRETTY_FUNCTION__._ZL21array_different_typesRN8migraphx4test12test_managerE@rel32@hi+12
	v_mov_b32_e32 v43, 0x63
	buffer_store_byte v0, off, s[0:3], 0 offset:8
	s_mov_b32 s12, s58
	s_mov_b32 s13, s57
	;; [unrolled: 1-line block ×3, first 2 shown]
	v_mov_b32_e32 v31, v42
	v_mov_b32_e32 v0, 0x1a8
	;; [unrolled: 1-line block ×10, first 2 shown]
	s_movk_i32 s43, 0x63
	buffer_store_byte v43, off, s[0:3], 0 offset:410
	s_getpc_b64 s[10:11]
	s_add_u32 s10, s10, _ZN8migraphx4test12test_manager6failedINS0_14lhs_expressionIbNS0_3nopEEEPFvvEEEvRKT_PKcSC_SC_iT0_@rel32@lo+4
	s_addc_u32 s11, s11, _ZN8migraphx4test12test_manager6failedINS0_14lhs_expressionIbNS0_3nopEEEPFvvEEEvRKT_PKcSC_SC_iT0_@rel32@hi+12
	s_swappc_b64 s[30:31], s[10:11]
	buffer_load_ubyte v0, off, s[0:3], 0 offset:410
	v_mov_b32_e32 v1, s47
	buffer_store_dword v1, off, s[0:3], 0 offset:12
	buffer_store_dword v41, off, s[0:3], 0 offset:8
	buffer_store_byte v43, off, s[0:3], 0 offset:16
	s_waitcnt vmcnt(3)
	v_cmp_ne_u16_e32 vcc, s43, v0
	s_and_saveexec_b64 s[4:5], vcc
	s_xor_b64 s[40:41], exec, s[4:5]
	s_cbranch_execz .LBB11_1757
; %bb.23:
	v_cmp_eq_u32_e32 vcc, 0, v42
	s_and_saveexec_b64 s[42:43], vcc
	s_cbranch_execz .LBB11_1756
; %bb.24:
	s_load_dwordx2 s[44:45], s[54:55], 0x60
	v_mbcnt_lo_u32_b32 v0, -1, 0
	v_mbcnt_hi_u32_b32 v42, -1, v0
	v_readfirstlane_b32 s4, v42
	v_mov_b32_e32 v5, 0
	v_mov_b32_e32 v6, 0
	v_cmp_eq_u32_e64 s[4:5], s4, v42
	s_and_saveexec_b64 s[6:7], s[4:5]
	s_cbranch_execz .LBB11_30
; %bb.25:
	v_mov_b32_e32 v0, 0
	s_waitcnt lgkmcnt(0)
	global_load_dwordx2 v[3:4], v0, s[44:45] offset:24 glc
	s_waitcnt vmcnt(0)
	buffer_wbinvl1_vol
	global_load_dwordx2 v[1:2], v0, s[44:45] offset:40
	global_load_dwordx2 v[5:6], v0, s[44:45]
	s_waitcnt vmcnt(1)
	v_and_b32_e32 v1, v1, v3
	v_and_b32_e32 v2, v2, v4
	v_mul_lo_u32 v2, v2, 24
	v_mul_hi_u32 v7, v1, 24
	v_mul_lo_u32 v1, v1, 24
	v_add_u32_e32 v2, v7, v2
	s_waitcnt vmcnt(0)
	v_add_co_u32_e32 v1, vcc, v5, v1
	v_addc_co_u32_e32 v2, vcc, v6, v2, vcc
	global_load_dwordx2 v[1:2], v[1:2], off glc
	s_waitcnt vmcnt(0)
	global_atomic_cmpswap_x2 v[5:6], v0, v[1:4], s[44:45] offset:24 glc
	s_waitcnt vmcnt(0)
	buffer_wbinvl1_vol
	v_cmp_ne_u64_e32 vcc, v[5:6], v[3:4]
	s_and_saveexec_b64 s[8:9], vcc
	s_cbranch_execz .LBB11_29
; %bb.26:
	s_mov_b64 s[10:11], 0
.LBB11_27:                              ; =>This Inner Loop Header: Depth=1
	s_sleep 1
	global_load_dwordx2 v[1:2], v0, s[44:45] offset:40
	global_load_dwordx2 v[7:8], v0, s[44:45]
	v_mov_b32_e32 v3, v5
	v_mov_b32_e32 v4, v6
	s_waitcnt vmcnt(1)
	v_and_b32_e32 v1, v1, v3
	s_waitcnt vmcnt(0)
	v_mad_u64_u32 v[5:6], s[12:13], v1, 24, v[7:8]
	v_and_b32_e32 v2, v2, v4
	v_mov_b32_e32 v1, v6
	v_mad_u64_u32 v[1:2], s[12:13], v2, 24, v[1:2]
	v_mov_b32_e32 v6, v1
	global_load_dwordx2 v[1:2], v[5:6], off glc
	s_waitcnt vmcnt(0)
	global_atomic_cmpswap_x2 v[5:6], v0, v[1:4], s[44:45] offset:24 glc
	s_waitcnt vmcnt(0)
	buffer_wbinvl1_vol
	v_cmp_eq_u64_e32 vcc, v[5:6], v[3:4]
	s_or_b64 s[10:11], vcc, s[10:11]
	s_andn2_b64 exec, exec, s[10:11]
	s_cbranch_execnz .LBB11_27
; %bb.28:
	s_or_b64 exec, exec, s[10:11]
.LBB11_29:
	s_or_b64 exec, exec, s[8:9]
.LBB11_30:
	s_or_b64 exec, exec, s[6:7]
	v_mov_b32_e32 v4, 0
	s_waitcnt lgkmcnt(0)
	global_load_dwordx2 v[7:8], v4, s[44:45] offset:40
	global_load_dwordx4 v[0:3], v4, s[44:45]
	v_readfirstlane_b32 s6, v5
	v_readfirstlane_b32 s7, v6
	s_mov_b64 s[8:9], exec
	s_waitcnt vmcnt(1)
	v_readfirstlane_b32 s10, v7
	v_readfirstlane_b32 s11, v8
	s_and_b64 s[10:11], s[6:7], s[10:11]
	s_mul_i32 s12, s11, 24
	s_mul_hi_u32 s13, s10, 24
	s_mul_i32 s14, s10, 24
	s_add_i32 s12, s13, s12
	v_mov_b32_e32 v5, s12
	s_waitcnt vmcnt(0)
	v_add_co_u32_e32 v7, vcc, s14, v0
	v_addc_co_u32_e32 v8, vcc, v1, v5, vcc
	s_and_saveexec_b64 s[12:13], s[4:5]
	s_cbranch_execz .LBB11_32
; %bb.31:
	v_mov_b32_e32 v10, s9
	v_mov_b32_e32 v9, s8
	;; [unrolled: 1-line block ×4, first 2 shown]
	global_store_dwordx4 v[7:8], v[9:12], off offset:8
.LBB11_32:
	s_or_b64 exec, exec, s[12:13]
	s_lshl_b64 s[8:9], s[10:11], 12
	v_mov_b32_e32 v5, s9
	v_add_co_u32_e32 v2, vcc, s8, v2
	v_addc_co_u32_e32 v11, vcc, v3, v5, vcc
	s_mov_b32 s8, 0
	v_lshlrev_b32_e32 v41, 6, v42
	v_mov_b32_e32 v3, 33
	v_mov_b32_e32 v5, v4
	;; [unrolled: 1-line block ×3, first 2 shown]
	v_readfirstlane_b32 s12, v2
	v_readfirstlane_b32 s13, v11
	v_add_co_u32_e32 v9, vcc, v2, v41
	s_mov_b32 s9, s8
	s_mov_b32 s10, s8
	;; [unrolled: 1-line block ×3, first 2 shown]
	s_nop 0
	global_store_dwordx4 v41, v[3:6], s[12:13]
	v_mov_b32_e32 v2, s8
	v_addc_co_u32_e32 v10, vcc, 0, v11, vcc
	v_mov_b32_e32 v3, s9
	v_mov_b32_e32 v4, s10
	;; [unrolled: 1-line block ×3, first 2 shown]
	global_store_dwordx4 v41, v[2:5], s[12:13] offset:16
	global_store_dwordx4 v41, v[2:5], s[12:13] offset:32
	;; [unrolled: 1-line block ×3, first 2 shown]
	s_and_saveexec_b64 s[8:9], s[4:5]
	s_cbranch_execz .LBB11_40
; %bb.33:
	v_mov_b32_e32 v6, 0
	global_load_dwordx2 v[13:14], v6, s[44:45] offset:32 glc
	global_load_dwordx2 v[2:3], v6, s[44:45] offset:40
	v_mov_b32_e32 v11, s6
	v_mov_b32_e32 v12, s7
	s_waitcnt vmcnt(0)
	v_and_b32_e32 v2, s6, v2
	v_and_b32_e32 v3, s7, v3
	v_mul_lo_u32 v3, v3, 24
	v_mul_hi_u32 v4, v2, 24
	v_mul_lo_u32 v2, v2, 24
	v_add_u32_e32 v3, v4, v3
	v_add_co_u32_e32 v4, vcc, v0, v2
	v_addc_co_u32_e32 v5, vcc, v1, v3, vcc
	global_store_dwordx2 v[4:5], v[13:14], off
	s_waitcnt vmcnt(0)
	global_atomic_cmpswap_x2 v[2:3], v6, v[11:14], s[44:45] offset:32 glc
	s_waitcnt vmcnt(0)
	v_cmp_ne_u64_e32 vcc, v[2:3], v[13:14]
	s_and_saveexec_b64 s[10:11], vcc
	s_cbranch_execz .LBB11_36
; %bb.34:
	s_mov_b64 s[12:13], 0
.LBB11_35:                              ; =>This Inner Loop Header: Depth=1
	s_sleep 1
	global_store_dwordx2 v[4:5], v[2:3], off
	v_mov_b32_e32 v0, s6
	v_mov_b32_e32 v1, s7
	s_waitcnt vmcnt(0)
	global_atomic_cmpswap_x2 v[0:1], v6, v[0:3], s[44:45] offset:32 glc
	s_waitcnt vmcnt(0)
	v_cmp_eq_u64_e32 vcc, v[0:1], v[2:3]
	v_mov_b32_e32 v3, v1
	s_or_b64 s[12:13], vcc, s[12:13]
	v_mov_b32_e32 v2, v0
	s_andn2_b64 exec, exec, s[12:13]
	s_cbranch_execnz .LBB11_35
.LBB11_36:
	s_or_b64 exec, exec, s[10:11]
	v_mov_b32_e32 v3, 0
	global_load_dwordx2 v[0:1], v3, s[44:45] offset:16
	s_mov_b64 s[10:11], exec
	v_mbcnt_lo_u32_b32 v2, s10, 0
	v_mbcnt_hi_u32_b32 v2, s11, v2
	v_cmp_eq_u32_e32 vcc, 0, v2
	s_and_saveexec_b64 s[12:13], vcc
	s_cbranch_execz .LBB11_38
; %bb.37:
	s_bcnt1_i32_b64 s10, s[10:11]
	v_mov_b32_e32 v2, s10
	s_waitcnt vmcnt(0)
	global_atomic_add_x2 v[0:1], v[2:3], off offset:8
.LBB11_38:
	s_or_b64 exec, exec, s[12:13]
	s_waitcnt vmcnt(0)
	global_load_dwordx2 v[2:3], v[0:1], off offset:16
	s_waitcnt vmcnt(0)
	v_cmp_eq_u64_e32 vcc, 0, v[2:3]
	s_cbranch_vccnz .LBB11_40
; %bb.39:
	global_load_dword v0, v[0:1], off offset:24
	v_mov_b32_e32 v1, 0
	s_waitcnt vmcnt(0)
	global_store_dwordx2 v[2:3], v[0:1], off
	v_and_b32_e32 v0, 0xffffff, v0
	v_readfirstlane_b32 m0, v0
	s_sendmsg sendmsg(MSG_INTERRUPT)
.LBB11_40:
	s_or_b64 exec, exec, s[8:9]
	s_branch .LBB11_44
.LBB11_41:                              ;   in Loop: Header=BB11_44 Depth=1
	s_or_b64 exec, exec, s[8:9]
	v_readfirstlane_b32 s8, v0
	s_cmp_eq_u32 s8, 0
	s_cbranch_scc1 .LBB11_43
; %bb.42:                               ;   in Loop: Header=BB11_44 Depth=1
	s_sleep 1
	s_cbranch_execnz .LBB11_44
	s_branch .LBB11_46
.LBB11_43:
	s_branch .LBB11_46
.LBB11_44:                              ; =>This Inner Loop Header: Depth=1
	v_mov_b32_e32 v0, 1
	s_and_saveexec_b64 s[8:9], s[4:5]
	s_cbranch_execz .LBB11_41
; %bb.45:                               ;   in Loop: Header=BB11_44 Depth=1
	global_load_dword v0, v[7:8], off offset:20 glc
	s_waitcnt vmcnt(0)
	buffer_wbinvl1_vol
	v_and_b32_e32 v0, 1, v0
	s_branch .LBB11_41
.LBB11_46:
	global_load_dwordx2 v[4:5], v[9:10], off
	s_and_saveexec_b64 s[8:9], s[4:5]
	s_cbranch_execz .LBB11_49
; %bb.47:
	v_mov_b32_e32 v8, 0
	global_load_dwordx2 v[2:3], v8, s[44:45] offset:40
	global_load_dwordx2 v[9:10], v8, s[44:45] offset:24 glc
	global_load_dwordx2 v[6:7], v8, s[44:45]
	v_mov_b32_e32 v1, s7
	s_mov_b64 s[4:5], 0
	s_waitcnt vmcnt(2)
	v_add_co_u32_e32 v11, vcc, 1, v2
	v_addc_co_u32_e32 v12, vcc, 0, v3, vcc
	v_add_co_u32_e32 v0, vcc, s6, v11
	v_addc_co_u32_e32 v1, vcc, v12, v1, vcc
	v_cmp_eq_u64_e32 vcc, 0, v[0:1]
	v_cndmask_b32_e32 v1, v1, v12, vcc
	v_cndmask_b32_e32 v0, v0, v11, vcc
	v_and_b32_e32 v3, v1, v3
	v_and_b32_e32 v2, v0, v2
	v_mul_lo_u32 v3, v3, 24
	v_mul_hi_u32 v11, v2, 24
	v_mul_lo_u32 v12, v2, 24
	s_waitcnt vmcnt(1)
	v_mov_b32_e32 v2, v9
	v_add_u32_e32 v3, v11, v3
	s_waitcnt vmcnt(0)
	v_add_co_u32_e32 v6, vcc, v6, v12
	v_addc_co_u32_e32 v7, vcc, v7, v3, vcc
	global_store_dwordx2 v[6:7], v[9:10], off
	v_mov_b32_e32 v3, v10
	s_waitcnt vmcnt(0)
	global_atomic_cmpswap_x2 v[2:3], v8, v[0:3], s[44:45] offset:24 glc
	s_waitcnt vmcnt(0)
	v_cmp_ne_u64_e32 vcc, v[2:3], v[9:10]
	s_and_b64 exec, exec, vcc
	s_cbranch_execz .LBB11_49
.LBB11_48:                              ; =>This Inner Loop Header: Depth=1
	s_sleep 1
	global_store_dwordx2 v[6:7], v[2:3], off
	s_waitcnt vmcnt(0)
	global_atomic_cmpswap_x2 v[9:10], v8, v[0:3], s[44:45] offset:24 glc
	s_waitcnt vmcnt(0)
	v_cmp_eq_u64_e32 vcc, v[9:10], v[2:3]
	v_mov_b32_e32 v2, v9
	s_or_b64 s[4:5], vcc, s[4:5]
	v_mov_b32_e32 v3, v10
	s_andn2_b64 exec, exec, s[4:5]
	s_cbranch_execnz .LBB11_48
.LBB11_49:
	s_or_b64 exec, exec, s[8:9]
	s_getpc_b64 s[8:9]
	s_add_u32 s8, s8, .str.7@rel32@lo+4
	s_addc_u32 s9, s9, .str.7@rel32@hi+12
	s_cmp_lg_u64 s[8:9], 0
	s_cselect_b64 s[6:7], -1, 0
	s_and_b64 vcc, exec, s[6:7]
	s_cbranch_vccz .LBB11_134
; %bb.50:
	s_waitcnt vmcnt(0)
	v_and_b32_e32 v29, 2, v4
	v_mov_b32_e32 v26, 0
	v_and_b32_e32 v0, -3, v4
	v_mov_b32_e32 v1, v5
	s_mov_b64 s[10:11], 3
	v_mov_b32_e32 v8, 2
	v_mov_b32_e32 v9, 1
	s_branch .LBB11_52
.LBB11_51:                              ;   in Loop: Header=BB11_52 Depth=1
	s_or_b64 exec, exec, s[16:17]
	s_sub_u32 s10, s10, s12
	s_subb_u32 s11, s11, s13
	s_add_u32 s8, s8, s12
	s_addc_u32 s9, s9, s13
	s_cmp_lg_u64 s[10:11], 0
	s_cbranch_scc0 .LBB11_133
.LBB11_52:                              ; =>This Loop Header: Depth=1
                                        ;     Child Loop BB11_55 Depth 2
                                        ;     Child Loop BB11_62 Depth 2
	;; [unrolled: 1-line block ×11, first 2 shown]
	v_cmp_lt_u64_e64 s[4:5], s[10:11], 56
	v_cmp_gt_u64_e64 s[14:15], s[10:11], 7
	s_and_b64 s[4:5], s[4:5], exec
	s_cselect_b32 s13, s11, 0
	s_cselect_b32 s12, s10, 56
	s_and_b64 vcc, exec, s[14:15]
	s_cbranch_vccnz .LBB11_57
; %bb.53:                               ;   in Loop: Header=BB11_52 Depth=1
	s_waitcnt vmcnt(0)
	v_mov_b32_e32 v2, 0
	s_cmp_eq_u64 s[10:11], 0
	v_mov_b32_e32 v3, 0
	s_mov_b64 s[4:5], 0
	s_cbranch_scc1 .LBB11_56
; %bb.54:                               ;   in Loop: Header=BB11_52 Depth=1
	v_mov_b32_e32 v2, 0
	s_lshl_b64 s[14:15], s[12:13], 3
	s_mov_b64 s[16:17], 0
	v_mov_b32_e32 v3, 0
	s_mov_b64 s[18:19], s[8:9]
.LBB11_55:                              ;   Parent Loop BB11_52 Depth=1
                                        ; =>  This Inner Loop Header: Depth=2
	global_load_ubyte v6, v26, s[18:19]
	s_waitcnt vmcnt(0)
	v_and_b32_e32 v25, 0xffff, v6
	v_lshlrev_b64 v[6:7], s16, v[25:26]
	s_add_u32 s16, s16, 8
	s_addc_u32 s17, s17, 0
	s_add_u32 s18, s18, 1
	s_addc_u32 s19, s19, 0
	v_or_b32_e32 v2, v6, v2
	s_cmp_lg_u32 s14, s16
	v_or_b32_e32 v3, v7, v3
	s_cbranch_scc1 .LBB11_55
.LBB11_56:                              ;   in Loop: Header=BB11_52 Depth=1
	s_mov_b32 s18, 0
	s_andn2_b64 vcc, exec, s[4:5]
	s_mov_b64 s[4:5], s[8:9]
	s_cbranch_vccz .LBB11_58
	s_branch .LBB11_59
.LBB11_57:                              ;   in Loop: Header=BB11_52 Depth=1
                                        ; implicit-def: $vgpr2_vgpr3
                                        ; implicit-def: $sgpr18
	s_mov_b64 s[4:5], s[8:9]
.LBB11_58:                              ;   in Loop: Header=BB11_52 Depth=1
	global_load_dwordx2 v[2:3], v26, s[8:9]
	s_add_i32 s18, s12, -8
	s_add_u32 s4, s8, 8
	s_addc_u32 s5, s9, 0
.LBB11_59:                              ;   in Loop: Header=BB11_52 Depth=1
	s_cmp_gt_u32 s18, 7
	s_cbranch_scc1 .LBB11_63
; %bb.60:                               ;   in Loop: Header=BB11_52 Depth=1
	s_cmp_eq_u32 s18, 0
	s_cbranch_scc1 .LBB11_64
; %bb.61:                               ;   in Loop: Header=BB11_52 Depth=1
	v_mov_b32_e32 v10, 0
	s_mov_b64 s[14:15], 0
	v_mov_b32_e32 v11, 0
	s_mov_b64 s[16:17], 0
.LBB11_62:                              ;   Parent Loop BB11_52 Depth=1
                                        ; =>  This Inner Loop Header: Depth=2
	s_add_u32 s20, s4, s16
	s_addc_u32 s21, s5, s17
	global_load_ubyte v6, v26, s[20:21]
	s_add_u32 s16, s16, 1
	s_addc_u32 s17, s17, 0
	s_waitcnt vmcnt(0)
	v_and_b32_e32 v25, 0xffff, v6
	v_lshlrev_b64 v[6:7], s14, v[25:26]
	s_add_u32 s14, s14, 8
	s_addc_u32 s15, s15, 0
	v_or_b32_e32 v10, v6, v10
	s_cmp_lg_u32 s18, s16
	v_or_b32_e32 v11, v7, v11
	s_cbranch_scc1 .LBB11_62
	s_branch .LBB11_65
.LBB11_63:                              ;   in Loop: Header=BB11_52 Depth=1
                                        ; implicit-def: $vgpr10_vgpr11
                                        ; implicit-def: $sgpr19
	s_branch .LBB11_66
.LBB11_64:                              ;   in Loop: Header=BB11_52 Depth=1
	v_mov_b32_e32 v10, 0
	v_mov_b32_e32 v11, 0
.LBB11_65:                              ;   in Loop: Header=BB11_52 Depth=1
	s_mov_b32 s19, 0
	s_cbranch_execnz .LBB11_67
.LBB11_66:                              ;   in Loop: Header=BB11_52 Depth=1
	global_load_dwordx2 v[10:11], v26, s[4:5]
	s_add_i32 s19, s18, -8
	s_add_u32 s4, s4, 8
	s_addc_u32 s5, s5, 0
.LBB11_67:                              ;   in Loop: Header=BB11_52 Depth=1
	s_cmp_gt_u32 s19, 7
	s_cbranch_scc1 .LBB11_71
; %bb.68:                               ;   in Loop: Header=BB11_52 Depth=1
	s_cmp_eq_u32 s19, 0
	s_cbranch_scc1 .LBB11_72
; %bb.69:                               ;   in Loop: Header=BB11_52 Depth=1
	v_mov_b32_e32 v12, 0
	s_mov_b64 s[14:15], 0
	v_mov_b32_e32 v13, 0
	s_mov_b64 s[16:17], 0
.LBB11_70:                              ;   Parent Loop BB11_52 Depth=1
                                        ; =>  This Inner Loop Header: Depth=2
	s_add_u32 s20, s4, s16
	s_addc_u32 s21, s5, s17
	global_load_ubyte v6, v26, s[20:21]
	s_add_u32 s16, s16, 1
	s_addc_u32 s17, s17, 0
	s_waitcnt vmcnt(0)
	v_and_b32_e32 v25, 0xffff, v6
	v_lshlrev_b64 v[6:7], s14, v[25:26]
	s_add_u32 s14, s14, 8
	s_addc_u32 s15, s15, 0
	v_or_b32_e32 v12, v6, v12
	s_cmp_lg_u32 s19, s16
	v_or_b32_e32 v13, v7, v13
	s_cbranch_scc1 .LBB11_70
	s_branch .LBB11_73
.LBB11_71:                              ;   in Loop: Header=BB11_52 Depth=1
                                        ; implicit-def: $sgpr18
	s_branch .LBB11_74
.LBB11_72:                              ;   in Loop: Header=BB11_52 Depth=1
	v_mov_b32_e32 v12, 0
	v_mov_b32_e32 v13, 0
.LBB11_73:                              ;   in Loop: Header=BB11_52 Depth=1
	s_mov_b32 s18, 0
	s_cbranch_execnz .LBB11_75
.LBB11_74:                              ;   in Loop: Header=BB11_52 Depth=1
	global_load_dwordx2 v[12:13], v26, s[4:5]
	s_add_i32 s18, s19, -8
	s_add_u32 s4, s4, 8
	s_addc_u32 s5, s5, 0
.LBB11_75:                              ;   in Loop: Header=BB11_52 Depth=1
	s_cmp_gt_u32 s18, 7
	s_cbranch_scc1 .LBB11_79
; %bb.76:                               ;   in Loop: Header=BB11_52 Depth=1
	s_cmp_eq_u32 s18, 0
	s_cbranch_scc1 .LBB11_80
; %bb.77:                               ;   in Loop: Header=BB11_52 Depth=1
	v_mov_b32_e32 v14, 0
	s_mov_b64 s[14:15], 0
	v_mov_b32_e32 v15, 0
	s_mov_b64 s[16:17], 0
.LBB11_78:                              ;   Parent Loop BB11_52 Depth=1
                                        ; =>  This Inner Loop Header: Depth=2
	s_add_u32 s20, s4, s16
	s_addc_u32 s21, s5, s17
	global_load_ubyte v6, v26, s[20:21]
	s_add_u32 s16, s16, 1
	s_addc_u32 s17, s17, 0
	s_waitcnt vmcnt(0)
	v_and_b32_e32 v25, 0xffff, v6
	v_lshlrev_b64 v[6:7], s14, v[25:26]
	s_add_u32 s14, s14, 8
	s_addc_u32 s15, s15, 0
	v_or_b32_e32 v14, v6, v14
	s_cmp_lg_u32 s18, s16
	v_or_b32_e32 v15, v7, v15
	s_cbranch_scc1 .LBB11_78
	s_branch .LBB11_81
.LBB11_79:                              ;   in Loop: Header=BB11_52 Depth=1
                                        ; implicit-def: $vgpr14_vgpr15
                                        ; implicit-def: $sgpr19
	s_branch .LBB11_82
.LBB11_80:                              ;   in Loop: Header=BB11_52 Depth=1
	v_mov_b32_e32 v14, 0
	v_mov_b32_e32 v15, 0
.LBB11_81:                              ;   in Loop: Header=BB11_52 Depth=1
	s_mov_b32 s19, 0
	s_cbranch_execnz .LBB11_83
.LBB11_82:                              ;   in Loop: Header=BB11_52 Depth=1
	global_load_dwordx2 v[14:15], v26, s[4:5]
	s_add_i32 s19, s18, -8
	s_add_u32 s4, s4, 8
	s_addc_u32 s5, s5, 0
.LBB11_83:                              ;   in Loop: Header=BB11_52 Depth=1
	s_cmp_gt_u32 s19, 7
	s_cbranch_scc1 .LBB11_87
; %bb.84:                               ;   in Loop: Header=BB11_52 Depth=1
	s_cmp_eq_u32 s19, 0
	s_cbranch_scc1 .LBB11_88
; %bb.85:                               ;   in Loop: Header=BB11_52 Depth=1
	v_mov_b32_e32 v16, 0
	s_mov_b64 s[14:15], 0
	v_mov_b32_e32 v17, 0
	s_mov_b64 s[16:17], 0
.LBB11_86:                              ;   Parent Loop BB11_52 Depth=1
                                        ; =>  This Inner Loop Header: Depth=2
	s_add_u32 s20, s4, s16
	s_addc_u32 s21, s5, s17
	global_load_ubyte v6, v26, s[20:21]
	s_add_u32 s16, s16, 1
	s_addc_u32 s17, s17, 0
	s_waitcnt vmcnt(0)
	v_and_b32_e32 v25, 0xffff, v6
	v_lshlrev_b64 v[6:7], s14, v[25:26]
	s_add_u32 s14, s14, 8
	s_addc_u32 s15, s15, 0
	v_or_b32_e32 v16, v6, v16
	s_cmp_lg_u32 s19, s16
	v_or_b32_e32 v17, v7, v17
	s_cbranch_scc1 .LBB11_86
	s_branch .LBB11_89
.LBB11_87:                              ;   in Loop: Header=BB11_52 Depth=1
                                        ; implicit-def: $sgpr18
	s_branch .LBB11_90
.LBB11_88:                              ;   in Loop: Header=BB11_52 Depth=1
	v_mov_b32_e32 v16, 0
	v_mov_b32_e32 v17, 0
.LBB11_89:                              ;   in Loop: Header=BB11_52 Depth=1
	s_mov_b32 s18, 0
	s_cbranch_execnz .LBB11_91
.LBB11_90:                              ;   in Loop: Header=BB11_52 Depth=1
	global_load_dwordx2 v[16:17], v26, s[4:5]
	s_add_i32 s18, s19, -8
	s_add_u32 s4, s4, 8
	s_addc_u32 s5, s5, 0
.LBB11_91:                              ;   in Loop: Header=BB11_52 Depth=1
	s_cmp_gt_u32 s18, 7
	s_cbranch_scc1 .LBB11_95
; %bb.92:                               ;   in Loop: Header=BB11_52 Depth=1
	s_cmp_eq_u32 s18, 0
	s_cbranch_scc1 .LBB11_96
; %bb.93:                               ;   in Loop: Header=BB11_52 Depth=1
	v_mov_b32_e32 v18, 0
	s_mov_b64 s[14:15], 0
	v_mov_b32_e32 v19, 0
	s_mov_b64 s[16:17], 0
.LBB11_94:                              ;   Parent Loop BB11_52 Depth=1
                                        ; =>  This Inner Loop Header: Depth=2
	s_add_u32 s20, s4, s16
	s_addc_u32 s21, s5, s17
	global_load_ubyte v6, v26, s[20:21]
	s_add_u32 s16, s16, 1
	s_addc_u32 s17, s17, 0
	s_waitcnt vmcnt(0)
	v_and_b32_e32 v25, 0xffff, v6
	v_lshlrev_b64 v[6:7], s14, v[25:26]
	s_add_u32 s14, s14, 8
	s_addc_u32 s15, s15, 0
	v_or_b32_e32 v18, v6, v18
	s_cmp_lg_u32 s18, s16
	v_or_b32_e32 v19, v7, v19
	s_cbranch_scc1 .LBB11_94
	s_branch .LBB11_97
.LBB11_95:                              ;   in Loop: Header=BB11_52 Depth=1
                                        ; implicit-def: $vgpr18_vgpr19
                                        ; implicit-def: $sgpr19
	s_branch .LBB11_98
.LBB11_96:                              ;   in Loop: Header=BB11_52 Depth=1
	v_mov_b32_e32 v18, 0
	v_mov_b32_e32 v19, 0
.LBB11_97:                              ;   in Loop: Header=BB11_52 Depth=1
	s_mov_b32 s19, 0
	s_cbranch_execnz .LBB11_99
.LBB11_98:                              ;   in Loop: Header=BB11_52 Depth=1
	global_load_dwordx2 v[18:19], v26, s[4:5]
	s_add_i32 s19, s18, -8
	s_add_u32 s4, s4, 8
	s_addc_u32 s5, s5, 0
.LBB11_99:                              ;   in Loop: Header=BB11_52 Depth=1
	s_cmp_gt_u32 s19, 7
	s_cbranch_scc1 .LBB11_103
; %bb.100:                              ;   in Loop: Header=BB11_52 Depth=1
	s_cmp_eq_u32 s19, 0
	s_cbranch_scc1 .LBB11_104
; %bb.101:                              ;   in Loop: Header=BB11_52 Depth=1
	v_mov_b32_e32 v20, 0
	s_mov_b64 s[14:15], 0
	v_mov_b32_e32 v21, 0
	s_mov_b64 s[16:17], s[4:5]
.LBB11_102:                             ;   Parent Loop BB11_52 Depth=1
                                        ; =>  This Inner Loop Header: Depth=2
	global_load_ubyte v6, v26, s[16:17]
	s_add_i32 s19, s19, -1
	s_waitcnt vmcnt(0)
	v_and_b32_e32 v25, 0xffff, v6
	v_lshlrev_b64 v[6:7], s14, v[25:26]
	s_add_u32 s14, s14, 8
	s_addc_u32 s15, s15, 0
	s_add_u32 s16, s16, 1
	s_addc_u32 s17, s17, 0
	v_or_b32_e32 v20, v6, v20
	s_cmp_lg_u32 s19, 0
	v_or_b32_e32 v21, v7, v21
	s_cbranch_scc1 .LBB11_102
	s_branch .LBB11_105
.LBB11_103:                             ;   in Loop: Header=BB11_52 Depth=1
	s_branch .LBB11_106
.LBB11_104:                             ;   in Loop: Header=BB11_52 Depth=1
	v_mov_b32_e32 v20, 0
	v_mov_b32_e32 v21, 0
.LBB11_105:                             ;   in Loop: Header=BB11_52 Depth=1
	s_cbranch_execnz .LBB11_107
.LBB11_106:                             ;   in Loop: Header=BB11_52 Depth=1
	global_load_dwordx2 v[20:21], v26, s[4:5]
.LBB11_107:                             ;   in Loop: Header=BB11_52 Depth=1
	v_readfirstlane_b32 s4, v42
	v_mov_b32_e32 v6, 0
	v_mov_b32_e32 v7, 0
	v_cmp_eq_u32_e64 s[4:5], s4, v42
	s_and_saveexec_b64 s[14:15], s[4:5]
	s_cbranch_execz .LBB11_113
; %bb.108:                              ;   in Loop: Header=BB11_52 Depth=1
	global_load_dwordx2 v[24:25], v26, s[44:45] offset:24 glc
	s_waitcnt vmcnt(0)
	buffer_wbinvl1_vol
	global_load_dwordx2 v[6:7], v26, s[44:45] offset:40
	global_load_dwordx2 v[22:23], v26, s[44:45]
	s_waitcnt vmcnt(1)
	v_and_b32_e32 v6, v6, v24
	v_and_b32_e32 v7, v7, v25
	v_mul_lo_u32 v7, v7, 24
	v_mul_hi_u32 v27, v6, 24
	v_mul_lo_u32 v6, v6, 24
	v_add_u32_e32 v7, v27, v7
	s_waitcnt vmcnt(0)
	v_add_co_u32_e32 v6, vcc, v22, v6
	v_addc_co_u32_e32 v7, vcc, v23, v7, vcc
	global_load_dwordx2 v[22:23], v[6:7], off glc
	s_waitcnt vmcnt(0)
	global_atomic_cmpswap_x2 v[6:7], v26, v[22:25], s[44:45] offset:24 glc
	s_waitcnt vmcnt(0)
	buffer_wbinvl1_vol
	v_cmp_ne_u64_e32 vcc, v[6:7], v[24:25]
	s_and_saveexec_b64 s[16:17], vcc
	s_cbranch_execz .LBB11_112
; %bb.109:                              ;   in Loop: Header=BB11_52 Depth=1
	s_mov_b64 s[18:19], 0
.LBB11_110:                             ;   Parent Loop BB11_52 Depth=1
                                        ; =>  This Inner Loop Header: Depth=2
	s_sleep 1
	global_load_dwordx2 v[22:23], v26, s[44:45] offset:40
	global_load_dwordx2 v[27:28], v26, s[44:45]
	v_mov_b32_e32 v25, v7
	v_mov_b32_e32 v24, v6
	s_waitcnt vmcnt(1)
	v_and_b32_e32 v6, v22, v24
	s_waitcnt vmcnt(0)
	v_mad_u64_u32 v[6:7], s[20:21], v6, 24, v[27:28]
	v_and_b32_e32 v22, v23, v25
	v_mad_u64_u32 v[22:23], s[20:21], v22, 24, v[7:8]
	v_mov_b32_e32 v7, v22
	global_load_dwordx2 v[22:23], v[6:7], off glc
	s_waitcnt vmcnt(0)
	global_atomic_cmpswap_x2 v[6:7], v26, v[22:25], s[44:45] offset:24 glc
	s_waitcnt vmcnt(0)
	buffer_wbinvl1_vol
	v_cmp_eq_u64_e32 vcc, v[6:7], v[24:25]
	s_or_b64 s[18:19], vcc, s[18:19]
	s_andn2_b64 exec, exec, s[18:19]
	s_cbranch_execnz .LBB11_110
; %bb.111:                              ;   in Loop: Header=BB11_52 Depth=1
	s_or_b64 exec, exec, s[18:19]
.LBB11_112:                             ;   in Loop: Header=BB11_52 Depth=1
	s_or_b64 exec, exec, s[16:17]
.LBB11_113:                             ;   in Loop: Header=BB11_52 Depth=1
	s_or_b64 exec, exec, s[14:15]
	global_load_dwordx2 v[27:28], v26, s[44:45] offset:40
	global_load_dwordx4 v[22:25], v26, s[44:45]
	v_readfirstlane_b32 s14, v6
	v_readfirstlane_b32 s15, v7
	s_mov_b64 s[18:19], exec
	s_waitcnt vmcnt(1)
	v_readfirstlane_b32 s16, v27
	v_readfirstlane_b32 s17, v28
	s_and_b64 s[16:17], s[14:15], s[16:17]
	s_mul_i32 s20, s17, 24
	s_mul_hi_u32 s21, s16, 24
	s_mul_i32 s22, s16, 24
	s_add_i32 s20, s21, s20
	v_mov_b32_e32 v6, s20
	s_waitcnt vmcnt(0)
	v_add_co_u32_e32 v27, vcc, s22, v22
	v_addc_co_u32_e32 v28, vcc, v23, v6, vcc
	s_and_saveexec_b64 s[20:21], s[4:5]
	s_cbranch_execz .LBB11_115
; %bb.114:                              ;   in Loop: Header=BB11_52 Depth=1
	v_mov_b32_e32 v6, s18
	v_mov_b32_e32 v7, s19
	global_store_dwordx4 v[27:28], v[6:9], off offset:8
.LBB11_115:                             ;   in Loop: Header=BB11_52 Depth=1
	s_or_b64 exec, exec, s[20:21]
	v_cmp_gt_u64_e64 vcc, s[10:11], 56
	v_or_b32_e32 v6, 0, v1
	v_cndmask_b32_e32 v1, v6, v1, vcc
	v_or_b32_e32 v6, v0, v29
	s_lshl_b32 s18, s12, 2
	s_lshl_b64 s[16:17], s[16:17], 12
	v_cndmask_b32_e32 v0, v6, v0, vcc
	s_add_i32 s18, s18, 28
	v_mov_b32_e32 v6, s17
	v_add_co_u32_e32 v24, vcc, s16, v24
	s_and_b32 s18, s18, 0x1e0
	v_and_b32_e32 v0, 0xffffff1f, v0
	v_addc_co_u32_e32 v30, vcc, v25, v6, vcc
	v_or_b32_e32 v0, s18, v0
	v_readfirstlane_b32 s16, v24
	v_readfirstlane_b32 s17, v30
	s_nop 4
	global_store_dwordx4 v41, v[0:3], s[16:17]
	global_store_dwordx4 v41, v[10:13], s[16:17] offset:16
	global_store_dwordx4 v41, v[14:17], s[16:17] offset:32
	;; [unrolled: 1-line block ×3, first 2 shown]
	s_and_saveexec_b64 s[16:17], s[4:5]
	s_cbranch_execz .LBB11_123
; %bb.116:                              ;   in Loop: Header=BB11_52 Depth=1
	global_load_dwordx2 v[12:13], v26, s[44:45] offset:32 glc
	global_load_dwordx2 v[0:1], v26, s[44:45] offset:40
	v_mov_b32_e32 v10, s14
	v_mov_b32_e32 v11, s15
	s_waitcnt vmcnt(0)
	v_readfirstlane_b32 s18, v0
	v_readfirstlane_b32 s19, v1
	s_and_b64 s[18:19], s[18:19], s[14:15]
	s_mul_i32 s19, s19, 24
	s_mul_hi_u32 s20, s18, 24
	s_mul_i32 s18, s18, 24
	s_add_i32 s19, s20, s19
	v_mov_b32_e32 v0, s19
	v_add_co_u32_e32 v6, vcc, s18, v22
	v_addc_co_u32_e32 v7, vcc, v23, v0, vcc
	global_store_dwordx2 v[6:7], v[12:13], off
	s_waitcnt vmcnt(0)
	global_atomic_cmpswap_x2 v[2:3], v26, v[10:13], s[44:45] offset:32 glc
	s_waitcnt vmcnt(0)
	v_cmp_ne_u64_e32 vcc, v[2:3], v[12:13]
	s_and_saveexec_b64 s[18:19], vcc
	s_cbranch_execz .LBB11_119
; %bb.117:                              ;   in Loop: Header=BB11_52 Depth=1
	s_mov_b64 s[20:21], 0
.LBB11_118:                             ;   Parent Loop BB11_52 Depth=1
                                        ; =>  This Inner Loop Header: Depth=2
	s_sleep 1
	global_store_dwordx2 v[6:7], v[2:3], off
	v_mov_b32_e32 v0, s14
	v_mov_b32_e32 v1, s15
	s_waitcnt vmcnt(0)
	global_atomic_cmpswap_x2 v[0:1], v26, v[0:3], s[44:45] offset:32 glc
	s_waitcnt vmcnt(0)
	v_cmp_eq_u64_e32 vcc, v[0:1], v[2:3]
	v_mov_b32_e32 v3, v1
	s_or_b64 s[20:21], vcc, s[20:21]
	v_mov_b32_e32 v2, v0
	s_andn2_b64 exec, exec, s[20:21]
	s_cbranch_execnz .LBB11_118
.LBB11_119:                             ;   in Loop: Header=BB11_52 Depth=1
	s_or_b64 exec, exec, s[18:19]
	global_load_dwordx2 v[0:1], v26, s[44:45] offset:16
	s_mov_b64 s[20:21], exec
	v_mbcnt_lo_u32_b32 v2, s20, 0
	v_mbcnt_hi_u32_b32 v2, s21, v2
	v_cmp_eq_u32_e32 vcc, 0, v2
	s_and_saveexec_b64 s[18:19], vcc
	s_cbranch_execz .LBB11_121
; %bb.120:                              ;   in Loop: Header=BB11_52 Depth=1
	s_bcnt1_i32_b64 s20, s[20:21]
	v_mov_b32_e32 v25, s20
	s_waitcnt vmcnt(0)
	global_atomic_add_x2 v[0:1], v[25:26], off offset:8
.LBB11_121:                             ;   in Loop: Header=BB11_52 Depth=1
	s_or_b64 exec, exec, s[18:19]
	s_waitcnt vmcnt(0)
	global_load_dwordx2 v[2:3], v[0:1], off offset:16
	s_waitcnt vmcnt(0)
	v_cmp_eq_u64_e32 vcc, 0, v[2:3]
	s_cbranch_vccnz .LBB11_123
; %bb.122:                              ;   in Loop: Header=BB11_52 Depth=1
	global_load_dword v25, v[0:1], off offset:24
	s_waitcnt vmcnt(0)
	v_and_b32_e32 v0, 0xffffff, v25
	v_readfirstlane_b32 m0, v0
	global_store_dwordx2 v[2:3], v[25:26], off
	s_sendmsg sendmsg(MSG_INTERRUPT)
.LBB11_123:                             ;   in Loop: Header=BB11_52 Depth=1
	s_or_b64 exec, exec, s[16:17]
	v_add_co_u32_e32 v0, vcc, v24, v41
	v_addc_co_u32_e32 v1, vcc, 0, v30, vcc
	s_branch .LBB11_127
.LBB11_124:                             ;   in Loop: Header=BB11_127 Depth=2
	s_or_b64 exec, exec, s[16:17]
	v_readfirstlane_b32 s16, v2
	s_cmp_eq_u32 s16, 0
	s_cbranch_scc1 .LBB11_126
; %bb.125:                              ;   in Loop: Header=BB11_127 Depth=2
	s_sleep 1
	s_cbranch_execnz .LBB11_127
	s_branch .LBB11_129
.LBB11_126:                             ;   in Loop: Header=BB11_52 Depth=1
	s_branch .LBB11_129
.LBB11_127:                             ;   Parent Loop BB11_52 Depth=1
                                        ; =>  This Inner Loop Header: Depth=2
	v_mov_b32_e32 v2, 1
	s_and_saveexec_b64 s[16:17], s[4:5]
	s_cbranch_execz .LBB11_124
; %bb.128:                              ;   in Loop: Header=BB11_127 Depth=2
	global_load_dword v2, v[27:28], off offset:20 glc
	s_waitcnt vmcnt(0)
	buffer_wbinvl1_vol
	v_and_b32_e32 v2, 1, v2
	s_branch .LBB11_124
.LBB11_129:                             ;   in Loop: Header=BB11_52 Depth=1
	global_load_dwordx4 v[0:3], v[0:1], off
	s_and_saveexec_b64 s[16:17], s[4:5]
	s_cbranch_execz .LBB11_51
; %bb.130:                              ;   in Loop: Header=BB11_52 Depth=1
	global_load_dwordx2 v[2:3], v26, s[44:45] offset:40
	global_load_dwordx2 v[6:7], v26, s[44:45] offset:24 glc
	global_load_dwordx2 v[13:14], v26, s[44:45]
	v_mov_b32_e32 v11, s15
	s_waitcnt vmcnt(2)
	v_add_co_u32_e32 v12, vcc, 1, v2
	v_addc_co_u32_e32 v15, vcc, 0, v3, vcc
	v_add_co_u32_e32 v10, vcc, s14, v12
	v_addc_co_u32_e32 v11, vcc, v15, v11, vcc
	v_cmp_eq_u64_e32 vcc, 0, v[10:11]
	v_cndmask_b32_e32 v11, v11, v15, vcc
	v_cndmask_b32_e32 v10, v10, v12, vcc
	v_and_b32_e32 v3, v11, v3
	v_and_b32_e32 v2, v10, v2
	v_mul_lo_u32 v3, v3, 24
	v_mul_hi_u32 v15, v2, 24
	v_mul_lo_u32 v2, v2, 24
	s_waitcnt vmcnt(1)
	v_mov_b32_e32 v12, v6
	v_add_u32_e32 v3, v15, v3
	s_waitcnt vmcnt(0)
	v_add_co_u32_e32 v2, vcc, v13, v2
	v_addc_co_u32_e32 v3, vcc, v14, v3, vcc
	global_store_dwordx2 v[2:3], v[6:7], off
	v_mov_b32_e32 v13, v7
	s_waitcnt vmcnt(0)
	global_atomic_cmpswap_x2 v[12:13], v26, v[10:13], s[44:45] offset:24 glc
	s_waitcnt vmcnt(0)
	v_cmp_ne_u64_e32 vcc, v[12:13], v[6:7]
	s_and_b64 exec, exec, vcc
	s_cbranch_execz .LBB11_51
; %bb.131:                              ;   in Loop: Header=BB11_52 Depth=1
	s_mov_b64 s[4:5], 0
.LBB11_132:                             ;   Parent Loop BB11_52 Depth=1
                                        ; =>  This Inner Loop Header: Depth=2
	s_sleep 1
	global_store_dwordx2 v[2:3], v[12:13], off
	s_waitcnt vmcnt(0)
	global_atomic_cmpswap_x2 v[6:7], v26, v[10:13], s[44:45] offset:24 glc
	s_waitcnt vmcnt(0)
	v_cmp_eq_u64_e32 vcc, v[6:7], v[12:13]
	v_mov_b32_e32 v13, v7
	s_or_b64 s[4:5], vcc, s[4:5]
	v_mov_b32_e32 v12, v6
	s_andn2_b64 exec, exec, s[4:5]
	s_cbranch_execnz .LBB11_132
	s_branch .LBB11_51
.LBB11_133:
	s_mov_b64 s[4:5], 0
	s_branch .LBB11_135
.LBB11_134:
	s_mov_b64 s[4:5], -1
                                        ; implicit-def: $vgpr0_vgpr1
.LBB11_135:
	s_and_b64 vcc, exec, s[4:5]
	s_cbranch_vccz .LBB11_162
; %bb.136:
	v_readfirstlane_b32 s4, v42
	v_mov_b32_e32 v7, 0
	v_mov_b32_e32 v8, 0
	v_cmp_eq_u32_e64 s[4:5], s4, v42
	s_and_saveexec_b64 s[8:9], s[4:5]
	s_cbranch_execz .LBB11_142
; %bb.137:
	s_waitcnt vmcnt(0)
	v_mov_b32_e32 v0, 0
	global_load_dwordx2 v[9:10], v0, s[44:45] offset:24 glc
	s_waitcnt vmcnt(0)
	buffer_wbinvl1_vol
	global_load_dwordx2 v[1:2], v0, s[44:45] offset:40
	global_load_dwordx2 v[6:7], v0, s[44:45]
	s_waitcnt vmcnt(1)
	v_and_b32_e32 v1, v1, v9
	v_and_b32_e32 v2, v2, v10
	v_mul_lo_u32 v2, v2, 24
	v_mul_hi_u32 v3, v1, 24
	v_mul_lo_u32 v1, v1, 24
	v_add_u32_e32 v2, v3, v2
	s_waitcnt vmcnt(0)
	v_add_co_u32_e32 v1, vcc, v6, v1
	v_addc_co_u32_e32 v2, vcc, v7, v2, vcc
	global_load_dwordx2 v[7:8], v[1:2], off glc
	s_waitcnt vmcnt(0)
	global_atomic_cmpswap_x2 v[7:8], v0, v[7:10], s[44:45] offset:24 glc
	s_waitcnt vmcnt(0)
	buffer_wbinvl1_vol
	v_cmp_ne_u64_e32 vcc, v[7:8], v[9:10]
	s_and_saveexec_b64 s[10:11], vcc
	s_cbranch_execz .LBB11_141
; %bb.138:
	s_mov_b64 s[12:13], 0
.LBB11_139:                             ; =>This Inner Loop Header: Depth=1
	s_sleep 1
	global_load_dwordx2 v[1:2], v0, s[44:45] offset:40
	global_load_dwordx2 v[11:12], v0, s[44:45]
	v_mov_b32_e32 v10, v8
	v_mov_b32_e32 v9, v7
	s_waitcnt vmcnt(1)
	v_and_b32_e32 v1, v1, v9
	s_waitcnt vmcnt(0)
	v_mad_u64_u32 v[6:7], s[14:15], v1, 24, v[11:12]
	v_and_b32_e32 v2, v2, v10
	v_mov_b32_e32 v1, v7
	v_mad_u64_u32 v[1:2], s[14:15], v2, 24, v[1:2]
	v_mov_b32_e32 v7, v1
	global_load_dwordx2 v[7:8], v[6:7], off glc
	s_waitcnt vmcnt(0)
	global_atomic_cmpswap_x2 v[7:8], v0, v[7:10], s[44:45] offset:24 glc
	s_waitcnt vmcnt(0)
	buffer_wbinvl1_vol
	v_cmp_eq_u64_e32 vcc, v[7:8], v[9:10]
	s_or_b64 s[12:13], vcc, s[12:13]
	s_andn2_b64 exec, exec, s[12:13]
	s_cbranch_execnz .LBB11_139
; %bb.140:
	s_or_b64 exec, exec, s[12:13]
.LBB11_141:
	s_or_b64 exec, exec, s[10:11]
.LBB11_142:
	s_or_b64 exec, exec, s[8:9]
	v_mov_b32_e32 v6, 0
	global_load_dwordx2 v[9:10], v6, s[44:45] offset:40
	global_load_dwordx4 v[0:3], v6, s[44:45]
	v_readfirstlane_b32 s8, v7
	v_readfirstlane_b32 s9, v8
	s_mov_b64 s[10:11], exec
	s_waitcnt vmcnt(1)
	v_readfirstlane_b32 s12, v9
	v_readfirstlane_b32 s13, v10
	s_and_b64 s[12:13], s[8:9], s[12:13]
	s_mul_i32 s14, s13, 24
	s_mul_hi_u32 s15, s12, 24
	s_mul_i32 s16, s12, 24
	s_add_i32 s14, s15, s14
	v_mov_b32_e32 v7, s14
	s_waitcnt vmcnt(0)
	v_add_co_u32_e32 v8, vcc, s16, v0
	v_addc_co_u32_e32 v9, vcc, v1, v7, vcc
	s_and_saveexec_b64 s[14:15], s[4:5]
	s_cbranch_execz .LBB11_144
; %bb.143:
	v_mov_b32_e32 v10, s10
	v_mov_b32_e32 v11, s11
	;; [unrolled: 1-line block ×4, first 2 shown]
	global_store_dwordx4 v[8:9], v[10:13], off offset:8
.LBB11_144:
	s_or_b64 exec, exec, s[14:15]
	s_lshl_b64 s[10:11], s[12:13], 12
	v_mov_b32_e32 v7, s11
	v_add_co_u32_e32 v2, vcc, s10, v2
	v_addc_co_u32_e32 v3, vcc, v3, v7, vcc
	s_movk_i32 s10, 0xff1f
	v_and_or_b32 v4, v4, s10, 32
	v_add_co_u32_e32 v10, vcc, v2, v41
	s_mov_b32 s12, 0
	v_mov_b32_e32 v7, v6
	v_readfirstlane_b32 s10, v2
	v_readfirstlane_b32 s11, v3
	v_addc_co_u32_e32 v11, vcc, 0, v3, vcc
	s_mov_b32 s13, s12
	s_mov_b32 s14, s12
	;; [unrolled: 1-line block ×3, first 2 shown]
	s_nop 0
	global_store_dwordx4 v41, v[4:7], s[10:11]
	v_mov_b32_e32 v2, s12
	v_mov_b32_e32 v3, s13
	;; [unrolled: 1-line block ×4, first 2 shown]
	global_store_dwordx4 v41, v[2:5], s[10:11] offset:16
	global_store_dwordx4 v41, v[2:5], s[10:11] offset:32
	;; [unrolled: 1-line block ×3, first 2 shown]
	s_and_saveexec_b64 s[10:11], s[4:5]
	s_cbranch_execz .LBB11_152
; %bb.145:
	v_mov_b32_e32 v6, 0
	global_load_dwordx2 v[14:15], v6, s[44:45] offset:32 glc
	global_load_dwordx2 v[2:3], v6, s[44:45] offset:40
	v_mov_b32_e32 v12, s8
	v_mov_b32_e32 v13, s9
	s_waitcnt vmcnt(0)
	v_readfirstlane_b32 s12, v2
	v_readfirstlane_b32 s13, v3
	s_and_b64 s[12:13], s[12:13], s[8:9]
	s_mul_i32 s13, s13, 24
	s_mul_hi_u32 s14, s12, 24
	s_mul_i32 s12, s12, 24
	s_add_i32 s13, s14, s13
	v_mov_b32_e32 v2, s13
	v_add_co_u32_e32 v4, vcc, s12, v0
	v_addc_co_u32_e32 v5, vcc, v1, v2, vcc
	global_store_dwordx2 v[4:5], v[14:15], off
	s_waitcnt vmcnt(0)
	global_atomic_cmpswap_x2 v[2:3], v6, v[12:15], s[44:45] offset:32 glc
	s_waitcnt vmcnt(0)
	v_cmp_ne_u64_e32 vcc, v[2:3], v[14:15]
	s_and_saveexec_b64 s[12:13], vcc
	s_cbranch_execz .LBB11_148
; %bb.146:
	s_mov_b64 s[14:15], 0
.LBB11_147:                             ; =>This Inner Loop Header: Depth=1
	s_sleep 1
	global_store_dwordx2 v[4:5], v[2:3], off
	v_mov_b32_e32 v0, s8
	v_mov_b32_e32 v1, s9
	s_waitcnt vmcnt(0)
	global_atomic_cmpswap_x2 v[0:1], v6, v[0:3], s[44:45] offset:32 glc
	s_waitcnt vmcnt(0)
	v_cmp_eq_u64_e32 vcc, v[0:1], v[2:3]
	v_mov_b32_e32 v3, v1
	s_or_b64 s[14:15], vcc, s[14:15]
	v_mov_b32_e32 v2, v0
	s_andn2_b64 exec, exec, s[14:15]
	s_cbranch_execnz .LBB11_147
.LBB11_148:
	s_or_b64 exec, exec, s[12:13]
	v_mov_b32_e32 v3, 0
	global_load_dwordx2 v[0:1], v3, s[44:45] offset:16
	s_mov_b64 s[12:13], exec
	v_mbcnt_lo_u32_b32 v2, s12, 0
	v_mbcnt_hi_u32_b32 v2, s13, v2
	v_cmp_eq_u32_e32 vcc, 0, v2
	s_and_saveexec_b64 s[14:15], vcc
	s_cbranch_execz .LBB11_150
; %bb.149:
	s_bcnt1_i32_b64 s12, s[12:13]
	v_mov_b32_e32 v2, s12
	s_waitcnt vmcnt(0)
	global_atomic_add_x2 v[0:1], v[2:3], off offset:8
.LBB11_150:
	s_or_b64 exec, exec, s[14:15]
	s_waitcnt vmcnt(0)
	global_load_dwordx2 v[2:3], v[0:1], off offset:16
	s_waitcnt vmcnt(0)
	v_cmp_eq_u64_e32 vcc, 0, v[2:3]
	s_cbranch_vccnz .LBB11_152
; %bb.151:
	global_load_dword v0, v[0:1], off offset:24
	v_mov_b32_e32 v1, 0
	s_waitcnt vmcnt(0)
	global_store_dwordx2 v[2:3], v[0:1], off
	v_and_b32_e32 v0, 0xffffff, v0
	v_readfirstlane_b32 m0, v0
	s_sendmsg sendmsg(MSG_INTERRUPT)
.LBB11_152:
	s_or_b64 exec, exec, s[10:11]
	s_branch .LBB11_156
.LBB11_153:                             ;   in Loop: Header=BB11_156 Depth=1
	s_or_b64 exec, exec, s[10:11]
	v_readfirstlane_b32 s10, v0
	s_cmp_eq_u32 s10, 0
	s_cbranch_scc1 .LBB11_155
; %bb.154:                              ;   in Loop: Header=BB11_156 Depth=1
	s_sleep 1
	s_cbranch_execnz .LBB11_156
	s_branch .LBB11_158
.LBB11_155:
	s_branch .LBB11_158
.LBB11_156:                             ; =>This Inner Loop Header: Depth=1
	v_mov_b32_e32 v0, 1
	s_and_saveexec_b64 s[10:11], s[4:5]
	s_cbranch_execz .LBB11_153
; %bb.157:                              ;   in Loop: Header=BB11_156 Depth=1
	global_load_dword v0, v[8:9], off offset:20 glc
	s_waitcnt vmcnt(0)
	buffer_wbinvl1_vol
	v_and_b32_e32 v0, 1, v0
	s_branch .LBB11_153
.LBB11_158:
	global_load_dwordx2 v[0:1], v[10:11], off
	s_and_saveexec_b64 s[10:11], s[4:5]
	s_cbranch_execz .LBB11_161
; %bb.159:
	v_mov_b32_e32 v8, 0
	global_load_dwordx2 v[4:5], v8, s[44:45] offset:40
	global_load_dwordx2 v[9:10], v8, s[44:45] offset:24 glc
	global_load_dwordx2 v[6:7], v8, s[44:45]
	v_mov_b32_e32 v3, s9
	s_mov_b64 s[4:5], 0
	s_waitcnt vmcnt(2)
	v_add_co_u32_e32 v11, vcc, 1, v4
	v_addc_co_u32_e32 v12, vcc, 0, v5, vcc
	v_add_co_u32_e32 v2, vcc, s8, v11
	v_addc_co_u32_e32 v3, vcc, v12, v3, vcc
	v_cmp_eq_u64_e32 vcc, 0, v[2:3]
	v_cndmask_b32_e32 v3, v3, v12, vcc
	v_cndmask_b32_e32 v2, v2, v11, vcc
	v_and_b32_e32 v5, v3, v5
	v_and_b32_e32 v4, v2, v4
	v_mul_lo_u32 v5, v5, 24
	v_mul_hi_u32 v11, v4, 24
	v_mul_lo_u32 v12, v4, 24
	s_waitcnt vmcnt(1)
	v_mov_b32_e32 v4, v9
	v_add_u32_e32 v5, v11, v5
	s_waitcnt vmcnt(0)
	v_add_co_u32_e32 v6, vcc, v6, v12
	v_addc_co_u32_e32 v7, vcc, v7, v5, vcc
	global_store_dwordx2 v[6:7], v[9:10], off
	v_mov_b32_e32 v5, v10
	s_waitcnt vmcnt(0)
	global_atomic_cmpswap_x2 v[4:5], v8, v[2:5], s[44:45] offset:24 glc
	s_waitcnt vmcnt(0)
	v_cmp_ne_u64_e32 vcc, v[4:5], v[9:10]
	s_and_b64 exec, exec, vcc
	s_cbranch_execz .LBB11_161
.LBB11_160:                             ; =>This Inner Loop Header: Depth=1
	s_sleep 1
	global_store_dwordx2 v[6:7], v[4:5], off
	s_waitcnt vmcnt(0)
	global_atomic_cmpswap_x2 v[9:10], v8, v[2:5], s[44:45] offset:24 glc
	s_waitcnt vmcnt(0)
	v_cmp_eq_u64_e32 vcc, v[9:10], v[4:5]
	v_mov_b32_e32 v4, v9
	s_or_b64 s[4:5], vcc, s[4:5]
	v_mov_b32_e32 v5, v10
	s_andn2_b64 exec, exec, s[4:5]
	s_cbranch_execnz .LBB11_160
.LBB11_161:
	s_or_b64 exec, exec, s[10:11]
.LBB11_162:
	s_getpc_b64 s[8:9]
	s_add_u32 s8, s8, __PRETTY_FUNCTION__._ZL21array_different_typesRN8migraphx4test12test_managerE@rel32@lo+4
	s_addc_u32 s9, s9, __PRETTY_FUNCTION__._ZL21array_different_typesRN8migraphx4test12test_managerE@rel32@hi+12
	s_cmp_lg_u64 s[8:9], 0
	s_cbranch_scc0 .LBB11_247
; %bb.163:
	s_waitcnt vmcnt(0)
	v_and_b32_e32 v6, -3, v0
	v_mov_b32_e32 v7, v1
	s_mov_b64 s[10:11], 59
	v_mov_b32_e32 v26, 0
	v_mov_b32_e32 v4, 2
	;; [unrolled: 1-line block ×3, first 2 shown]
	s_branch .LBB11_165
.LBB11_164:                             ;   in Loop: Header=BB11_165 Depth=1
	s_or_b64 exec, exec, s[16:17]
	s_sub_u32 s10, s10, s12
	s_subb_u32 s11, s11, s13
	s_add_u32 s8, s8, s12
	s_addc_u32 s9, s9, s13
	s_cmp_lg_u64 s[10:11], 0
	s_cbranch_scc0 .LBB11_246
.LBB11_165:                             ; =>This Loop Header: Depth=1
                                        ;     Child Loop BB11_168 Depth 2
                                        ;     Child Loop BB11_175 Depth 2
	;; [unrolled: 1-line block ×11, first 2 shown]
	v_cmp_lt_u64_e64 s[4:5], s[10:11], 56
	v_cmp_gt_u64_e64 s[14:15], s[10:11], 7
	s_and_b64 s[4:5], s[4:5], exec
	s_cselect_b32 s13, s11, 0
	s_cselect_b32 s12, s10, 56
	s_and_b64 vcc, exec, s[14:15]
	s_cbranch_vccnz .LBB11_170
; %bb.166:                              ;   in Loop: Header=BB11_165 Depth=1
	s_waitcnt vmcnt(0)
	v_mov_b32_e32 v8, 0
	s_cmp_eq_u64 s[10:11], 0
	v_mov_b32_e32 v9, 0
	s_mov_b64 s[4:5], 0
	s_cbranch_scc1 .LBB11_169
; %bb.167:                              ;   in Loop: Header=BB11_165 Depth=1
	v_mov_b32_e32 v8, 0
	s_lshl_b64 s[14:15], s[12:13], 3
	s_mov_b64 s[16:17], 0
	v_mov_b32_e32 v9, 0
	s_mov_b64 s[18:19], s[8:9]
.LBB11_168:                             ;   Parent Loop BB11_165 Depth=1
                                        ; =>  This Inner Loop Header: Depth=2
	global_load_ubyte v2, v26, s[18:19]
	s_waitcnt vmcnt(0)
	v_and_b32_e32 v25, 0xffff, v2
	v_lshlrev_b64 v[2:3], s16, v[25:26]
	s_add_u32 s16, s16, 8
	s_addc_u32 s17, s17, 0
	s_add_u32 s18, s18, 1
	s_addc_u32 s19, s19, 0
	v_or_b32_e32 v8, v2, v8
	s_cmp_lg_u32 s14, s16
	v_or_b32_e32 v9, v3, v9
	s_cbranch_scc1 .LBB11_168
.LBB11_169:                             ;   in Loop: Header=BB11_165 Depth=1
	s_mov_b32 s18, 0
	s_andn2_b64 vcc, exec, s[4:5]
	s_mov_b64 s[4:5], s[8:9]
	s_cbranch_vccz .LBB11_171
	s_branch .LBB11_172
.LBB11_170:                             ;   in Loop: Header=BB11_165 Depth=1
                                        ; implicit-def: $sgpr18
	s_mov_b64 s[4:5], s[8:9]
.LBB11_171:                             ;   in Loop: Header=BB11_165 Depth=1
	global_load_dwordx2 v[8:9], v26, s[8:9]
	s_add_i32 s18, s12, -8
	s_add_u32 s4, s8, 8
	s_addc_u32 s5, s9, 0
.LBB11_172:                             ;   in Loop: Header=BB11_165 Depth=1
	s_cmp_gt_u32 s18, 7
	s_cbranch_scc1 .LBB11_176
; %bb.173:                              ;   in Loop: Header=BB11_165 Depth=1
	s_cmp_eq_u32 s18, 0
	s_cbranch_scc1 .LBB11_177
; %bb.174:                              ;   in Loop: Header=BB11_165 Depth=1
	v_mov_b32_e32 v10, 0
	s_mov_b64 s[14:15], 0
	v_mov_b32_e32 v11, 0
	s_mov_b64 s[16:17], 0
.LBB11_175:                             ;   Parent Loop BB11_165 Depth=1
                                        ; =>  This Inner Loop Header: Depth=2
	s_add_u32 s20, s4, s16
	s_addc_u32 s21, s5, s17
	global_load_ubyte v2, v26, s[20:21]
	s_add_u32 s16, s16, 1
	s_addc_u32 s17, s17, 0
	s_waitcnt vmcnt(0)
	v_and_b32_e32 v25, 0xffff, v2
	v_lshlrev_b64 v[2:3], s14, v[25:26]
	s_add_u32 s14, s14, 8
	s_addc_u32 s15, s15, 0
	v_or_b32_e32 v10, v2, v10
	s_cmp_lg_u32 s18, s16
	v_or_b32_e32 v11, v3, v11
	s_cbranch_scc1 .LBB11_175
	s_branch .LBB11_178
.LBB11_176:                             ;   in Loop: Header=BB11_165 Depth=1
                                        ; implicit-def: $vgpr10_vgpr11
                                        ; implicit-def: $sgpr19
	s_branch .LBB11_179
.LBB11_177:                             ;   in Loop: Header=BB11_165 Depth=1
	v_mov_b32_e32 v10, 0
	v_mov_b32_e32 v11, 0
.LBB11_178:                             ;   in Loop: Header=BB11_165 Depth=1
	s_mov_b32 s19, 0
	s_cbranch_execnz .LBB11_180
.LBB11_179:                             ;   in Loop: Header=BB11_165 Depth=1
	global_load_dwordx2 v[10:11], v26, s[4:5]
	s_add_i32 s19, s18, -8
	s_add_u32 s4, s4, 8
	s_addc_u32 s5, s5, 0
.LBB11_180:                             ;   in Loop: Header=BB11_165 Depth=1
	s_cmp_gt_u32 s19, 7
	s_cbranch_scc1 .LBB11_184
; %bb.181:                              ;   in Loop: Header=BB11_165 Depth=1
	s_cmp_eq_u32 s19, 0
	s_cbranch_scc1 .LBB11_185
; %bb.182:                              ;   in Loop: Header=BB11_165 Depth=1
	v_mov_b32_e32 v12, 0
	s_mov_b64 s[14:15], 0
	v_mov_b32_e32 v13, 0
	s_mov_b64 s[16:17], 0
.LBB11_183:                             ;   Parent Loop BB11_165 Depth=1
                                        ; =>  This Inner Loop Header: Depth=2
	s_add_u32 s20, s4, s16
	s_addc_u32 s21, s5, s17
	global_load_ubyte v2, v26, s[20:21]
	s_add_u32 s16, s16, 1
	s_addc_u32 s17, s17, 0
	s_waitcnt vmcnt(0)
	v_and_b32_e32 v25, 0xffff, v2
	v_lshlrev_b64 v[2:3], s14, v[25:26]
	s_add_u32 s14, s14, 8
	s_addc_u32 s15, s15, 0
	v_or_b32_e32 v12, v2, v12
	s_cmp_lg_u32 s19, s16
	v_or_b32_e32 v13, v3, v13
	s_cbranch_scc1 .LBB11_183
	s_branch .LBB11_186
.LBB11_184:                             ;   in Loop: Header=BB11_165 Depth=1
                                        ; implicit-def: $sgpr18
	s_branch .LBB11_187
.LBB11_185:                             ;   in Loop: Header=BB11_165 Depth=1
	v_mov_b32_e32 v12, 0
	v_mov_b32_e32 v13, 0
.LBB11_186:                             ;   in Loop: Header=BB11_165 Depth=1
	s_mov_b32 s18, 0
	s_cbranch_execnz .LBB11_188
.LBB11_187:                             ;   in Loop: Header=BB11_165 Depth=1
	global_load_dwordx2 v[12:13], v26, s[4:5]
	s_add_i32 s18, s19, -8
	s_add_u32 s4, s4, 8
	s_addc_u32 s5, s5, 0
.LBB11_188:                             ;   in Loop: Header=BB11_165 Depth=1
	s_cmp_gt_u32 s18, 7
	s_cbranch_scc1 .LBB11_192
; %bb.189:                              ;   in Loop: Header=BB11_165 Depth=1
	s_cmp_eq_u32 s18, 0
	s_cbranch_scc1 .LBB11_193
; %bb.190:                              ;   in Loop: Header=BB11_165 Depth=1
	v_mov_b32_e32 v14, 0
	s_mov_b64 s[14:15], 0
	v_mov_b32_e32 v15, 0
	s_mov_b64 s[16:17], 0
.LBB11_191:                             ;   Parent Loop BB11_165 Depth=1
                                        ; =>  This Inner Loop Header: Depth=2
	s_add_u32 s20, s4, s16
	s_addc_u32 s21, s5, s17
	global_load_ubyte v2, v26, s[20:21]
	s_add_u32 s16, s16, 1
	s_addc_u32 s17, s17, 0
	s_waitcnt vmcnt(0)
	v_and_b32_e32 v25, 0xffff, v2
	v_lshlrev_b64 v[2:3], s14, v[25:26]
	s_add_u32 s14, s14, 8
	s_addc_u32 s15, s15, 0
	v_or_b32_e32 v14, v2, v14
	s_cmp_lg_u32 s18, s16
	v_or_b32_e32 v15, v3, v15
	s_cbranch_scc1 .LBB11_191
	s_branch .LBB11_194
.LBB11_192:                             ;   in Loop: Header=BB11_165 Depth=1
                                        ; implicit-def: $vgpr14_vgpr15
                                        ; implicit-def: $sgpr19
	s_branch .LBB11_195
.LBB11_193:                             ;   in Loop: Header=BB11_165 Depth=1
	v_mov_b32_e32 v14, 0
	v_mov_b32_e32 v15, 0
.LBB11_194:                             ;   in Loop: Header=BB11_165 Depth=1
	s_mov_b32 s19, 0
	s_cbranch_execnz .LBB11_196
.LBB11_195:                             ;   in Loop: Header=BB11_165 Depth=1
	global_load_dwordx2 v[14:15], v26, s[4:5]
	s_add_i32 s19, s18, -8
	s_add_u32 s4, s4, 8
	s_addc_u32 s5, s5, 0
.LBB11_196:                             ;   in Loop: Header=BB11_165 Depth=1
	s_cmp_gt_u32 s19, 7
	s_cbranch_scc1 .LBB11_200
; %bb.197:                              ;   in Loop: Header=BB11_165 Depth=1
	s_cmp_eq_u32 s19, 0
	s_cbranch_scc1 .LBB11_201
; %bb.198:                              ;   in Loop: Header=BB11_165 Depth=1
	v_mov_b32_e32 v16, 0
	s_mov_b64 s[14:15], 0
	v_mov_b32_e32 v17, 0
	s_mov_b64 s[16:17], 0
.LBB11_199:                             ;   Parent Loop BB11_165 Depth=1
                                        ; =>  This Inner Loop Header: Depth=2
	s_add_u32 s20, s4, s16
	s_addc_u32 s21, s5, s17
	global_load_ubyte v2, v26, s[20:21]
	s_add_u32 s16, s16, 1
	s_addc_u32 s17, s17, 0
	s_waitcnt vmcnt(0)
	v_and_b32_e32 v25, 0xffff, v2
	v_lshlrev_b64 v[2:3], s14, v[25:26]
	s_add_u32 s14, s14, 8
	s_addc_u32 s15, s15, 0
	v_or_b32_e32 v16, v2, v16
	s_cmp_lg_u32 s19, s16
	v_or_b32_e32 v17, v3, v17
	s_cbranch_scc1 .LBB11_199
	s_branch .LBB11_202
.LBB11_200:                             ;   in Loop: Header=BB11_165 Depth=1
                                        ; implicit-def: $sgpr18
	s_branch .LBB11_203
.LBB11_201:                             ;   in Loop: Header=BB11_165 Depth=1
	v_mov_b32_e32 v16, 0
	v_mov_b32_e32 v17, 0
.LBB11_202:                             ;   in Loop: Header=BB11_165 Depth=1
	s_mov_b32 s18, 0
	s_cbranch_execnz .LBB11_204
.LBB11_203:                             ;   in Loop: Header=BB11_165 Depth=1
	global_load_dwordx2 v[16:17], v26, s[4:5]
	s_add_i32 s18, s19, -8
	s_add_u32 s4, s4, 8
	s_addc_u32 s5, s5, 0
.LBB11_204:                             ;   in Loop: Header=BB11_165 Depth=1
	s_cmp_gt_u32 s18, 7
	s_cbranch_scc1 .LBB11_208
; %bb.205:                              ;   in Loop: Header=BB11_165 Depth=1
	s_cmp_eq_u32 s18, 0
	s_cbranch_scc1 .LBB11_209
; %bb.206:                              ;   in Loop: Header=BB11_165 Depth=1
	v_mov_b32_e32 v18, 0
	s_mov_b64 s[14:15], 0
	v_mov_b32_e32 v19, 0
	s_mov_b64 s[16:17], 0
.LBB11_207:                             ;   Parent Loop BB11_165 Depth=1
                                        ; =>  This Inner Loop Header: Depth=2
	s_add_u32 s20, s4, s16
	s_addc_u32 s21, s5, s17
	global_load_ubyte v2, v26, s[20:21]
	s_add_u32 s16, s16, 1
	s_addc_u32 s17, s17, 0
	s_waitcnt vmcnt(0)
	v_and_b32_e32 v25, 0xffff, v2
	v_lshlrev_b64 v[2:3], s14, v[25:26]
	s_add_u32 s14, s14, 8
	s_addc_u32 s15, s15, 0
	v_or_b32_e32 v18, v2, v18
	s_cmp_lg_u32 s18, s16
	v_or_b32_e32 v19, v3, v19
	s_cbranch_scc1 .LBB11_207
	s_branch .LBB11_210
.LBB11_208:                             ;   in Loop: Header=BB11_165 Depth=1
                                        ; implicit-def: $vgpr18_vgpr19
                                        ; implicit-def: $sgpr19
	s_branch .LBB11_211
.LBB11_209:                             ;   in Loop: Header=BB11_165 Depth=1
	v_mov_b32_e32 v18, 0
	v_mov_b32_e32 v19, 0
.LBB11_210:                             ;   in Loop: Header=BB11_165 Depth=1
	s_mov_b32 s19, 0
	s_cbranch_execnz .LBB11_212
.LBB11_211:                             ;   in Loop: Header=BB11_165 Depth=1
	global_load_dwordx2 v[18:19], v26, s[4:5]
	s_add_i32 s19, s18, -8
	s_add_u32 s4, s4, 8
	s_addc_u32 s5, s5, 0
.LBB11_212:                             ;   in Loop: Header=BB11_165 Depth=1
	s_cmp_gt_u32 s19, 7
	s_cbranch_scc1 .LBB11_216
; %bb.213:                              ;   in Loop: Header=BB11_165 Depth=1
	s_cmp_eq_u32 s19, 0
	s_cbranch_scc1 .LBB11_217
; %bb.214:                              ;   in Loop: Header=BB11_165 Depth=1
	v_mov_b32_e32 v20, 0
	s_mov_b64 s[14:15], 0
	v_mov_b32_e32 v21, 0
	s_mov_b64 s[16:17], s[4:5]
.LBB11_215:                             ;   Parent Loop BB11_165 Depth=1
                                        ; =>  This Inner Loop Header: Depth=2
	global_load_ubyte v2, v26, s[16:17]
	s_add_i32 s19, s19, -1
	s_waitcnt vmcnt(0)
	v_and_b32_e32 v25, 0xffff, v2
	v_lshlrev_b64 v[2:3], s14, v[25:26]
	s_add_u32 s14, s14, 8
	s_addc_u32 s15, s15, 0
	s_add_u32 s16, s16, 1
	s_addc_u32 s17, s17, 0
	v_or_b32_e32 v20, v2, v20
	s_cmp_lg_u32 s19, 0
	v_or_b32_e32 v21, v3, v21
	s_cbranch_scc1 .LBB11_215
	s_branch .LBB11_218
.LBB11_216:                             ;   in Loop: Header=BB11_165 Depth=1
	s_branch .LBB11_219
.LBB11_217:                             ;   in Loop: Header=BB11_165 Depth=1
	v_mov_b32_e32 v20, 0
	v_mov_b32_e32 v21, 0
.LBB11_218:                             ;   in Loop: Header=BB11_165 Depth=1
	s_cbranch_execnz .LBB11_220
.LBB11_219:                             ;   in Loop: Header=BB11_165 Depth=1
	global_load_dwordx2 v[20:21], v26, s[4:5]
.LBB11_220:                             ;   in Loop: Header=BB11_165 Depth=1
	v_readfirstlane_b32 s4, v42
	v_mov_b32_e32 v2, 0
	v_mov_b32_e32 v3, 0
	v_cmp_eq_u32_e64 s[4:5], s4, v42
	s_and_saveexec_b64 s[14:15], s[4:5]
	s_cbranch_execz .LBB11_226
; %bb.221:                              ;   in Loop: Header=BB11_165 Depth=1
	global_load_dwordx2 v[24:25], v26, s[44:45] offset:24 glc
	s_waitcnt vmcnt(0)
	buffer_wbinvl1_vol
	global_load_dwordx2 v[2:3], v26, s[44:45] offset:40
	global_load_dwordx2 v[22:23], v26, s[44:45]
	s_waitcnt vmcnt(1)
	v_and_b32_e32 v2, v2, v24
	v_and_b32_e32 v3, v3, v25
	v_mul_lo_u32 v3, v3, 24
	v_mul_hi_u32 v27, v2, 24
	v_mul_lo_u32 v2, v2, 24
	v_add_u32_e32 v3, v27, v3
	s_waitcnt vmcnt(0)
	v_add_co_u32_e32 v2, vcc, v22, v2
	v_addc_co_u32_e32 v3, vcc, v23, v3, vcc
	global_load_dwordx2 v[22:23], v[2:3], off glc
	s_waitcnt vmcnt(0)
	global_atomic_cmpswap_x2 v[2:3], v26, v[22:25], s[44:45] offset:24 glc
	s_waitcnt vmcnt(0)
	buffer_wbinvl1_vol
	v_cmp_ne_u64_e32 vcc, v[2:3], v[24:25]
	s_and_saveexec_b64 s[16:17], vcc
	s_cbranch_execz .LBB11_225
; %bb.222:                              ;   in Loop: Header=BB11_165 Depth=1
	s_mov_b64 s[18:19], 0
.LBB11_223:                             ;   Parent Loop BB11_165 Depth=1
                                        ; =>  This Inner Loop Header: Depth=2
	s_sleep 1
	global_load_dwordx2 v[22:23], v26, s[44:45] offset:40
	global_load_dwordx2 v[27:28], v26, s[44:45]
	v_mov_b32_e32 v25, v3
	v_mov_b32_e32 v24, v2
	s_waitcnt vmcnt(1)
	v_and_b32_e32 v2, v22, v24
	s_waitcnt vmcnt(0)
	v_mad_u64_u32 v[2:3], s[20:21], v2, 24, v[27:28]
	v_and_b32_e32 v22, v23, v25
	v_mad_u64_u32 v[22:23], s[20:21], v22, 24, v[3:4]
	v_mov_b32_e32 v3, v22
	global_load_dwordx2 v[22:23], v[2:3], off glc
	s_waitcnt vmcnt(0)
	global_atomic_cmpswap_x2 v[2:3], v26, v[22:25], s[44:45] offset:24 glc
	s_waitcnt vmcnt(0)
	buffer_wbinvl1_vol
	v_cmp_eq_u64_e32 vcc, v[2:3], v[24:25]
	s_or_b64 s[18:19], vcc, s[18:19]
	s_andn2_b64 exec, exec, s[18:19]
	s_cbranch_execnz .LBB11_223
; %bb.224:                              ;   in Loop: Header=BB11_165 Depth=1
	s_or_b64 exec, exec, s[18:19]
.LBB11_225:                             ;   in Loop: Header=BB11_165 Depth=1
	s_or_b64 exec, exec, s[16:17]
.LBB11_226:                             ;   in Loop: Header=BB11_165 Depth=1
	s_or_b64 exec, exec, s[14:15]
	global_load_dwordx2 v[27:28], v26, s[44:45] offset:40
	global_load_dwordx4 v[22:25], v26, s[44:45]
	v_readfirstlane_b32 s14, v2
	v_readfirstlane_b32 s15, v3
	s_mov_b64 s[16:17], exec
	s_waitcnt vmcnt(1)
	v_readfirstlane_b32 s18, v27
	v_readfirstlane_b32 s19, v28
	s_and_b64 s[18:19], s[14:15], s[18:19]
	s_mul_i32 s20, s19, 24
	s_mul_hi_u32 s21, s18, 24
	s_mul_i32 s22, s18, 24
	s_add_i32 s20, s21, s20
	v_mov_b32_e32 v2, s20
	s_waitcnt vmcnt(0)
	v_add_co_u32_e32 v27, vcc, s22, v22
	v_addc_co_u32_e32 v28, vcc, v23, v2, vcc
	s_and_saveexec_b64 s[20:21], s[4:5]
	s_cbranch_execz .LBB11_228
; %bb.227:                              ;   in Loop: Header=BB11_165 Depth=1
	v_mov_b32_e32 v2, s16
	v_mov_b32_e32 v3, s17
	global_store_dwordx4 v[27:28], v[2:5], off offset:8
.LBB11_228:                             ;   in Loop: Header=BB11_165 Depth=1
	s_or_b64 exec, exec, s[20:21]
	s_lshl_b64 s[16:17], s[18:19], 12
	v_mov_b32_e32 v2, s17
	v_add_co_u32_e32 v24, vcc, s16, v24
	v_addc_co_u32_e32 v29, vcc, v25, v2, vcc
	v_cmp_gt_u64_e64 vcc, s[10:11], 56
	v_or_b32_e32 v2, 2, v6
	s_lshl_b32 s16, s12, 2
	v_cndmask_b32_e32 v2, v2, v6, vcc
	s_add_i32 s16, s16, 28
	s_and_b32 s16, s16, 0x1e0
	v_and_b32_e32 v2, 0xffffff1f, v2
	v_or_b32_e32 v6, s16, v2
	v_readfirstlane_b32 s16, v24
	v_readfirstlane_b32 s17, v29
	s_nop 4
	global_store_dwordx4 v41, v[6:9], s[16:17]
	global_store_dwordx4 v41, v[10:13], s[16:17] offset:16
	global_store_dwordx4 v41, v[14:17], s[16:17] offset:32
	;; [unrolled: 1-line block ×3, first 2 shown]
	s_and_saveexec_b64 s[16:17], s[4:5]
	s_cbranch_execz .LBB11_236
; %bb.229:                              ;   in Loop: Header=BB11_165 Depth=1
	global_load_dwordx2 v[10:11], v26, s[44:45] offset:32 glc
	global_load_dwordx2 v[2:3], v26, s[44:45] offset:40
	v_mov_b32_e32 v8, s14
	v_mov_b32_e32 v9, s15
	s_waitcnt vmcnt(0)
	v_readfirstlane_b32 s18, v2
	v_readfirstlane_b32 s19, v3
	s_and_b64 s[18:19], s[18:19], s[14:15]
	s_mul_i32 s19, s19, 24
	s_mul_hi_u32 s20, s18, 24
	s_mul_i32 s18, s18, 24
	s_add_i32 s19, s20, s19
	v_mov_b32_e32 v3, s19
	v_add_co_u32_e32 v2, vcc, s18, v22
	v_addc_co_u32_e32 v3, vcc, v23, v3, vcc
	global_store_dwordx2 v[2:3], v[10:11], off
	s_waitcnt vmcnt(0)
	global_atomic_cmpswap_x2 v[8:9], v26, v[8:11], s[44:45] offset:32 glc
	s_waitcnt vmcnt(0)
	v_cmp_ne_u64_e32 vcc, v[8:9], v[10:11]
	s_and_saveexec_b64 s[18:19], vcc
	s_cbranch_execz .LBB11_232
; %bb.230:                              ;   in Loop: Header=BB11_165 Depth=1
	s_mov_b64 s[20:21], 0
.LBB11_231:                             ;   Parent Loop BB11_165 Depth=1
                                        ; =>  This Inner Loop Header: Depth=2
	s_sleep 1
	global_store_dwordx2 v[2:3], v[8:9], off
	v_mov_b32_e32 v6, s14
	v_mov_b32_e32 v7, s15
	s_waitcnt vmcnt(0)
	global_atomic_cmpswap_x2 v[6:7], v26, v[6:9], s[44:45] offset:32 glc
	s_waitcnt vmcnt(0)
	v_cmp_eq_u64_e32 vcc, v[6:7], v[8:9]
	v_mov_b32_e32 v9, v7
	s_or_b64 s[20:21], vcc, s[20:21]
	v_mov_b32_e32 v8, v6
	s_andn2_b64 exec, exec, s[20:21]
	s_cbranch_execnz .LBB11_231
.LBB11_232:                             ;   in Loop: Header=BB11_165 Depth=1
	s_or_b64 exec, exec, s[18:19]
	global_load_dwordx2 v[2:3], v26, s[44:45] offset:16
	s_mov_b64 s[20:21], exec
	v_mbcnt_lo_u32_b32 v6, s20, 0
	v_mbcnt_hi_u32_b32 v6, s21, v6
	v_cmp_eq_u32_e32 vcc, 0, v6
	s_and_saveexec_b64 s[18:19], vcc
	s_cbranch_execz .LBB11_234
; %bb.233:                              ;   in Loop: Header=BB11_165 Depth=1
	s_bcnt1_i32_b64 s20, s[20:21]
	v_mov_b32_e32 v25, s20
	s_waitcnt vmcnt(0)
	global_atomic_add_x2 v[2:3], v[25:26], off offset:8
.LBB11_234:                             ;   in Loop: Header=BB11_165 Depth=1
	s_or_b64 exec, exec, s[18:19]
	s_waitcnt vmcnt(0)
	global_load_dwordx2 v[6:7], v[2:3], off offset:16
	s_waitcnt vmcnt(0)
	v_cmp_eq_u64_e32 vcc, 0, v[6:7]
	s_cbranch_vccnz .LBB11_236
; %bb.235:                              ;   in Loop: Header=BB11_165 Depth=1
	global_load_dword v25, v[2:3], off offset:24
	s_waitcnt vmcnt(0)
	v_and_b32_e32 v2, 0xffffff, v25
	v_readfirstlane_b32 m0, v2
	global_store_dwordx2 v[6:7], v[25:26], off
	s_sendmsg sendmsg(MSG_INTERRUPT)
.LBB11_236:                             ;   in Loop: Header=BB11_165 Depth=1
	s_or_b64 exec, exec, s[16:17]
	v_add_co_u32_e32 v2, vcc, v24, v41
	v_addc_co_u32_e32 v3, vcc, 0, v29, vcc
	s_branch .LBB11_240
.LBB11_237:                             ;   in Loop: Header=BB11_240 Depth=2
	s_or_b64 exec, exec, s[16:17]
	v_readfirstlane_b32 s16, v6
	s_cmp_eq_u32 s16, 0
	s_cbranch_scc1 .LBB11_239
; %bb.238:                              ;   in Loop: Header=BB11_240 Depth=2
	s_sleep 1
	s_cbranch_execnz .LBB11_240
	s_branch .LBB11_242
.LBB11_239:                             ;   in Loop: Header=BB11_165 Depth=1
	s_branch .LBB11_242
.LBB11_240:                             ;   Parent Loop BB11_165 Depth=1
                                        ; =>  This Inner Loop Header: Depth=2
	v_mov_b32_e32 v6, 1
	s_and_saveexec_b64 s[16:17], s[4:5]
	s_cbranch_execz .LBB11_237
; %bb.241:                              ;   in Loop: Header=BB11_240 Depth=2
	global_load_dword v6, v[27:28], off offset:20 glc
	s_waitcnt vmcnt(0)
	buffer_wbinvl1_vol
	v_and_b32_e32 v6, 1, v6
	s_branch .LBB11_237
.LBB11_242:                             ;   in Loop: Header=BB11_165 Depth=1
	global_load_dwordx4 v[6:9], v[2:3], off
	s_and_saveexec_b64 s[16:17], s[4:5]
	s_cbranch_execz .LBB11_164
; %bb.243:                              ;   in Loop: Header=BB11_165 Depth=1
	global_load_dwordx2 v[2:3], v26, s[44:45] offset:40
	global_load_dwordx2 v[12:13], v26, s[44:45] offset:24 glc
	global_load_dwordx2 v[14:15], v26, s[44:45]
	s_waitcnt vmcnt(3)
	v_mov_b32_e32 v9, s15
	s_waitcnt vmcnt(2)
	v_add_co_u32_e32 v10, vcc, 1, v2
	v_addc_co_u32_e32 v11, vcc, 0, v3, vcc
	v_add_co_u32_e32 v8, vcc, s14, v10
	v_addc_co_u32_e32 v9, vcc, v11, v9, vcc
	v_cmp_eq_u64_e32 vcc, 0, v[8:9]
	v_cndmask_b32_e32 v9, v9, v11, vcc
	v_cndmask_b32_e32 v8, v8, v10, vcc
	v_and_b32_e32 v3, v9, v3
	v_and_b32_e32 v2, v8, v2
	v_mul_lo_u32 v3, v3, 24
	v_mul_hi_u32 v11, v2, 24
	v_mul_lo_u32 v2, v2, 24
	s_waitcnt vmcnt(1)
	v_mov_b32_e32 v10, v12
	v_add_u32_e32 v3, v11, v3
	s_waitcnt vmcnt(0)
	v_add_co_u32_e32 v2, vcc, v14, v2
	v_addc_co_u32_e32 v3, vcc, v15, v3, vcc
	global_store_dwordx2 v[2:3], v[12:13], off
	v_mov_b32_e32 v11, v13
	s_waitcnt vmcnt(0)
	global_atomic_cmpswap_x2 v[10:11], v26, v[8:11], s[44:45] offset:24 glc
	s_waitcnt vmcnt(0)
	v_cmp_ne_u64_e32 vcc, v[10:11], v[12:13]
	s_and_b64 exec, exec, vcc
	s_cbranch_execz .LBB11_164
; %bb.244:                              ;   in Loop: Header=BB11_165 Depth=1
	s_mov_b64 s[4:5], 0
.LBB11_245:                             ;   Parent Loop BB11_165 Depth=1
                                        ; =>  This Inner Loop Header: Depth=2
	s_sleep 1
	global_store_dwordx2 v[2:3], v[10:11], off
	s_waitcnt vmcnt(0)
	global_atomic_cmpswap_x2 v[12:13], v26, v[8:11], s[44:45] offset:24 glc
	s_waitcnt vmcnt(0)
	v_cmp_eq_u64_e32 vcc, v[12:13], v[10:11]
	v_mov_b32_e32 v10, v12
	s_or_b64 s[4:5], vcc, s[4:5]
	v_mov_b32_e32 v11, v13
	s_andn2_b64 exec, exec, s[4:5]
	s_cbranch_execnz .LBB11_245
	s_branch .LBB11_164
.LBB11_246:
	s_mov_b64 s[4:5], 0
	s_branch .LBB11_248
.LBB11_247:
	s_mov_b64 s[4:5], -1
.LBB11_248:
	s_and_b64 vcc, exec, s[4:5]
	s_cbranch_vccz .LBB11_275
; %bb.249:
	v_readfirstlane_b32 s4, v42
	s_waitcnt vmcnt(0)
	v_mov_b32_e32 v8, 0
	v_mov_b32_e32 v9, 0
	v_cmp_eq_u32_e64 s[4:5], s4, v42
	s_and_saveexec_b64 s[8:9], s[4:5]
	s_cbranch_execz .LBB11_255
; %bb.250:
	v_mov_b32_e32 v2, 0
	global_load_dwordx2 v[5:6], v2, s[44:45] offset:24 glc
	s_waitcnt vmcnt(0)
	buffer_wbinvl1_vol
	global_load_dwordx2 v[3:4], v2, s[44:45] offset:40
	global_load_dwordx2 v[7:8], v2, s[44:45]
	s_waitcnt vmcnt(1)
	v_and_b32_e32 v3, v3, v5
	v_and_b32_e32 v4, v4, v6
	v_mul_lo_u32 v4, v4, 24
	v_mul_hi_u32 v9, v3, 24
	v_mul_lo_u32 v3, v3, 24
	v_add_u32_e32 v4, v9, v4
	s_waitcnt vmcnt(0)
	v_add_co_u32_e32 v3, vcc, v7, v3
	v_addc_co_u32_e32 v4, vcc, v8, v4, vcc
	global_load_dwordx2 v[3:4], v[3:4], off glc
	s_waitcnt vmcnt(0)
	global_atomic_cmpswap_x2 v[8:9], v2, v[3:6], s[44:45] offset:24 glc
	s_waitcnt vmcnt(0)
	buffer_wbinvl1_vol
	v_cmp_ne_u64_e32 vcc, v[8:9], v[5:6]
	s_and_saveexec_b64 s[10:11], vcc
	s_cbranch_execz .LBB11_254
; %bb.251:
	s_mov_b64 s[12:13], 0
.LBB11_252:                             ; =>This Inner Loop Header: Depth=1
	s_sleep 1
	global_load_dwordx2 v[3:4], v2, s[44:45] offset:40
	global_load_dwordx2 v[10:11], v2, s[44:45]
	v_mov_b32_e32 v5, v8
	v_mov_b32_e32 v6, v9
	s_waitcnt vmcnt(1)
	v_and_b32_e32 v3, v3, v5
	s_waitcnt vmcnt(0)
	v_mad_u64_u32 v[7:8], s[14:15], v3, 24, v[10:11]
	v_and_b32_e32 v4, v4, v6
	v_mov_b32_e32 v3, v8
	v_mad_u64_u32 v[3:4], s[14:15], v4, 24, v[3:4]
	v_mov_b32_e32 v8, v3
	global_load_dwordx2 v[3:4], v[7:8], off glc
	s_waitcnt vmcnt(0)
	global_atomic_cmpswap_x2 v[8:9], v2, v[3:6], s[44:45] offset:24 glc
	s_waitcnt vmcnt(0)
	buffer_wbinvl1_vol
	v_cmp_eq_u64_e32 vcc, v[8:9], v[5:6]
	s_or_b64 s[12:13], vcc, s[12:13]
	s_andn2_b64 exec, exec, s[12:13]
	s_cbranch_execnz .LBB11_252
; %bb.253:
	s_or_b64 exec, exec, s[12:13]
.LBB11_254:
	s_or_b64 exec, exec, s[10:11]
.LBB11_255:
	s_or_b64 exec, exec, s[8:9]
	v_mov_b32_e32 v2, 0
	global_load_dwordx2 v[10:11], v2, s[44:45] offset:40
	global_load_dwordx4 v[4:7], v2, s[44:45]
	v_readfirstlane_b32 s8, v8
	v_readfirstlane_b32 s9, v9
	s_mov_b64 s[10:11], exec
	s_waitcnt vmcnt(1)
	v_readfirstlane_b32 s12, v10
	v_readfirstlane_b32 s13, v11
	s_and_b64 s[12:13], s[8:9], s[12:13]
	s_mul_i32 s14, s13, 24
	s_mul_hi_u32 s15, s12, 24
	s_mul_i32 s16, s12, 24
	s_add_i32 s14, s15, s14
	v_mov_b32_e32 v3, s14
	s_waitcnt vmcnt(0)
	v_add_co_u32_e32 v8, vcc, s16, v4
	v_addc_co_u32_e32 v9, vcc, v5, v3, vcc
	s_and_saveexec_b64 s[14:15], s[4:5]
	s_cbranch_execz .LBB11_257
; %bb.256:
	v_mov_b32_e32 v10, s10
	v_mov_b32_e32 v11, s11
	;; [unrolled: 1-line block ×4, first 2 shown]
	global_store_dwordx4 v[8:9], v[10:13], off offset:8
.LBB11_257:
	s_or_b64 exec, exec, s[14:15]
	s_lshl_b64 s[10:11], s[12:13], 12
	v_mov_b32_e32 v3, s11
	v_add_co_u32_e32 v6, vcc, s10, v6
	v_addc_co_u32_e32 v7, vcc, v7, v3, vcc
	s_movk_i32 s10, 0xff1d
	v_and_or_b32 v0, v0, s10, 34
	s_mov_b32 s12, 0
	v_mov_b32_e32 v3, v2
	v_readfirstlane_b32 s10, v6
	v_readfirstlane_b32 s11, v7
	s_mov_b32 s13, s12
	s_mov_b32 s14, s12
	;; [unrolled: 1-line block ×3, first 2 shown]
	s_nop 1
	global_store_dwordx4 v41, v[0:3], s[10:11]
	s_nop 0
	v_mov_b32_e32 v0, s12
	v_mov_b32_e32 v1, s13
	;; [unrolled: 1-line block ×4, first 2 shown]
	global_store_dwordx4 v41, v[0:3], s[10:11] offset:16
	global_store_dwordx4 v41, v[0:3], s[10:11] offset:32
	global_store_dwordx4 v41, v[0:3], s[10:11] offset:48
	s_and_saveexec_b64 s[10:11], s[4:5]
	s_cbranch_execz .LBB11_265
; %bb.258:
	v_mov_b32_e32 v6, 0
	global_load_dwordx2 v[12:13], v6, s[44:45] offset:32 glc
	global_load_dwordx2 v[0:1], v6, s[44:45] offset:40
	v_mov_b32_e32 v10, s8
	v_mov_b32_e32 v11, s9
	s_waitcnt vmcnt(0)
	v_readfirstlane_b32 s12, v0
	v_readfirstlane_b32 s13, v1
	s_and_b64 s[12:13], s[12:13], s[8:9]
	s_mul_i32 s13, s13, 24
	s_mul_hi_u32 s14, s12, 24
	s_mul_i32 s12, s12, 24
	s_add_i32 s13, s14, s13
	v_mov_b32_e32 v0, s13
	v_add_co_u32_e32 v4, vcc, s12, v4
	v_addc_co_u32_e32 v5, vcc, v5, v0, vcc
	global_store_dwordx2 v[4:5], v[12:13], off
	s_waitcnt vmcnt(0)
	global_atomic_cmpswap_x2 v[2:3], v6, v[10:13], s[44:45] offset:32 glc
	s_waitcnt vmcnt(0)
	v_cmp_ne_u64_e32 vcc, v[2:3], v[12:13]
	s_and_saveexec_b64 s[12:13], vcc
	s_cbranch_execz .LBB11_261
; %bb.259:
	s_mov_b64 s[14:15], 0
.LBB11_260:                             ; =>This Inner Loop Header: Depth=1
	s_sleep 1
	global_store_dwordx2 v[4:5], v[2:3], off
	v_mov_b32_e32 v0, s8
	v_mov_b32_e32 v1, s9
	s_waitcnt vmcnt(0)
	global_atomic_cmpswap_x2 v[0:1], v6, v[0:3], s[44:45] offset:32 glc
	s_waitcnt vmcnt(0)
	v_cmp_eq_u64_e32 vcc, v[0:1], v[2:3]
	v_mov_b32_e32 v3, v1
	s_or_b64 s[14:15], vcc, s[14:15]
	v_mov_b32_e32 v2, v0
	s_andn2_b64 exec, exec, s[14:15]
	s_cbranch_execnz .LBB11_260
.LBB11_261:
	s_or_b64 exec, exec, s[12:13]
	v_mov_b32_e32 v3, 0
	global_load_dwordx2 v[0:1], v3, s[44:45] offset:16
	s_mov_b64 s[12:13], exec
	v_mbcnt_lo_u32_b32 v2, s12, 0
	v_mbcnt_hi_u32_b32 v2, s13, v2
	v_cmp_eq_u32_e32 vcc, 0, v2
	s_and_saveexec_b64 s[14:15], vcc
	s_cbranch_execz .LBB11_263
; %bb.262:
	s_bcnt1_i32_b64 s12, s[12:13]
	v_mov_b32_e32 v2, s12
	s_waitcnt vmcnt(0)
	global_atomic_add_x2 v[0:1], v[2:3], off offset:8
.LBB11_263:
	s_or_b64 exec, exec, s[14:15]
	s_waitcnt vmcnt(0)
	global_load_dwordx2 v[2:3], v[0:1], off offset:16
	s_waitcnt vmcnt(0)
	v_cmp_eq_u64_e32 vcc, 0, v[2:3]
	s_cbranch_vccnz .LBB11_265
; %bb.264:
	global_load_dword v0, v[0:1], off offset:24
	v_mov_b32_e32 v1, 0
	s_waitcnt vmcnt(0)
	global_store_dwordx2 v[2:3], v[0:1], off
	v_and_b32_e32 v0, 0xffffff, v0
	v_readfirstlane_b32 m0, v0
	s_sendmsg sendmsg(MSG_INTERRUPT)
.LBB11_265:
	s_or_b64 exec, exec, s[10:11]
	s_branch .LBB11_269
.LBB11_266:                             ;   in Loop: Header=BB11_269 Depth=1
	s_or_b64 exec, exec, s[10:11]
	v_readfirstlane_b32 s10, v0
	s_cmp_eq_u32 s10, 0
	s_cbranch_scc1 .LBB11_268
; %bb.267:                              ;   in Loop: Header=BB11_269 Depth=1
	s_sleep 1
	s_cbranch_execnz .LBB11_269
	s_branch .LBB11_271
.LBB11_268:
	s_branch .LBB11_271
.LBB11_269:                             ; =>This Inner Loop Header: Depth=1
	v_mov_b32_e32 v0, 1
	s_and_saveexec_b64 s[10:11], s[4:5]
	s_cbranch_execz .LBB11_266
; %bb.270:                              ;   in Loop: Header=BB11_269 Depth=1
	global_load_dword v0, v[8:9], off offset:20 glc
	s_waitcnt vmcnt(0)
	buffer_wbinvl1_vol
	v_and_b32_e32 v0, 1, v0
	s_branch .LBB11_266
.LBB11_271:
	s_and_saveexec_b64 s[10:11], s[4:5]
	s_cbranch_execz .LBB11_274
; %bb.272:
	v_mov_b32_e32 v6, 0
	global_load_dwordx2 v[2:3], v6, s[44:45] offset:40
	global_load_dwordx2 v[7:8], v6, s[44:45] offset:24 glc
	global_load_dwordx2 v[4:5], v6, s[44:45]
	v_mov_b32_e32 v1, s9
	s_mov_b64 s[4:5], 0
	s_waitcnt vmcnt(2)
	v_add_co_u32_e32 v9, vcc, 1, v2
	v_addc_co_u32_e32 v10, vcc, 0, v3, vcc
	v_add_co_u32_e32 v0, vcc, s8, v9
	v_addc_co_u32_e32 v1, vcc, v10, v1, vcc
	v_cmp_eq_u64_e32 vcc, 0, v[0:1]
	v_cndmask_b32_e32 v1, v1, v10, vcc
	v_cndmask_b32_e32 v0, v0, v9, vcc
	v_and_b32_e32 v3, v1, v3
	v_and_b32_e32 v2, v0, v2
	v_mul_lo_u32 v3, v3, 24
	v_mul_hi_u32 v9, v2, 24
	v_mul_lo_u32 v10, v2, 24
	s_waitcnt vmcnt(1)
	v_mov_b32_e32 v2, v7
	v_add_u32_e32 v3, v9, v3
	s_waitcnt vmcnt(0)
	v_add_co_u32_e32 v4, vcc, v4, v10
	v_addc_co_u32_e32 v5, vcc, v5, v3, vcc
	global_store_dwordx2 v[4:5], v[7:8], off
	v_mov_b32_e32 v3, v8
	s_waitcnt vmcnt(0)
	global_atomic_cmpswap_x2 v[2:3], v6, v[0:3], s[44:45] offset:24 glc
	s_waitcnt vmcnt(0)
	v_cmp_ne_u64_e32 vcc, v[2:3], v[7:8]
	s_and_b64 exec, exec, vcc
	s_cbranch_execz .LBB11_274
.LBB11_273:                             ; =>This Inner Loop Header: Depth=1
	s_sleep 1
	global_store_dwordx2 v[4:5], v[2:3], off
	s_waitcnt vmcnt(0)
	global_atomic_cmpswap_x2 v[7:8], v6, v[0:3], s[44:45] offset:24 glc
	s_waitcnt vmcnt(0)
	v_cmp_eq_u64_e32 vcc, v[7:8], v[2:3]
	v_mov_b32_e32 v2, v7
	s_or_b64 s[4:5], vcc, s[4:5]
	v_mov_b32_e32 v3, v8
	s_andn2_b64 exec, exec, s[4:5]
	s_cbranch_execnz .LBB11_273
.LBB11_274:
	s_or_b64 exec, exec, s[10:11]
.LBB11_275:
	v_readfirstlane_b32 s4, v42
	s_waitcnt vmcnt(0)
	v_mov_b32_e32 v5, 0
	v_mov_b32_e32 v6, 0
	v_cmp_eq_u32_e64 s[4:5], s4, v42
	s_and_saveexec_b64 s[8:9], s[4:5]
	s_cbranch_execz .LBB11_281
; %bb.276:
	v_mov_b32_e32 v0, 0
	global_load_dwordx2 v[3:4], v0, s[44:45] offset:24 glc
	s_waitcnt vmcnt(0)
	buffer_wbinvl1_vol
	global_load_dwordx2 v[1:2], v0, s[44:45] offset:40
	global_load_dwordx2 v[5:6], v0, s[44:45]
	s_waitcnt vmcnt(1)
	v_and_b32_e32 v1, v1, v3
	v_and_b32_e32 v2, v2, v4
	v_mul_lo_u32 v2, v2, 24
	v_mul_hi_u32 v7, v1, 24
	v_mul_lo_u32 v1, v1, 24
	v_add_u32_e32 v2, v7, v2
	s_waitcnt vmcnt(0)
	v_add_co_u32_e32 v1, vcc, v5, v1
	v_addc_co_u32_e32 v2, vcc, v6, v2, vcc
	global_load_dwordx2 v[1:2], v[1:2], off glc
	s_waitcnt vmcnt(0)
	global_atomic_cmpswap_x2 v[5:6], v0, v[1:4], s[44:45] offset:24 glc
	s_waitcnt vmcnt(0)
	buffer_wbinvl1_vol
	v_cmp_ne_u64_e32 vcc, v[5:6], v[3:4]
	s_and_saveexec_b64 s[10:11], vcc
	s_cbranch_execz .LBB11_280
; %bb.277:
	s_mov_b64 s[12:13], 0
.LBB11_278:                             ; =>This Inner Loop Header: Depth=1
	s_sleep 1
	global_load_dwordx2 v[1:2], v0, s[44:45] offset:40
	global_load_dwordx2 v[7:8], v0, s[44:45]
	v_mov_b32_e32 v3, v5
	v_mov_b32_e32 v4, v6
	s_waitcnt vmcnt(1)
	v_and_b32_e32 v1, v1, v3
	s_waitcnt vmcnt(0)
	v_mad_u64_u32 v[5:6], s[14:15], v1, 24, v[7:8]
	v_and_b32_e32 v2, v2, v4
	v_mov_b32_e32 v1, v6
	v_mad_u64_u32 v[1:2], s[14:15], v2, 24, v[1:2]
	v_mov_b32_e32 v6, v1
	global_load_dwordx2 v[1:2], v[5:6], off glc
	s_waitcnt vmcnt(0)
	global_atomic_cmpswap_x2 v[5:6], v0, v[1:4], s[44:45] offset:24 glc
	s_waitcnt vmcnt(0)
	buffer_wbinvl1_vol
	v_cmp_eq_u64_e32 vcc, v[5:6], v[3:4]
	s_or_b64 s[12:13], vcc, s[12:13]
	s_andn2_b64 exec, exec, s[12:13]
	s_cbranch_execnz .LBB11_278
; %bb.279:
	s_or_b64 exec, exec, s[12:13]
.LBB11_280:
	s_or_b64 exec, exec, s[10:11]
.LBB11_281:
	s_or_b64 exec, exec, s[8:9]
	v_mov_b32_e32 v4, 0
	global_load_dwordx2 v[7:8], v4, s[44:45] offset:40
	global_load_dwordx4 v[0:3], v4, s[44:45]
	v_readfirstlane_b32 s8, v5
	v_readfirstlane_b32 s9, v6
	s_mov_b64 s[10:11], exec
	s_waitcnt vmcnt(1)
	v_readfirstlane_b32 s12, v7
	v_readfirstlane_b32 s13, v8
	s_and_b64 s[12:13], s[8:9], s[12:13]
	s_mul_i32 s14, s13, 24
	s_mul_hi_u32 s15, s12, 24
	s_mul_i32 s16, s12, 24
	s_add_i32 s14, s15, s14
	v_mov_b32_e32 v5, s14
	s_waitcnt vmcnt(0)
	v_add_co_u32_e32 v7, vcc, s16, v0
	v_addc_co_u32_e32 v8, vcc, v1, v5, vcc
	s_and_saveexec_b64 s[14:15], s[4:5]
	s_cbranch_execz .LBB11_283
; %bb.282:
	v_mov_b32_e32 v9, s10
	v_mov_b32_e32 v10, s11
	;; [unrolled: 1-line block ×4, first 2 shown]
	global_store_dwordx4 v[7:8], v[9:12], off offset:8
.LBB11_283:
	s_or_b64 exec, exec, s[14:15]
	s_lshl_b64 s[10:11], s[12:13], 12
	v_mov_b32_e32 v5, s11
	v_add_co_u32_e32 v2, vcc, s10, v2
	v_addc_co_u32_e32 v11, vcc, v3, v5, vcc
	s_mov_b32 s12, 0
	v_mov_b32_e32 v3, 33
	v_mov_b32_e32 v5, v4
	v_mov_b32_e32 v6, v4
	v_readfirstlane_b32 s10, v2
	v_readfirstlane_b32 s11, v11
	v_add_co_u32_e32 v9, vcc, v2, v41
	s_mov_b32 s13, s12
	s_mov_b32 s14, s12
	s_mov_b32 s15, s12
	s_nop 0
	global_store_dwordx4 v41, v[3:6], s[10:11]
	v_mov_b32_e32 v2, s12
	v_addc_co_u32_e32 v10, vcc, 0, v11, vcc
	v_mov_b32_e32 v3, s13
	v_mov_b32_e32 v4, s14
	;; [unrolled: 1-line block ×3, first 2 shown]
	global_store_dwordx4 v41, v[2:5], s[10:11] offset:16
	global_store_dwordx4 v41, v[2:5], s[10:11] offset:32
	;; [unrolled: 1-line block ×3, first 2 shown]
	s_and_saveexec_b64 s[10:11], s[4:5]
	s_cbranch_execz .LBB11_291
; %bb.284:
	v_mov_b32_e32 v6, 0
	global_load_dwordx2 v[13:14], v6, s[44:45] offset:32 glc
	global_load_dwordx2 v[2:3], v6, s[44:45] offset:40
	v_mov_b32_e32 v11, s8
	v_mov_b32_e32 v12, s9
	s_waitcnt vmcnt(0)
	v_readfirstlane_b32 s12, v2
	v_readfirstlane_b32 s13, v3
	s_and_b64 s[12:13], s[12:13], s[8:9]
	s_mul_i32 s13, s13, 24
	s_mul_hi_u32 s14, s12, 24
	s_mul_i32 s12, s12, 24
	s_add_i32 s13, s14, s13
	v_mov_b32_e32 v2, s13
	v_add_co_u32_e32 v4, vcc, s12, v0
	v_addc_co_u32_e32 v5, vcc, v1, v2, vcc
	global_store_dwordx2 v[4:5], v[13:14], off
	s_waitcnt vmcnt(0)
	global_atomic_cmpswap_x2 v[2:3], v6, v[11:14], s[44:45] offset:32 glc
	s_waitcnt vmcnt(0)
	v_cmp_ne_u64_e32 vcc, v[2:3], v[13:14]
	s_and_saveexec_b64 s[12:13], vcc
	s_cbranch_execz .LBB11_287
; %bb.285:
	s_mov_b64 s[14:15], 0
.LBB11_286:                             ; =>This Inner Loop Header: Depth=1
	s_sleep 1
	global_store_dwordx2 v[4:5], v[2:3], off
	v_mov_b32_e32 v0, s8
	v_mov_b32_e32 v1, s9
	s_waitcnt vmcnt(0)
	global_atomic_cmpswap_x2 v[0:1], v6, v[0:3], s[44:45] offset:32 glc
	s_waitcnt vmcnt(0)
	v_cmp_eq_u64_e32 vcc, v[0:1], v[2:3]
	v_mov_b32_e32 v3, v1
	s_or_b64 s[14:15], vcc, s[14:15]
	v_mov_b32_e32 v2, v0
	s_andn2_b64 exec, exec, s[14:15]
	s_cbranch_execnz .LBB11_286
.LBB11_287:
	s_or_b64 exec, exec, s[12:13]
	v_mov_b32_e32 v3, 0
	global_load_dwordx2 v[0:1], v3, s[44:45] offset:16
	s_mov_b64 s[12:13], exec
	v_mbcnt_lo_u32_b32 v2, s12, 0
	v_mbcnt_hi_u32_b32 v2, s13, v2
	v_cmp_eq_u32_e32 vcc, 0, v2
	s_and_saveexec_b64 s[14:15], vcc
	s_cbranch_execz .LBB11_289
; %bb.288:
	s_bcnt1_i32_b64 s12, s[12:13]
	v_mov_b32_e32 v2, s12
	s_waitcnt vmcnt(0)
	global_atomic_add_x2 v[0:1], v[2:3], off offset:8
.LBB11_289:
	s_or_b64 exec, exec, s[14:15]
	s_waitcnt vmcnt(0)
	global_load_dwordx2 v[2:3], v[0:1], off offset:16
	s_waitcnt vmcnt(0)
	v_cmp_eq_u64_e32 vcc, 0, v[2:3]
	s_cbranch_vccnz .LBB11_291
; %bb.290:
	global_load_dword v0, v[0:1], off offset:24
	v_mov_b32_e32 v1, 0
	s_waitcnt vmcnt(0)
	global_store_dwordx2 v[2:3], v[0:1], off
	v_and_b32_e32 v0, 0xffffff, v0
	v_readfirstlane_b32 m0, v0
	s_sendmsg sendmsg(MSG_INTERRUPT)
.LBB11_291:
	s_or_b64 exec, exec, s[10:11]
	s_branch .LBB11_295
.LBB11_292:                             ;   in Loop: Header=BB11_295 Depth=1
	s_or_b64 exec, exec, s[10:11]
	v_readfirstlane_b32 s10, v0
	s_cmp_eq_u32 s10, 0
	s_cbranch_scc1 .LBB11_294
; %bb.293:                              ;   in Loop: Header=BB11_295 Depth=1
	s_sleep 1
	s_cbranch_execnz .LBB11_295
	s_branch .LBB11_297
.LBB11_294:
	s_branch .LBB11_297
.LBB11_295:                             ; =>This Inner Loop Header: Depth=1
	v_mov_b32_e32 v0, 1
	s_and_saveexec_b64 s[10:11], s[4:5]
	s_cbranch_execz .LBB11_292
; %bb.296:                              ;   in Loop: Header=BB11_295 Depth=1
	global_load_dword v0, v[7:8], off offset:20 glc
	s_waitcnt vmcnt(0)
	buffer_wbinvl1_vol
	v_and_b32_e32 v0, 1, v0
	s_branch .LBB11_292
.LBB11_297:
	global_load_dwordx2 v[0:1], v[9:10], off
	s_and_saveexec_b64 s[10:11], s[4:5]
	s_cbranch_execz .LBB11_300
; %bb.298:
	v_mov_b32_e32 v8, 0
	global_load_dwordx2 v[4:5], v8, s[44:45] offset:40
	global_load_dwordx2 v[9:10], v8, s[44:45] offset:24 glc
	global_load_dwordx2 v[6:7], v8, s[44:45]
	v_mov_b32_e32 v3, s9
	s_mov_b64 s[4:5], 0
	s_waitcnt vmcnt(2)
	v_add_co_u32_e32 v11, vcc, 1, v4
	v_addc_co_u32_e32 v12, vcc, 0, v5, vcc
	v_add_co_u32_e32 v2, vcc, s8, v11
	v_addc_co_u32_e32 v3, vcc, v12, v3, vcc
	v_cmp_eq_u64_e32 vcc, 0, v[2:3]
	v_cndmask_b32_e32 v3, v3, v12, vcc
	v_cndmask_b32_e32 v2, v2, v11, vcc
	v_and_b32_e32 v5, v3, v5
	v_and_b32_e32 v4, v2, v4
	v_mul_lo_u32 v5, v5, 24
	v_mul_hi_u32 v11, v4, 24
	v_mul_lo_u32 v12, v4, 24
	s_waitcnt vmcnt(1)
	v_mov_b32_e32 v4, v9
	v_add_u32_e32 v5, v11, v5
	s_waitcnt vmcnt(0)
	v_add_co_u32_e32 v6, vcc, v6, v12
	v_addc_co_u32_e32 v7, vcc, v7, v5, vcc
	global_store_dwordx2 v[6:7], v[9:10], off
	v_mov_b32_e32 v5, v10
	s_waitcnt vmcnt(0)
	global_atomic_cmpswap_x2 v[4:5], v8, v[2:5], s[44:45] offset:24 glc
	s_waitcnt vmcnt(0)
	v_cmp_ne_u64_e32 vcc, v[4:5], v[9:10]
	s_and_b64 exec, exec, vcc
	s_cbranch_execz .LBB11_300
.LBB11_299:                             ; =>This Inner Loop Header: Depth=1
	s_sleep 1
	global_store_dwordx2 v[6:7], v[4:5], off
	s_waitcnt vmcnt(0)
	global_atomic_cmpswap_x2 v[9:10], v8, v[2:5], s[44:45] offset:24 glc
	s_waitcnt vmcnt(0)
	v_cmp_eq_u64_e32 vcc, v[9:10], v[4:5]
	v_mov_b32_e32 v4, v9
	s_or_b64 s[4:5], vcc, s[4:5]
	v_mov_b32_e32 v5, v10
	s_andn2_b64 exec, exec, s[4:5]
	s_cbranch_execnz .LBB11_299
.LBB11_300:
	s_or_b64 exec, exec, s[10:11]
	s_getpc_b64 s[8:9]
	s_add_u32 s8, s8, .str.8@rel32@lo+4
	s_addc_u32 s9, s9, .str.8@rel32@hi+12
	s_cmp_lg_u64 s[8:9], 0
	s_cselect_b64 s[46:47], -1, 0
	s_and_b64 vcc, exec, s[46:47]
	s_cbranch_vccz .LBB11_385
; %bb.301:
	s_waitcnt vmcnt(0)
	v_and_b32_e32 v31, 2, v0
	v_mov_b32_e32 v28, 0
	v_and_b32_e32 v2, -3, v0
	v_mov_b32_e32 v3, v1
	s_mov_b64 s[10:11], 3
	v_mov_b32_e32 v6, 2
	v_mov_b32_e32 v7, 1
	s_branch .LBB11_303
.LBB11_302:                             ;   in Loop: Header=BB11_303 Depth=1
	s_or_b64 exec, exec, s[16:17]
	s_sub_u32 s10, s10, s12
	s_subb_u32 s11, s11, s13
	s_add_u32 s8, s8, s12
	s_addc_u32 s9, s9, s13
	s_cmp_lg_u64 s[10:11], 0
	s_cbranch_scc0 .LBB11_384
.LBB11_303:                             ; =>This Loop Header: Depth=1
                                        ;     Child Loop BB11_306 Depth 2
                                        ;     Child Loop BB11_313 Depth 2
	;; [unrolled: 1-line block ×11, first 2 shown]
	v_cmp_lt_u64_e64 s[4:5], s[10:11], 56
	v_cmp_gt_u64_e64 s[14:15], s[10:11], 7
	s_and_b64 s[4:5], s[4:5], exec
	s_cselect_b32 s13, s11, 0
	s_cselect_b32 s12, s10, 56
	s_and_b64 vcc, exec, s[14:15]
	s_cbranch_vccnz .LBB11_308
; %bb.304:                              ;   in Loop: Header=BB11_303 Depth=1
	v_mov_b32_e32 v10, 0
	s_cmp_eq_u64 s[10:11], 0
	v_mov_b32_e32 v11, 0
	s_mov_b64 s[4:5], 0
	s_cbranch_scc1 .LBB11_307
; %bb.305:                              ;   in Loop: Header=BB11_303 Depth=1
	v_mov_b32_e32 v10, 0
	s_lshl_b64 s[14:15], s[12:13], 3
	s_mov_b64 s[16:17], 0
	v_mov_b32_e32 v11, 0
	s_mov_b64 s[18:19], s[8:9]
.LBB11_306:                             ;   Parent Loop BB11_303 Depth=1
                                        ; =>  This Inner Loop Header: Depth=2
	global_load_ubyte v4, v28, s[18:19]
	s_waitcnt vmcnt(0)
	v_and_b32_e32 v27, 0xffff, v4
	v_lshlrev_b64 v[4:5], s16, v[27:28]
	s_add_u32 s16, s16, 8
	s_addc_u32 s17, s17, 0
	s_add_u32 s18, s18, 1
	s_addc_u32 s19, s19, 0
	v_or_b32_e32 v10, v4, v10
	s_cmp_lg_u32 s14, s16
	v_or_b32_e32 v11, v5, v11
	s_cbranch_scc1 .LBB11_306
.LBB11_307:                             ;   in Loop: Header=BB11_303 Depth=1
	s_mov_b32 s18, 0
	s_andn2_b64 vcc, exec, s[4:5]
	s_mov_b64 s[4:5], s[8:9]
	s_cbranch_vccz .LBB11_309
	s_branch .LBB11_310
.LBB11_308:                             ;   in Loop: Header=BB11_303 Depth=1
                                        ; implicit-def: $vgpr10_vgpr11
                                        ; implicit-def: $sgpr18
	s_mov_b64 s[4:5], s[8:9]
.LBB11_309:                             ;   in Loop: Header=BB11_303 Depth=1
	global_load_dwordx2 v[10:11], v28, s[8:9]
	s_add_i32 s18, s12, -8
	s_add_u32 s4, s8, 8
	s_addc_u32 s5, s9, 0
.LBB11_310:                             ;   in Loop: Header=BB11_303 Depth=1
	s_cmp_gt_u32 s18, 7
	s_cbranch_scc1 .LBB11_314
; %bb.311:                              ;   in Loop: Header=BB11_303 Depth=1
	s_cmp_eq_u32 s18, 0
	s_cbranch_scc1 .LBB11_315
; %bb.312:                              ;   in Loop: Header=BB11_303 Depth=1
	v_mov_b32_e32 v12, 0
	s_mov_b64 s[14:15], 0
	v_mov_b32_e32 v13, 0
	s_mov_b64 s[16:17], 0
.LBB11_313:                             ;   Parent Loop BB11_303 Depth=1
                                        ; =>  This Inner Loop Header: Depth=2
	s_add_u32 s20, s4, s16
	s_addc_u32 s21, s5, s17
	global_load_ubyte v4, v28, s[20:21]
	s_add_u32 s16, s16, 1
	s_addc_u32 s17, s17, 0
	s_waitcnt vmcnt(0)
	v_and_b32_e32 v27, 0xffff, v4
	v_lshlrev_b64 v[4:5], s14, v[27:28]
	s_add_u32 s14, s14, 8
	s_addc_u32 s15, s15, 0
	v_or_b32_e32 v12, v4, v12
	s_cmp_lg_u32 s18, s16
	v_or_b32_e32 v13, v5, v13
	s_cbranch_scc1 .LBB11_313
	s_branch .LBB11_316
.LBB11_314:                             ;   in Loop: Header=BB11_303 Depth=1
                                        ; implicit-def: $vgpr12_vgpr13
                                        ; implicit-def: $sgpr19
	s_branch .LBB11_317
.LBB11_315:                             ;   in Loop: Header=BB11_303 Depth=1
	v_mov_b32_e32 v12, 0
	v_mov_b32_e32 v13, 0
.LBB11_316:                             ;   in Loop: Header=BB11_303 Depth=1
	s_mov_b32 s19, 0
	s_cbranch_execnz .LBB11_318
.LBB11_317:                             ;   in Loop: Header=BB11_303 Depth=1
	global_load_dwordx2 v[12:13], v28, s[4:5]
	s_add_i32 s19, s18, -8
	s_add_u32 s4, s4, 8
	s_addc_u32 s5, s5, 0
.LBB11_318:                             ;   in Loop: Header=BB11_303 Depth=1
	s_cmp_gt_u32 s19, 7
	s_cbranch_scc1 .LBB11_322
; %bb.319:                              ;   in Loop: Header=BB11_303 Depth=1
	s_cmp_eq_u32 s19, 0
	s_cbranch_scc1 .LBB11_323
; %bb.320:                              ;   in Loop: Header=BB11_303 Depth=1
	v_mov_b32_e32 v14, 0
	s_mov_b64 s[14:15], 0
	v_mov_b32_e32 v15, 0
	s_mov_b64 s[16:17], 0
.LBB11_321:                             ;   Parent Loop BB11_303 Depth=1
                                        ; =>  This Inner Loop Header: Depth=2
	s_add_u32 s20, s4, s16
	s_addc_u32 s21, s5, s17
	global_load_ubyte v4, v28, s[20:21]
	s_add_u32 s16, s16, 1
	s_addc_u32 s17, s17, 0
	s_waitcnt vmcnt(0)
	v_and_b32_e32 v27, 0xffff, v4
	v_lshlrev_b64 v[4:5], s14, v[27:28]
	s_add_u32 s14, s14, 8
	s_addc_u32 s15, s15, 0
	v_or_b32_e32 v14, v4, v14
	s_cmp_lg_u32 s19, s16
	v_or_b32_e32 v15, v5, v15
	s_cbranch_scc1 .LBB11_321
	s_branch .LBB11_324
.LBB11_322:                             ;   in Loop: Header=BB11_303 Depth=1
                                        ; implicit-def: $sgpr18
	s_branch .LBB11_325
.LBB11_323:                             ;   in Loop: Header=BB11_303 Depth=1
	v_mov_b32_e32 v14, 0
	v_mov_b32_e32 v15, 0
.LBB11_324:                             ;   in Loop: Header=BB11_303 Depth=1
	s_mov_b32 s18, 0
	s_cbranch_execnz .LBB11_326
.LBB11_325:                             ;   in Loop: Header=BB11_303 Depth=1
	global_load_dwordx2 v[14:15], v28, s[4:5]
	s_add_i32 s18, s19, -8
	s_add_u32 s4, s4, 8
	s_addc_u32 s5, s5, 0
.LBB11_326:                             ;   in Loop: Header=BB11_303 Depth=1
	s_cmp_gt_u32 s18, 7
	s_cbranch_scc1 .LBB11_330
; %bb.327:                              ;   in Loop: Header=BB11_303 Depth=1
	s_cmp_eq_u32 s18, 0
	s_cbranch_scc1 .LBB11_331
; %bb.328:                              ;   in Loop: Header=BB11_303 Depth=1
	v_mov_b32_e32 v16, 0
	s_mov_b64 s[14:15], 0
	v_mov_b32_e32 v17, 0
	s_mov_b64 s[16:17], 0
.LBB11_329:                             ;   Parent Loop BB11_303 Depth=1
                                        ; =>  This Inner Loop Header: Depth=2
	s_add_u32 s20, s4, s16
	s_addc_u32 s21, s5, s17
	global_load_ubyte v4, v28, s[20:21]
	s_add_u32 s16, s16, 1
	s_addc_u32 s17, s17, 0
	s_waitcnt vmcnt(0)
	v_and_b32_e32 v27, 0xffff, v4
	v_lshlrev_b64 v[4:5], s14, v[27:28]
	s_add_u32 s14, s14, 8
	s_addc_u32 s15, s15, 0
	v_or_b32_e32 v16, v4, v16
	s_cmp_lg_u32 s18, s16
	v_or_b32_e32 v17, v5, v17
	s_cbranch_scc1 .LBB11_329
	s_branch .LBB11_332
.LBB11_330:                             ;   in Loop: Header=BB11_303 Depth=1
                                        ; implicit-def: $vgpr16_vgpr17
                                        ; implicit-def: $sgpr19
	s_branch .LBB11_333
.LBB11_331:                             ;   in Loop: Header=BB11_303 Depth=1
	v_mov_b32_e32 v16, 0
	v_mov_b32_e32 v17, 0
.LBB11_332:                             ;   in Loop: Header=BB11_303 Depth=1
	s_mov_b32 s19, 0
	s_cbranch_execnz .LBB11_334
.LBB11_333:                             ;   in Loop: Header=BB11_303 Depth=1
	global_load_dwordx2 v[16:17], v28, s[4:5]
	s_add_i32 s19, s18, -8
	s_add_u32 s4, s4, 8
	s_addc_u32 s5, s5, 0
.LBB11_334:                             ;   in Loop: Header=BB11_303 Depth=1
	s_cmp_gt_u32 s19, 7
	s_cbranch_scc1 .LBB11_338
; %bb.335:                              ;   in Loop: Header=BB11_303 Depth=1
	s_cmp_eq_u32 s19, 0
	s_cbranch_scc1 .LBB11_339
; %bb.336:                              ;   in Loop: Header=BB11_303 Depth=1
	v_mov_b32_e32 v18, 0
	s_mov_b64 s[14:15], 0
	v_mov_b32_e32 v19, 0
	s_mov_b64 s[16:17], 0
.LBB11_337:                             ;   Parent Loop BB11_303 Depth=1
                                        ; =>  This Inner Loop Header: Depth=2
	s_add_u32 s20, s4, s16
	s_addc_u32 s21, s5, s17
	global_load_ubyte v4, v28, s[20:21]
	s_add_u32 s16, s16, 1
	s_addc_u32 s17, s17, 0
	s_waitcnt vmcnt(0)
	v_and_b32_e32 v27, 0xffff, v4
	v_lshlrev_b64 v[4:5], s14, v[27:28]
	s_add_u32 s14, s14, 8
	s_addc_u32 s15, s15, 0
	v_or_b32_e32 v18, v4, v18
	s_cmp_lg_u32 s19, s16
	v_or_b32_e32 v19, v5, v19
	s_cbranch_scc1 .LBB11_337
	s_branch .LBB11_340
.LBB11_338:                             ;   in Loop: Header=BB11_303 Depth=1
                                        ; implicit-def: $sgpr18
	s_branch .LBB11_341
.LBB11_339:                             ;   in Loop: Header=BB11_303 Depth=1
	v_mov_b32_e32 v18, 0
	v_mov_b32_e32 v19, 0
.LBB11_340:                             ;   in Loop: Header=BB11_303 Depth=1
	s_mov_b32 s18, 0
	s_cbranch_execnz .LBB11_342
.LBB11_341:                             ;   in Loop: Header=BB11_303 Depth=1
	global_load_dwordx2 v[18:19], v28, s[4:5]
	s_add_i32 s18, s19, -8
	s_add_u32 s4, s4, 8
	s_addc_u32 s5, s5, 0
.LBB11_342:                             ;   in Loop: Header=BB11_303 Depth=1
	s_cmp_gt_u32 s18, 7
	s_cbranch_scc1 .LBB11_346
; %bb.343:                              ;   in Loop: Header=BB11_303 Depth=1
	s_cmp_eq_u32 s18, 0
	s_cbranch_scc1 .LBB11_347
; %bb.344:                              ;   in Loop: Header=BB11_303 Depth=1
	v_mov_b32_e32 v20, 0
	s_mov_b64 s[14:15], 0
	v_mov_b32_e32 v21, 0
	s_mov_b64 s[16:17], 0
.LBB11_345:                             ;   Parent Loop BB11_303 Depth=1
                                        ; =>  This Inner Loop Header: Depth=2
	s_add_u32 s20, s4, s16
	s_addc_u32 s21, s5, s17
	global_load_ubyte v4, v28, s[20:21]
	s_add_u32 s16, s16, 1
	s_addc_u32 s17, s17, 0
	s_waitcnt vmcnt(0)
	v_and_b32_e32 v27, 0xffff, v4
	v_lshlrev_b64 v[4:5], s14, v[27:28]
	s_add_u32 s14, s14, 8
	s_addc_u32 s15, s15, 0
	v_or_b32_e32 v20, v4, v20
	s_cmp_lg_u32 s18, s16
	v_or_b32_e32 v21, v5, v21
	s_cbranch_scc1 .LBB11_345
	s_branch .LBB11_348
.LBB11_346:                             ;   in Loop: Header=BB11_303 Depth=1
                                        ; implicit-def: $vgpr20_vgpr21
                                        ; implicit-def: $sgpr19
	s_branch .LBB11_349
.LBB11_347:                             ;   in Loop: Header=BB11_303 Depth=1
	v_mov_b32_e32 v20, 0
	v_mov_b32_e32 v21, 0
.LBB11_348:                             ;   in Loop: Header=BB11_303 Depth=1
	s_mov_b32 s19, 0
	s_cbranch_execnz .LBB11_350
.LBB11_349:                             ;   in Loop: Header=BB11_303 Depth=1
	global_load_dwordx2 v[20:21], v28, s[4:5]
	s_add_i32 s19, s18, -8
	s_add_u32 s4, s4, 8
	s_addc_u32 s5, s5, 0
.LBB11_350:                             ;   in Loop: Header=BB11_303 Depth=1
	s_cmp_gt_u32 s19, 7
	s_cbranch_scc1 .LBB11_354
; %bb.351:                              ;   in Loop: Header=BB11_303 Depth=1
	s_cmp_eq_u32 s19, 0
	s_cbranch_scc1 .LBB11_355
; %bb.352:                              ;   in Loop: Header=BB11_303 Depth=1
	v_mov_b32_e32 v22, 0
	s_mov_b64 s[14:15], 0
	v_mov_b32_e32 v23, 0
	s_mov_b64 s[16:17], s[4:5]
.LBB11_353:                             ;   Parent Loop BB11_303 Depth=1
                                        ; =>  This Inner Loop Header: Depth=2
	global_load_ubyte v4, v28, s[16:17]
	s_add_i32 s19, s19, -1
	s_waitcnt vmcnt(0)
	v_and_b32_e32 v27, 0xffff, v4
	v_lshlrev_b64 v[4:5], s14, v[27:28]
	s_add_u32 s14, s14, 8
	s_addc_u32 s15, s15, 0
	s_add_u32 s16, s16, 1
	s_addc_u32 s17, s17, 0
	v_or_b32_e32 v22, v4, v22
	s_cmp_lg_u32 s19, 0
	v_or_b32_e32 v23, v5, v23
	s_cbranch_scc1 .LBB11_353
	s_branch .LBB11_356
.LBB11_354:                             ;   in Loop: Header=BB11_303 Depth=1
	s_branch .LBB11_357
.LBB11_355:                             ;   in Loop: Header=BB11_303 Depth=1
	v_mov_b32_e32 v22, 0
	v_mov_b32_e32 v23, 0
.LBB11_356:                             ;   in Loop: Header=BB11_303 Depth=1
	s_cbranch_execnz .LBB11_358
.LBB11_357:                             ;   in Loop: Header=BB11_303 Depth=1
	global_load_dwordx2 v[22:23], v28, s[4:5]
.LBB11_358:                             ;   in Loop: Header=BB11_303 Depth=1
	v_readfirstlane_b32 s4, v42
	s_waitcnt vmcnt(0)
	v_mov_b32_e32 v4, 0
	v_mov_b32_e32 v5, 0
	v_cmp_eq_u32_e64 s[4:5], s4, v42
	s_and_saveexec_b64 s[14:15], s[4:5]
	s_cbranch_execz .LBB11_364
; %bb.359:                              ;   in Loop: Header=BB11_303 Depth=1
	global_load_dwordx2 v[26:27], v28, s[44:45] offset:24 glc
	s_waitcnt vmcnt(0)
	buffer_wbinvl1_vol
	global_load_dwordx2 v[4:5], v28, s[44:45] offset:40
	global_load_dwordx2 v[8:9], v28, s[44:45]
	s_waitcnt vmcnt(1)
	v_and_b32_e32 v4, v4, v26
	v_and_b32_e32 v5, v5, v27
	v_mul_lo_u32 v5, v5, 24
	v_mul_hi_u32 v24, v4, 24
	v_mul_lo_u32 v4, v4, 24
	v_add_u32_e32 v5, v24, v5
	s_waitcnt vmcnt(0)
	v_add_co_u32_e32 v4, vcc, v8, v4
	v_addc_co_u32_e32 v5, vcc, v9, v5, vcc
	global_load_dwordx2 v[24:25], v[4:5], off glc
	s_waitcnt vmcnt(0)
	global_atomic_cmpswap_x2 v[4:5], v28, v[24:27], s[44:45] offset:24 glc
	s_waitcnt vmcnt(0)
	buffer_wbinvl1_vol
	v_cmp_ne_u64_e32 vcc, v[4:5], v[26:27]
	s_and_saveexec_b64 s[16:17], vcc
	s_cbranch_execz .LBB11_363
; %bb.360:                              ;   in Loop: Header=BB11_303 Depth=1
	s_mov_b64 s[18:19], 0
.LBB11_361:                             ;   Parent Loop BB11_303 Depth=1
                                        ; =>  This Inner Loop Header: Depth=2
	s_sleep 1
	global_load_dwordx2 v[8:9], v28, s[44:45] offset:40
	global_load_dwordx2 v[24:25], v28, s[44:45]
	v_mov_b32_e32 v27, v5
	v_mov_b32_e32 v26, v4
	s_waitcnt vmcnt(1)
	v_and_b32_e32 v4, v8, v26
	s_waitcnt vmcnt(0)
	v_mad_u64_u32 v[4:5], s[20:21], v4, 24, v[24:25]
	v_and_b32_e32 v8, v9, v27
	v_mad_u64_u32 v[8:9], s[20:21], v8, 24, v[5:6]
	v_mov_b32_e32 v5, v8
	global_load_dwordx2 v[24:25], v[4:5], off glc
	s_waitcnt vmcnt(0)
	global_atomic_cmpswap_x2 v[4:5], v28, v[24:27], s[44:45] offset:24 glc
	s_waitcnt vmcnt(0)
	buffer_wbinvl1_vol
	v_cmp_eq_u64_e32 vcc, v[4:5], v[26:27]
	s_or_b64 s[18:19], vcc, s[18:19]
	s_andn2_b64 exec, exec, s[18:19]
	s_cbranch_execnz .LBB11_361
; %bb.362:                              ;   in Loop: Header=BB11_303 Depth=1
	s_or_b64 exec, exec, s[18:19]
.LBB11_363:                             ;   in Loop: Header=BB11_303 Depth=1
	s_or_b64 exec, exec, s[16:17]
.LBB11_364:                             ;   in Loop: Header=BB11_303 Depth=1
	s_or_b64 exec, exec, s[14:15]
	global_load_dwordx2 v[8:9], v28, s[44:45] offset:40
	global_load_dwordx4 v[24:27], v28, s[44:45]
	v_readfirstlane_b32 s14, v4
	v_readfirstlane_b32 s15, v5
	s_mov_b64 s[18:19], exec
	s_waitcnt vmcnt(1)
	v_readfirstlane_b32 s16, v8
	v_readfirstlane_b32 s17, v9
	s_and_b64 s[16:17], s[14:15], s[16:17]
	s_mul_i32 s20, s17, 24
	s_mul_hi_u32 s21, s16, 24
	s_mul_i32 s22, s16, 24
	s_add_i32 s20, s21, s20
	v_mov_b32_e32 v4, s20
	s_waitcnt vmcnt(0)
	v_add_co_u32_e32 v29, vcc, s22, v24
	v_addc_co_u32_e32 v30, vcc, v25, v4, vcc
	s_and_saveexec_b64 s[20:21], s[4:5]
	s_cbranch_execz .LBB11_366
; %bb.365:                              ;   in Loop: Header=BB11_303 Depth=1
	v_mov_b32_e32 v4, s18
	v_mov_b32_e32 v5, s19
	global_store_dwordx4 v[29:30], v[4:7], off offset:8
.LBB11_366:                             ;   in Loop: Header=BB11_303 Depth=1
	s_or_b64 exec, exec, s[20:21]
	v_cmp_gt_u64_e64 vcc, s[10:11], 56
	v_or_b32_e32 v4, 0, v3
	v_cndmask_b32_e32 v9, v4, v3, vcc
	v_or_b32_e32 v3, v2, v31
	s_lshl_b32 s18, s12, 2
	v_cndmask_b32_e32 v2, v3, v2, vcc
	s_add_i32 s18, s18, 28
	s_and_b32 s18, s18, 0x1e0
	v_and_b32_e32 v2, 0xffffff1f, v2
	s_lshl_b64 s[16:17], s[16:17], 12
	v_or_b32_e32 v8, s18, v2
	v_mov_b32_e32 v2, s17
	v_add_co_u32_e32 v26, vcc, s16, v26
	v_addc_co_u32_e32 v32, vcc, v27, v2, vcc
	v_readfirstlane_b32 s16, v26
	v_readfirstlane_b32 s17, v32
	s_nop 4
	global_store_dwordx4 v41, v[8:11], s[16:17]
	global_store_dwordx4 v41, v[12:15], s[16:17] offset:16
	global_store_dwordx4 v41, v[16:19], s[16:17] offset:32
	;; [unrolled: 1-line block ×3, first 2 shown]
	s_and_saveexec_b64 s[16:17], s[4:5]
	s_cbranch_execz .LBB11_374
; %bb.367:                              ;   in Loop: Header=BB11_303 Depth=1
	global_load_dwordx2 v[12:13], v28, s[44:45] offset:32 glc
	global_load_dwordx2 v[2:3], v28, s[44:45] offset:40
	v_mov_b32_e32 v10, s14
	v_mov_b32_e32 v11, s15
	s_waitcnt vmcnt(0)
	v_readfirstlane_b32 s18, v2
	v_readfirstlane_b32 s19, v3
	s_and_b64 s[18:19], s[18:19], s[14:15]
	s_mul_i32 s19, s19, 24
	s_mul_hi_u32 s20, s18, 24
	s_mul_i32 s18, s18, 24
	s_add_i32 s19, s20, s19
	v_mov_b32_e32 v2, s19
	v_add_co_u32_e32 v8, vcc, s18, v24
	v_addc_co_u32_e32 v9, vcc, v25, v2, vcc
	global_store_dwordx2 v[8:9], v[12:13], off
	s_waitcnt vmcnt(0)
	global_atomic_cmpswap_x2 v[4:5], v28, v[10:13], s[44:45] offset:32 glc
	s_waitcnt vmcnt(0)
	v_cmp_ne_u64_e32 vcc, v[4:5], v[12:13]
	s_and_saveexec_b64 s[18:19], vcc
	s_cbranch_execz .LBB11_370
; %bb.368:                              ;   in Loop: Header=BB11_303 Depth=1
	s_mov_b64 s[20:21], 0
.LBB11_369:                             ;   Parent Loop BB11_303 Depth=1
                                        ; =>  This Inner Loop Header: Depth=2
	s_sleep 1
	global_store_dwordx2 v[8:9], v[4:5], off
	v_mov_b32_e32 v2, s14
	v_mov_b32_e32 v3, s15
	s_waitcnt vmcnt(0)
	global_atomic_cmpswap_x2 v[2:3], v28, v[2:5], s[44:45] offset:32 glc
	s_waitcnt vmcnt(0)
	v_cmp_eq_u64_e32 vcc, v[2:3], v[4:5]
	v_mov_b32_e32 v5, v3
	s_or_b64 s[20:21], vcc, s[20:21]
	v_mov_b32_e32 v4, v2
	s_andn2_b64 exec, exec, s[20:21]
	s_cbranch_execnz .LBB11_369
.LBB11_370:                             ;   in Loop: Header=BB11_303 Depth=1
	s_or_b64 exec, exec, s[18:19]
	global_load_dwordx2 v[2:3], v28, s[44:45] offset:16
	s_mov_b64 s[20:21], exec
	v_mbcnt_lo_u32_b32 v4, s20, 0
	v_mbcnt_hi_u32_b32 v4, s21, v4
	v_cmp_eq_u32_e32 vcc, 0, v4
	s_and_saveexec_b64 s[18:19], vcc
	s_cbranch_execz .LBB11_372
; %bb.371:                              ;   in Loop: Header=BB11_303 Depth=1
	s_bcnt1_i32_b64 s20, s[20:21]
	v_mov_b32_e32 v27, s20
	s_waitcnt vmcnt(0)
	global_atomic_add_x2 v[2:3], v[27:28], off offset:8
.LBB11_372:                             ;   in Loop: Header=BB11_303 Depth=1
	s_or_b64 exec, exec, s[18:19]
	s_waitcnt vmcnt(0)
	global_load_dwordx2 v[4:5], v[2:3], off offset:16
	s_waitcnt vmcnt(0)
	v_cmp_eq_u64_e32 vcc, 0, v[4:5]
	s_cbranch_vccnz .LBB11_374
; %bb.373:                              ;   in Loop: Header=BB11_303 Depth=1
	global_load_dword v27, v[2:3], off offset:24
	s_waitcnt vmcnt(0)
	v_and_b32_e32 v2, 0xffffff, v27
	v_readfirstlane_b32 m0, v2
	global_store_dwordx2 v[4:5], v[27:28], off
	s_sendmsg sendmsg(MSG_INTERRUPT)
.LBB11_374:                             ;   in Loop: Header=BB11_303 Depth=1
	s_or_b64 exec, exec, s[16:17]
	v_add_co_u32_e32 v2, vcc, v26, v41
	v_addc_co_u32_e32 v3, vcc, 0, v32, vcc
	s_branch .LBB11_378
.LBB11_375:                             ;   in Loop: Header=BB11_378 Depth=2
	s_or_b64 exec, exec, s[16:17]
	v_readfirstlane_b32 s16, v4
	s_cmp_eq_u32 s16, 0
	s_cbranch_scc1 .LBB11_377
; %bb.376:                              ;   in Loop: Header=BB11_378 Depth=2
	s_sleep 1
	s_cbranch_execnz .LBB11_378
	s_branch .LBB11_380
.LBB11_377:                             ;   in Loop: Header=BB11_303 Depth=1
	s_branch .LBB11_380
.LBB11_378:                             ;   Parent Loop BB11_303 Depth=1
                                        ; =>  This Inner Loop Header: Depth=2
	v_mov_b32_e32 v4, 1
	s_and_saveexec_b64 s[16:17], s[4:5]
	s_cbranch_execz .LBB11_375
; %bb.379:                              ;   in Loop: Header=BB11_378 Depth=2
	global_load_dword v4, v[29:30], off offset:20 glc
	s_waitcnt vmcnt(0)
	buffer_wbinvl1_vol
	v_and_b32_e32 v4, 1, v4
	s_branch .LBB11_375
.LBB11_380:                             ;   in Loop: Header=BB11_303 Depth=1
	global_load_dwordx4 v[2:5], v[2:3], off
	s_and_saveexec_b64 s[16:17], s[4:5]
	s_cbranch_execz .LBB11_302
; %bb.381:                              ;   in Loop: Header=BB11_303 Depth=1
	global_load_dwordx2 v[4:5], v28, s[44:45] offset:40
	global_load_dwordx2 v[12:13], v28, s[44:45] offset:24 glc
	global_load_dwordx2 v[14:15], v28, s[44:45]
	v_mov_b32_e32 v9, s15
	s_waitcnt vmcnt(2)
	v_add_co_u32_e32 v10, vcc, 1, v4
	v_addc_co_u32_e32 v11, vcc, 0, v5, vcc
	v_add_co_u32_e32 v8, vcc, s14, v10
	v_addc_co_u32_e32 v9, vcc, v11, v9, vcc
	v_cmp_eq_u64_e32 vcc, 0, v[8:9]
	v_cndmask_b32_e32 v9, v9, v11, vcc
	v_cndmask_b32_e32 v8, v8, v10, vcc
	v_and_b32_e32 v5, v9, v5
	v_and_b32_e32 v4, v8, v4
	v_mul_lo_u32 v5, v5, 24
	v_mul_hi_u32 v11, v4, 24
	v_mul_lo_u32 v4, v4, 24
	s_waitcnt vmcnt(1)
	v_mov_b32_e32 v10, v12
	v_add_u32_e32 v5, v11, v5
	s_waitcnt vmcnt(0)
	v_add_co_u32_e32 v4, vcc, v14, v4
	v_addc_co_u32_e32 v5, vcc, v15, v5, vcc
	global_store_dwordx2 v[4:5], v[12:13], off
	v_mov_b32_e32 v11, v13
	s_waitcnt vmcnt(0)
	global_atomic_cmpswap_x2 v[10:11], v28, v[8:11], s[44:45] offset:24 glc
	s_waitcnt vmcnt(0)
	v_cmp_ne_u64_e32 vcc, v[10:11], v[12:13]
	s_and_b64 exec, exec, vcc
	s_cbranch_execz .LBB11_302
; %bb.382:                              ;   in Loop: Header=BB11_303 Depth=1
	s_mov_b64 s[4:5], 0
.LBB11_383:                             ;   Parent Loop BB11_303 Depth=1
                                        ; =>  This Inner Loop Header: Depth=2
	s_sleep 1
	global_store_dwordx2 v[4:5], v[10:11], off
	s_waitcnt vmcnt(0)
	global_atomic_cmpswap_x2 v[12:13], v28, v[8:11], s[44:45] offset:24 glc
	s_waitcnt vmcnt(0)
	v_cmp_eq_u64_e32 vcc, v[12:13], v[10:11]
	v_mov_b32_e32 v10, v12
	s_or_b64 s[4:5], vcc, s[4:5]
	v_mov_b32_e32 v11, v13
	s_andn2_b64 exec, exec, s[4:5]
	s_cbranch_execnz .LBB11_383
	s_branch .LBB11_302
.LBB11_384:
	s_mov_b64 s[4:5], 0
	s_branch .LBB11_386
.LBB11_385:
	s_mov_b64 s[4:5], -1
                                        ; implicit-def: $vgpr2_vgpr3
.LBB11_386:
	s_and_b64 vcc, exec, s[4:5]
	s_cbranch_vccz .LBB11_413
; %bb.387:
	v_readfirstlane_b32 s4, v42
	v_mov_b32_e32 v8, 0
	v_mov_b32_e32 v9, 0
	v_cmp_eq_u32_e64 s[4:5], s4, v42
	s_and_saveexec_b64 s[8:9], s[4:5]
	s_cbranch_execz .LBB11_393
; %bb.388:
	s_waitcnt vmcnt(0)
	v_mov_b32_e32 v2, 0
	global_load_dwordx2 v[5:6], v2, s[44:45] offset:24 glc
	s_waitcnt vmcnt(0)
	buffer_wbinvl1_vol
	global_load_dwordx2 v[3:4], v2, s[44:45] offset:40
	global_load_dwordx2 v[7:8], v2, s[44:45]
	s_waitcnt vmcnt(1)
	v_and_b32_e32 v3, v3, v5
	v_and_b32_e32 v4, v4, v6
	v_mul_lo_u32 v4, v4, 24
	v_mul_hi_u32 v9, v3, 24
	v_mul_lo_u32 v3, v3, 24
	v_add_u32_e32 v4, v9, v4
	s_waitcnt vmcnt(0)
	v_add_co_u32_e32 v3, vcc, v7, v3
	v_addc_co_u32_e32 v4, vcc, v8, v4, vcc
	global_load_dwordx2 v[3:4], v[3:4], off glc
	s_waitcnt vmcnt(0)
	global_atomic_cmpswap_x2 v[8:9], v2, v[3:6], s[44:45] offset:24 glc
	s_waitcnt vmcnt(0)
	buffer_wbinvl1_vol
	v_cmp_ne_u64_e32 vcc, v[8:9], v[5:6]
	s_and_saveexec_b64 s[10:11], vcc
	s_cbranch_execz .LBB11_392
; %bb.389:
	s_mov_b64 s[12:13], 0
.LBB11_390:                             ; =>This Inner Loop Header: Depth=1
	s_sleep 1
	global_load_dwordx2 v[3:4], v2, s[44:45] offset:40
	global_load_dwordx2 v[10:11], v2, s[44:45]
	v_mov_b32_e32 v5, v8
	v_mov_b32_e32 v6, v9
	s_waitcnt vmcnt(1)
	v_and_b32_e32 v3, v3, v5
	s_waitcnt vmcnt(0)
	v_mad_u64_u32 v[7:8], s[14:15], v3, 24, v[10:11]
	v_and_b32_e32 v4, v4, v6
	v_mov_b32_e32 v3, v8
	v_mad_u64_u32 v[3:4], s[14:15], v4, 24, v[3:4]
	v_mov_b32_e32 v8, v3
	global_load_dwordx2 v[3:4], v[7:8], off glc
	s_waitcnt vmcnt(0)
	global_atomic_cmpswap_x2 v[8:9], v2, v[3:6], s[44:45] offset:24 glc
	s_waitcnt vmcnt(0)
	buffer_wbinvl1_vol
	v_cmp_eq_u64_e32 vcc, v[8:9], v[5:6]
	s_or_b64 s[12:13], vcc, s[12:13]
	s_andn2_b64 exec, exec, s[12:13]
	s_cbranch_execnz .LBB11_390
; %bb.391:
	s_or_b64 exec, exec, s[12:13]
.LBB11_392:
	s_or_b64 exec, exec, s[10:11]
.LBB11_393:
	s_or_b64 exec, exec, s[8:9]
	s_waitcnt vmcnt(0)
	v_mov_b32_e32 v2, 0
	global_load_dwordx2 v[10:11], v2, s[44:45] offset:40
	global_load_dwordx4 v[4:7], v2, s[44:45]
	v_readfirstlane_b32 s8, v8
	v_readfirstlane_b32 s9, v9
	s_mov_b64 s[10:11], exec
	s_waitcnt vmcnt(1)
	v_readfirstlane_b32 s12, v10
	v_readfirstlane_b32 s13, v11
	s_and_b64 s[12:13], s[8:9], s[12:13]
	s_mul_i32 s14, s13, 24
	s_mul_hi_u32 s15, s12, 24
	s_mul_i32 s16, s12, 24
	s_add_i32 s14, s15, s14
	v_mov_b32_e32 v3, s14
	s_waitcnt vmcnt(0)
	v_add_co_u32_e32 v8, vcc, s16, v4
	v_addc_co_u32_e32 v9, vcc, v5, v3, vcc
	s_and_saveexec_b64 s[14:15], s[4:5]
	s_cbranch_execz .LBB11_395
; %bb.394:
	v_mov_b32_e32 v10, s10
	v_mov_b32_e32 v11, s11
	;; [unrolled: 1-line block ×4, first 2 shown]
	global_store_dwordx4 v[8:9], v[10:13], off offset:8
.LBB11_395:
	s_or_b64 exec, exec, s[14:15]
	s_lshl_b64 s[10:11], s[12:13], 12
	v_mov_b32_e32 v3, s11
	v_add_co_u32_e32 v10, vcc, s10, v6
	v_addc_co_u32_e32 v11, vcc, v7, v3, vcc
	s_movk_i32 s10, 0xff1f
	v_and_or_b32 v0, v0, s10, 32
	s_mov_b32 s12, 0
	v_mov_b32_e32 v3, v2
	v_readfirstlane_b32 s10, v10
	v_readfirstlane_b32 s11, v11
	v_add_co_u32_e32 v6, vcc, v10, v41
	s_mov_b32 s13, s12
	s_mov_b32 s14, s12
	;; [unrolled: 1-line block ×3, first 2 shown]
	s_nop 0
	global_store_dwordx4 v41, v[0:3], s[10:11]
	v_addc_co_u32_e32 v7, vcc, 0, v11, vcc
	v_mov_b32_e32 v0, s12
	v_mov_b32_e32 v1, s13
	;; [unrolled: 1-line block ×4, first 2 shown]
	global_store_dwordx4 v41, v[0:3], s[10:11] offset:16
	global_store_dwordx4 v41, v[0:3], s[10:11] offset:32
	;; [unrolled: 1-line block ×3, first 2 shown]
	s_and_saveexec_b64 s[10:11], s[4:5]
	s_cbranch_execz .LBB11_403
; %bb.396:
	v_mov_b32_e32 v10, 0
	global_load_dwordx2 v[13:14], v10, s[44:45] offset:32 glc
	global_load_dwordx2 v[0:1], v10, s[44:45] offset:40
	v_mov_b32_e32 v11, s8
	v_mov_b32_e32 v12, s9
	s_waitcnt vmcnt(0)
	v_readfirstlane_b32 s12, v0
	v_readfirstlane_b32 s13, v1
	s_and_b64 s[12:13], s[12:13], s[8:9]
	s_mul_i32 s13, s13, 24
	s_mul_hi_u32 s14, s12, 24
	s_mul_i32 s12, s12, 24
	s_add_i32 s13, s14, s13
	v_mov_b32_e32 v0, s13
	v_add_co_u32_e32 v4, vcc, s12, v4
	v_addc_co_u32_e32 v5, vcc, v5, v0, vcc
	global_store_dwordx2 v[4:5], v[13:14], off
	s_waitcnt vmcnt(0)
	global_atomic_cmpswap_x2 v[2:3], v10, v[11:14], s[44:45] offset:32 glc
	s_waitcnt vmcnt(0)
	v_cmp_ne_u64_e32 vcc, v[2:3], v[13:14]
	s_and_saveexec_b64 s[12:13], vcc
	s_cbranch_execz .LBB11_399
; %bb.397:
	s_mov_b64 s[14:15], 0
.LBB11_398:                             ; =>This Inner Loop Header: Depth=1
	s_sleep 1
	global_store_dwordx2 v[4:5], v[2:3], off
	v_mov_b32_e32 v0, s8
	v_mov_b32_e32 v1, s9
	s_waitcnt vmcnt(0)
	global_atomic_cmpswap_x2 v[0:1], v10, v[0:3], s[44:45] offset:32 glc
	s_waitcnt vmcnt(0)
	v_cmp_eq_u64_e32 vcc, v[0:1], v[2:3]
	v_mov_b32_e32 v3, v1
	s_or_b64 s[14:15], vcc, s[14:15]
	v_mov_b32_e32 v2, v0
	s_andn2_b64 exec, exec, s[14:15]
	s_cbranch_execnz .LBB11_398
.LBB11_399:
	s_or_b64 exec, exec, s[12:13]
	v_mov_b32_e32 v3, 0
	global_load_dwordx2 v[0:1], v3, s[44:45] offset:16
	s_mov_b64 s[12:13], exec
	v_mbcnt_lo_u32_b32 v2, s12, 0
	v_mbcnt_hi_u32_b32 v2, s13, v2
	v_cmp_eq_u32_e32 vcc, 0, v2
	s_and_saveexec_b64 s[14:15], vcc
	s_cbranch_execz .LBB11_401
; %bb.400:
	s_bcnt1_i32_b64 s12, s[12:13]
	v_mov_b32_e32 v2, s12
	s_waitcnt vmcnt(0)
	global_atomic_add_x2 v[0:1], v[2:3], off offset:8
.LBB11_401:
	s_or_b64 exec, exec, s[14:15]
	s_waitcnt vmcnt(0)
	global_load_dwordx2 v[2:3], v[0:1], off offset:16
	s_waitcnt vmcnt(0)
	v_cmp_eq_u64_e32 vcc, 0, v[2:3]
	s_cbranch_vccnz .LBB11_403
; %bb.402:
	global_load_dword v0, v[0:1], off offset:24
	v_mov_b32_e32 v1, 0
	s_waitcnt vmcnt(0)
	global_store_dwordx2 v[2:3], v[0:1], off
	v_and_b32_e32 v0, 0xffffff, v0
	v_readfirstlane_b32 m0, v0
	s_sendmsg sendmsg(MSG_INTERRUPT)
.LBB11_403:
	s_or_b64 exec, exec, s[10:11]
	s_branch .LBB11_407
.LBB11_404:                             ;   in Loop: Header=BB11_407 Depth=1
	s_or_b64 exec, exec, s[10:11]
	v_readfirstlane_b32 s10, v0
	s_cmp_eq_u32 s10, 0
	s_cbranch_scc1 .LBB11_406
; %bb.405:                              ;   in Loop: Header=BB11_407 Depth=1
	s_sleep 1
	s_cbranch_execnz .LBB11_407
	s_branch .LBB11_409
.LBB11_406:
	s_branch .LBB11_409
.LBB11_407:                             ; =>This Inner Loop Header: Depth=1
	v_mov_b32_e32 v0, 1
	s_and_saveexec_b64 s[10:11], s[4:5]
	s_cbranch_execz .LBB11_404
; %bb.408:                              ;   in Loop: Header=BB11_407 Depth=1
	global_load_dword v0, v[8:9], off offset:20 glc
	s_waitcnt vmcnt(0)
	buffer_wbinvl1_vol
	v_and_b32_e32 v0, 1, v0
	s_branch .LBB11_404
.LBB11_409:
	global_load_dwordx2 v[2:3], v[6:7], off
	s_and_saveexec_b64 s[10:11], s[4:5]
	s_cbranch_execz .LBB11_412
; %bb.410:
	v_mov_b32_e32 v8, 0
	global_load_dwordx2 v[0:1], v8, s[44:45] offset:40
	global_load_dwordx2 v[9:10], v8, s[44:45] offset:24 glc
	global_load_dwordx2 v[11:12], v8, s[44:45]
	v_mov_b32_e32 v5, s9
	s_mov_b64 s[4:5], 0
	s_waitcnt vmcnt(2)
	v_add_co_u32_e32 v6, vcc, 1, v0
	v_addc_co_u32_e32 v7, vcc, 0, v1, vcc
	v_add_co_u32_e32 v4, vcc, s8, v6
	v_addc_co_u32_e32 v5, vcc, v7, v5, vcc
	v_cmp_eq_u64_e32 vcc, 0, v[4:5]
	v_cndmask_b32_e32 v5, v5, v7, vcc
	v_cndmask_b32_e32 v4, v4, v6, vcc
	v_and_b32_e32 v1, v5, v1
	v_and_b32_e32 v0, v4, v0
	v_mul_lo_u32 v1, v1, 24
	v_mul_hi_u32 v7, v0, 24
	v_mul_lo_u32 v0, v0, 24
	s_waitcnt vmcnt(1)
	v_mov_b32_e32 v6, v9
	v_add_u32_e32 v1, v7, v1
	s_waitcnt vmcnt(0)
	v_add_co_u32_e32 v0, vcc, v11, v0
	v_addc_co_u32_e32 v1, vcc, v12, v1, vcc
	global_store_dwordx2 v[0:1], v[9:10], off
	v_mov_b32_e32 v7, v10
	s_waitcnt vmcnt(0)
	global_atomic_cmpswap_x2 v[6:7], v8, v[4:7], s[44:45] offset:24 glc
	s_waitcnt vmcnt(0)
	v_cmp_ne_u64_e32 vcc, v[6:7], v[9:10]
	s_and_b64 exec, exec, vcc
	s_cbranch_execz .LBB11_412
.LBB11_411:                             ; =>This Inner Loop Header: Depth=1
	s_sleep 1
	global_store_dwordx2 v[0:1], v[6:7], off
	s_waitcnt vmcnt(0)
	global_atomic_cmpswap_x2 v[9:10], v8, v[4:7], s[44:45] offset:24 glc
	s_waitcnt vmcnt(0)
	v_cmp_eq_u64_e32 vcc, v[9:10], v[6:7]
	v_mov_b32_e32 v6, v9
	s_or_b64 s[4:5], vcc, s[4:5]
	v_mov_b32_e32 v7, v10
	s_andn2_b64 exec, exec, s[4:5]
	s_cbranch_execnz .LBB11_411
.LBB11_412:
	s_or_b64 exec, exec, s[10:11]
.LBB11_413:
	v_readfirstlane_b32 s4, v42
	s_waitcnt vmcnt(0)
	v_mov_b32_e32 v0, 0
	v_mov_b32_e32 v1, 0
	v_cmp_eq_u32_e64 s[4:5], s4, v42
	s_and_saveexec_b64 s[8:9], s[4:5]
	s_cbranch_execz .LBB11_419
; %bb.414:
	v_mov_b32_e32 v4, 0
	global_load_dwordx2 v[7:8], v4, s[44:45] offset:24 glc
	s_waitcnt vmcnt(0)
	buffer_wbinvl1_vol
	global_load_dwordx2 v[0:1], v4, s[44:45] offset:40
	global_load_dwordx2 v[5:6], v4, s[44:45]
	s_waitcnt vmcnt(1)
	v_and_b32_e32 v0, v0, v7
	v_and_b32_e32 v1, v1, v8
	v_mul_lo_u32 v1, v1, 24
	v_mul_hi_u32 v9, v0, 24
	v_mul_lo_u32 v0, v0, 24
	v_add_u32_e32 v1, v9, v1
	s_waitcnt vmcnt(0)
	v_add_co_u32_e32 v0, vcc, v5, v0
	v_addc_co_u32_e32 v1, vcc, v6, v1, vcc
	global_load_dwordx2 v[5:6], v[0:1], off glc
	s_waitcnt vmcnt(0)
	global_atomic_cmpswap_x2 v[0:1], v4, v[5:8], s[44:45] offset:24 glc
	s_waitcnt vmcnt(0)
	buffer_wbinvl1_vol
	v_cmp_ne_u64_e32 vcc, v[0:1], v[7:8]
	s_and_saveexec_b64 s[10:11], vcc
	s_cbranch_execz .LBB11_418
; %bb.415:
	s_mov_b64 s[12:13], 0
.LBB11_416:                             ; =>This Inner Loop Header: Depth=1
	s_sleep 1
	global_load_dwordx2 v[5:6], v4, s[44:45] offset:40
	global_load_dwordx2 v[9:10], v4, s[44:45]
	v_mov_b32_e32 v8, v1
	v_mov_b32_e32 v7, v0
	s_waitcnt vmcnt(1)
	v_and_b32_e32 v0, v5, v7
	s_waitcnt vmcnt(0)
	v_mad_u64_u32 v[0:1], s[14:15], v0, 24, v[9:10]
	v_and_b32_e32 v5, v6, v8
	v_mad_u64_u32 v[5:6], s[14:15], v5, 24, v[1:2]
	v_mov_b32_e32 v1, v5
	global_load_dwordx2 v[5:6], v[0:1], off glc
	s_waitcnt vmcnt(0)
	global_atomic_cmpswap_x2 v[0:1], v4, v[5:8], s[44:45] offset:24 glc
	s_waitcnt vmcnt(0)
	buffer_wbinvl1_vol
	v_cmp_eq_u64_e32 vcc, v[0:1], v[7:8]
	s_or_b64 s[12:13], vcc, s[12:13]
	s_andn2_b64 exec, exec, s[12:13]
	s_cbranch_execnz .LBB11_416
; %bb.417:
	s_or_b64 exec, exec, s[12:13]
.LBB11_418:
	s_or_b64 exec, exec, s[10:11]
.LBB11_419:
	s_or_b64 exec, exec, s[8:9]
	v_mov_b32_e32 v5, 0
	global_load_dwordx2 v[10:11], v5, s[44:45] offset:40
	global_load_dwordx4 v[6:9], v5, s[44:45]
	v_readfirstlane_b32 s8, v0
	v_readfirstlane_b32 s9, v1
	s_mov_b64 s[10:11], exec
	s_waitcnt vmcnt(1)
	v_readfirstlane_b32 s12, v10
	v_readfirstlane_b32 s13, v11
	s_and_b64 s[12:13], s[8:9], s[12:13]
	s_mul_i32 s14, s13, 24
	s_mul_hi_u32 s15, s12, 24
	s_mul_i32 s16, s12, 24
	s_add_i32 s14, s15, s14
	v_mov_b32_e32 v0, s14
	s_waitcnt vmcnt(0)
	v_add_co_u32_e32 v10, vcc, s16, v6
	v_addc_co_u32_e32 v11, vcc, v7, v0, vcc
	s_and_saveexec_b64 s[14:15], s[4:5]
	s_cbranch_execz .LBB11_421
; %bb.420:
	v_mov_b32_e32 v13, s11
	v_mov_b32_e32 v12, s10
	;; [unrolled: 1-line block ×4, first 2 shown]
	global_store_dwordx4 v[10:11], v[12:15], off offset:8
.LBB11_421:
	s_or_b64 exec, exec, s[14:15]
	s_lshl_b64 s[10:11], s[12:13], 12
	v_mov_b32_e32 v0, s11
	v_add_co_u32_e32 v1, vcc, s10, v8
	v_addc_co_u32_e32 v0, vcc, v9, v0, vcc
	s_movk_i32 s10, 0xff1d
	v_and_or_b32 v2, v2, s10, 34
	s_mov_b32 s12, 0
	v_mov_b32_e32 v4, 10
	v_readfirstlane_b32 s10, v1
	v_readfirstlane_b32 s11, v0
	s_mov_b32 s13, s12
	s_mov_b32 s14, s12
	;; [unrolled: 1-line block ×3, first 2 shown]
	s_nop 1
	global_store_dwordx4 v41, v[2:5], s[10:11]
	v_mov_b32_e32 v0, s12
	v_mov_b32_e32 v1, s13
	;; [unrolled: 1-line block ×4, first 2 shown]
	global_store_dwordx4 v41, v[0:3], s[10:11] offset:16
	global_store_dwordx4 v41, v[0:3], s[10:11] offset:32
	global_store_dwordx4 v41, v[0:3], s[10:11] offset:48
	s_and_saveexec_b64 s[10:11], s[4:5]
	s_cbranch_execz .LBB11_429
; %bb.422:
	v_mov_b32_e32 v8, 0
	global_load_dwordx2 v[14:15], v8, s[44:45] offset:32 glc
	global_load_dwordx2 v[0:1], v8, s[44:45] offset:40
	v_mov_b32_e32 v12, s8
	v_mov_b32_e32 v13, s9
	s_waitcnt vmcnt(0)
	v_readfirstlane_b32 s12, v0
	v_readfirstlane_b32 s13, v1
	s_and_b64 s[12:13], s[12:13], s[8:9]
	s_mul_i32 s13, s13, 24
	s_mul_hi_u32 s14, s12, 24
	s_mul_i32 s12, s12, 24
	s_add_i32 s13, s14, s13
	v_mov_b32_e32 v0, s13
	v_add_co_u32_e32 v4, vcc, s12, v6
	v_addc_co_u32_e32 v5, vcc, v7, v0, vcc
	global_store_dwordx2 v[4:5], v[14:15], off
	s_waitcnt vmcnt(0)
	global_atomic_cmpswap_x2 v[2:3], v8, v[12:15], s[44:45] offset:32 glc
	s_waitcnt vmcnt(0)
	v_cmp_ne_u64_e32 vcc, v[2:3], v[14:15]
	s_and_saveexec_b64 s[12:13], vcc
	s_cbranch_execz .LBB11_425
; %bb.423:
	s_mov_b64 s[14:15], 0
.LBB11_424:                             ; =>This Inner Loop Header: Depth=1
	s_sleep 1
	global_store_dwordx2 v[4:5], v[2:3], off
	v_mov_b32_e32 v0, s8
	v_mov_b32_e32 v1, s9
	s_waitcnt vmcnt(0)
	global_atomic_cmpswap_x2 v[0:1], v8, v[0:3], s[44:45] offset:32 glc
	s_waitcnt vmcnt(0)
	v_cmp_eq_u64_e32 vcc, v[0:1], v[2:3]
	v_mov_b32_e32 v3, v1
	s_or_b64 s[14:15], vcc, s[14:15]
	v_mov_b32_e32 v2, v0
	s_andn2_b64 exec, exec, s[14:15]
	s_cbranch_execnz .LBB11_424
.LBB11_425:
	s_or_b64 exec, exec, s[12:13]
	v_mov_b32_e32 v3, 0
	global_load_dwordx2 v[0:1], v3, s[44:45] offset:16
	s_mov_b64 s[12:13], exec
	v_mbcnt_lo_u32_b32 v2, s12, 0
	v_mbcnt_hi_u32_b32 v2, s13, v2
	v_cmp_eq_u32_e32 vcc, 0, v2
	s_and_saveexec_b64 s[14:15], vcc
	s_cbranch_execz .LBB11_427
; %bb.426:
	s_bcnt1_i32_b64 s12, s[12:13]
	v_mov_b32_e32 v2, s12
	s_waitcnt vmcnt(0)
	global_atomic_add_x2 v[0:1], v[2:3], off offset:8
.LBB11_427:
	s_or_b64 exec, exec, s[14:15]
	s_waitcnt vmcnt(0)
	global_load_dwordx2 v[2:3], v[0:1], off offset:16
	s_waitcnt vmcnt(0)
	v_cmp_eq_u64_e32 vcc, 0, v[2:3]
	s_cbranch_vccnz .LBB11_429
; %bb.428:
	global_load_dword v0, v[0:1], off offset:24
	v_mov_b32_e32 v1, 0
	s_waitcnt vmcnt(0)
	global_store_dwordx2 v[2:3], v[0:1], off
	v_and_b32_e32 v0, 0xffffff, v0
	v_readfirstlane_b32 m0, v0
	s_sendmsg sendmsg(MSG_INTERRUPT)
.LBB11_429:
	s_or_b64 exec, exec, s[10:11]
	s_branch .LBB11_433
.LBB11_430:                             ;   in Loop: Header=BB11_433 Depth=1
	s_or_b64 exec, exec, s[10:11]
	v_readfirstlane_b32 s10, v0
	s_cmp_eq_u32 s10, 0
	s_cbranch_scc1 .LBB11_432
; %bb.431:                              ;   in Loop: Header=BB11_433 Depth=1
	s_sleep 1
	s_cbranch_execnz .LBB11_433
	s_branch .LBB11_435
.LBB11_432:
	s_branch .LBB11_435
.LBB11_433:                             ; =>This Inner Loop Header: Depth=1
	v_mov_b32_e32 v0, 1
	s_and_saveexec_b64 s[10:11], s[4:5]
	s_cbranch_execz .LBB11_430
; %bb.434:                              ;   in Loop: Header=BB11_433 Depth=1
	global_load_dword v0, v[10:11], off offset:20 glc
	s_waitcnt vmcnt(0)
	buffer_wbinvl1_vol
	v_and_b32_e32 v0, 1, v0
	s_branch .LBB11_430
.LBB11_435:
	s_and_saveexec_b64 s[10:11], s[4:5]
	s_cbranch_execz .LBB11_438
; %bb.436:
	v_mov_b32_e32 v6, 0
	global_load_dwordx2 v[2:3], v6, s[44:45] offset:40
	global_load_dwordx2 v[7:8], v6, s[44:45] offset:24 glc
	global_load_dwordx2 v[4:5], v6, s[44:45]
	v_mov_b32_e32 v1, s9
	s_mov_b64 s[4:5], 0
	s_waitcnt vmcnt(2)
	v_add_co_u32_e32 v9, vcc, 1, v2
	v_addc_co_u32_e32 v10, vcc, 0, v3, vcc
	v_add_co_u32_e32 v0, vcc, s8, v9
	v_addc_co_u32_e32 v1, vcc, v10, v1, vcc
	v_cmp_eq_u64_e32 vcc, 0, v[0:1]
	v_cndmask_b32_e32 v1, v1, v10, vcc
	v_cndmask_b32_e32 v0, v0, v9, vcc
	v_and_b32_e32 v3, v1, v3
	v_and_b32_e32 v2, v0, v2
	v_mul_lo_u32 v3, v3, 24
	v_mul_hi_u32 v9, v2, 24
	v_mul_lo_u32 v10, v2, 24
	s_waitcnt vmcnt(1)
	v_mov_b32_e32 v2, v7
	v_add_u32_e32 v3, v9, v3
	s_waitcnt vmcnt(0)
	v_add_co_u32_e32 v4, vcc, v4, v10
	v_addc_co_u32_e32 v5, vcc, v5, v3, vcc
	global_store_dwordx2 v[4:5], v[7:8], off
	v_mov_b32_e32 v3, v8
	s_waitcnt vmcnt(0)
	global_atomic_cmpswap_x2 v[2:3], v6, v[0:3], s[44:45] offset:24 glc
	s_waitcnt vmcnt(0)
	v_cmp_ne_u64_e32 vcc, v[2:3], v[7:8]
	s_and_b64 exec, exec, vcc
	s_cbranch_execz .LBB11_438
.LBB11_437:                             ; =>This Inner Loop Header: Depth=1
	s_sleep 1
	global_store_dwordx2 v[4:5], v[2:3], off
	s_waitcnt vmcnt(0)
	global_atomic_cmpswap_x2 v[7:8], v6, v[0:3], s[44:45] offset:24 glc
	s_waitcnt vmcnt(0)
	v_cmp_eq_u64_e32 vcc, v[7:8], v[2:3]
	v_mov_b32_e32 v2, v7
	s_or_b64 s[4:5], vcc, s[4:5]
	v_mov_b32_e32 v3, v8
	s_andn2_b64 exec, exec, s[4:5]
	s_cbranch_execnz .LBB11_437
.LBB11_438:
	s_or_b64 exec, exec, s[10:11]
	v_readfirstlane_b32 s4, v42
	v_mov_b32_e32 v5, 0
	v_mov_b32_e32 v6, 0
	v_cmp_eq_u32_e64 s[4:5], s4, v42
	s_and_saveexec_b64 s[8:9], s[4:5]
	s_cbranch_execz .LBB11_444
; %bb.439:
	v_mov_b32_e32 v0, 0
	global_load_dwordx2 v[3:4], v0, s[44:45] offset:24 glc
	s_waitcnt vmcnt(0)
	buffer_wbinvl1_vol
	global_load_dwordx2 v[1:2], v0, s[44:45] offset:40
	global_load_dwordx2 v[5:6], v0, s[44:45]
	s_waitcnt vmcnt(1)
	v_and_b32_e32 v1, v1, v3
	v_and_b32_e32 v2, v2, v4
	v_mul_lo_u32 v2, v2, 24
	v_mul_hi_u32 v7, v1, 24
	v_mul_lo_u32 v1, v1, 24
	v_add_u32_e32 v2, v7, v2
	s_waitcnt vmcnt(0)
	v_add_co_u32_e32 v1, vcc, v5, v1
	v_addc_co_u32_e32 v2, vcc, v6, v2, vcc
	global_load_dwordx2 v[1:2], v[1:2], off glc
	s_waitcnt vmcnt(0)
	global_atomic_cmpswap_x2 v[5:6], v0, v[1:4], s[44:45] offset:24 glc
	s_waitcnt vmcnt(0)
	buffer_wbinvl1_vol
	v_cmp_ne_u64_e32 vcc, v[5:6], v[3:4]
	s_and_saveexec_b64 s[10:11], vcc
	s_cbranch_execz .LBB11_443
; %bb.440:
	s_mov_b64 s[12:13], 0
.LBB11_441:                             ; =>This Inner Loop Header: Depth=1
	s_sleep 1
	global_load_dwordx2 v[1:2], v0, s[44:45] offset:40
	global_load_dwordx2 v[7:8], v0, s[44:45]
	v_mov_b32_e32 v3, v5
	v_mov_b32_e32 v4, v6
	s_waitcnt vmcnt(1)
	v_and_b32_e32 v1, v1, v3
	s_waitcnt vmcnt(0)
	v_mad_u64_u32 v[5:6], s[14:15], v1, 24, v[7:8]
	v_and_b32_e32 v2, v2, v4
	v_mov_b32_e32 v1, v6
	v_mad_u64_u32 v[1:2], s[14:15], v2, 24, v[1:2]
	v_mov_b32_e32 v6, v1
	global_load_dwordx2 v[1:2], v[5:6], off glc
	s_waitcnt vmcnt(0)
	global_atomic_cmpswap_x2 v[5:6], v0, v[1:4], s[44:45] offset:24 glc
	s_waitcnt vmcnt(0)
	buffer_wbinvl1_vol
	v_cmp_eq_u64_e32 vcc, v[5:6], v[3:4]
	s_or_b64 s[12:13], vcc, s[12:13]
	s_andn2_b64 exec, exec, s[12:13]
	s_cbranch_execnz .LBB11_441
; %bb.442:
	s_or_b64 exec, exec, s[12:13]
.LBB11_443:
	s_or_b64 exec, exec, s[10:11]
.LBB11_444:
	s_or_b64 exec, exec, s[8:9]
	v_mov_b32_e32 v4, 0
	global_load_dwordx2 v[7:8], v4, s[44:45] offset:40
	global_load_dwordx4 v[0:3], v4, s[44:45]
	v_readfirstlane_b32 s8, v5
	v_readfirstlane_b32 s9, v6
	s_mov_b64 s[10:11], exec
	s_waitcnt vmcnt(1)
	v_readfirstlane_b32 s12, v7
	v_readfirstlane_b32 s13, v8
	s_and_b64 s[12:13], s[8:9], s[12:13]
	s_mul_i32 s14, s13, 24
	s_mul_hi_u32 s15, s12, 24
	s_mul_i32 s16, s12, 24
	s_add_i32 s14, s15, s14
	v_mov_b32_e32 v5, s14
	s_waitcnt vmcnt(0)
	v_add_co_u32_e32 v7, vcc, s16, v0
	v_addc_co_u32_e32 v8, vcc, v1, v5, vcc
	s_and_saveexec_b64 s[14:15], s[4:5]
	s_cbranch_execz .LBB11_446
; %bb.445:
	v_mov_b32_e32 v9, s10
	v_mov_b32_e32 v10, s11
	;; [unrolled: 1-line block ×4, first 2 shown]
	global_store_dwordx4 v[7:8], v[9:12], off offset:8
.LBB11_446:
	s_or_b64 exec, exec, s[14:15]
	s_lshl_b64 s[10:11], s[12:13], 12
	v_mov_b32_e32 v5, s11
	v_add_co_u32_e32 v2, vcc, s10, v2
	v_addc_co_u32_e32 v11, vcc, v3, v5, vcc
	s_mov_b32 s12, 0
	v_mov_b32_e32 v3, 33
	v_mov_b32_e32 v5, v4
	;; [unrolled: 1-line block ×3, first 2 shown]
	v_readfirstlane_b32 s10, v2
	v_readfirstlane_b32 s11, v11
	v_add_co_u32_e32 v9, vcc, v2, v41
	s_mov_b32 s13, s12
	s_mov_b32 s14, s12
	;; [unrolled: 1-line block ×3, first 2 shown]
	s_nop 0
	global_store_dwordx4 v41, v[3:6], s[10:11]
	v_mov_b32_e32 v2, s12
	v_addc_co_u32_e32 v10, vcc, 0, v11, vcc
	v_mov_b32_e32 v3, s13
	v_mov_b32_e32 v4, s14
	;; [unrolled: 1-line block ×3, first 2 shown]
	global_store_dwordx4 v41, v[2:5], s[10:11] offset:16
	global_store_dwordx4 v41, v[2:5], s[10:11] offset:32
	;; [unrolled: 1-line block ×3, first 2 shown]
	s_and_saveexec_b64 s[10:11], s[4:5]
	s_cbranch_execz .LBB11_454
; %bb.447:
	v_mov_b32_e32 v6, 0
	global_load_dwordx2 v[13:14], v6, s[44:45] offset:32 glc
	global_load_dwordx2 v[2:3], v6, s[44:45] offset:40
	v_mov_b32_e32 v11, s8
	v_mov_b32_e32 v12, s9
	s_waitcnt vmcnt(0)
	v_readfirstlane_b32 s12, v2
	v_readfirstlane_b32 s13, v3
	s_and_b64 s[12:13], s[12:13], s[8:9]
	s_mul_i32 s13, s13, 24
	s_mul_hi_u32 s14, s12, 24
	s_mul_i32 s12, s12, 24
	s_add_i32 s13, s14, s13
	v_mov_b32_e32 v2, s13
	v_add_co_u32_e32 v4, vcc, s12, v0
	v_addc_co_u32_e32 v5, vcc, v1, v2, vcc
	global_store_dwordx2 v[4:5], v[13:14], off
	s_waitcnt vmcnt(0)
	global_atomic_cmpswap_x2 v[2:3], v6, v[11:14], s[44:45] offset:32 glc
	s_waitcnt vmcnt(0)
	v_cmp_ne_u64_e32 vcc, v[2:3], v[13:14]
	s_and_saveexec_b64 s[12:13], vcc
	s_cbranch_execz .LBB11_450
; %bb.448:
	s_mov_b64 s[14:15], 0
.LBB11_449:                             ; =>This Inner Loop Header: Depth=1
	s_sleep 1
	global_store_dwordx2 v[4:5], v[2:3], off
	v_mov_b32_e32 v0, s8
	v_mov_b32_e32 v1, s9
	s_waitcnt vmcnt(0)
	global_atomic_cmpswap_x2 v[0:1], v6, v[0:3], s[44:45] offset:32 glc
	s_waitcnt vmcnt(0)
	v_cmp_eq_u64_e32 vcc, v[0:1], v[2:3]
	v_mov_b32_e32 v3, v1
	s_or_b64 s[14:15], vcc, s[14:15]
	v_mov_b32_e32 v2, v0
	s_andn2_b64 exec, exec, s[14:15]
	s_cbranch_execnz .LBB11_449
.LBB11_450:
	s_or_b64 exec, exec, s[12:13]
	v_mov_b32_e32 v3, 0
	global_load_dwordx2 v[0:1], v3, s[44:45] offset:16
	s_mov_b64 s[12:13], exec
	v_mbcnt_lo_u32_b32 v2, s12, 0
	v_mbcnt_hi_u32_b32 v2, s13, v2
	v_cmp_eq_u32_e32 vcc, 0, v2
	s_and_saveexec_b64 s[14:15], vcc
	s_cbranch_execz .LBB11_452
; %bb.451:
	s_bcnt1_i32_b64 s12, s[12:13]
	v_mov_b32_e32 v2, s12
	s_waitcnt vmcnt(0)
	global_atomic_add_x2 v[0:1], v[2:3], off offset:8
.LBB11_452:
	s_or_b64 exec, exec, s[14:15]
	s_waitcnt vmcnt(0)
	global_load_dwordx2 v[2:3], v[0:1], off offset:16
	s_waitcnt vmcnt(0)
	v_cmp_eq_u64_e32 vcc, 0, v[2:3]
	s_cbranch_vccnz .LBB11_454
; %bb.453:
	global_load_dword v0, v[0:1], off offset:24
	v_mov_b32_e32 v1, 0
	s_waitcnt vmcnt(0)
	global_store_dwordx2 v[2:3], v[0:1], off
	v_and_b32_e32 v0, 0xffffff, v0
	v_readfirstlane_b32 m0, v0
	s_sendmsg sendmsg(MSG_INTERRUPT)
.LBB11_454:
	s_or_b64 exec, exec, s[10:11]
	s_branch .LBB11_458
.LBB11_455:                             ;   in Loop: Header=BB11_458 Depth=1
	s_or_b64 exec, exec, s[10:11]
	v_readfirstlane_b32 s10, v0
	s_cmp_eq_u32 s10, 0
	s_cbranch_scc1 .LBB11_457
; %bb.456:                              ;   in Loop: Header=BB11_458 Depth=1
	s_sleep 1
	s_cbranch_execnz .LBB11_458
	s_branch .LBB11_460
.LBB11_457:
	s_branch .LBB11_460
.LBB11_458:                             ; =>This Inner Loop Header: Depth=1
	v_mov_b32_e32 v0, 1
	s_and_saveexec_b64 s[10:11], s[4:5]
	s_cbranch_execz .LBB11_455
; %bb.459:                              ;   in Loop: Header=BB11_458 Depth=1
	global_load_dword v0, v[7:8], off offset:20 glc
	s_waitcnt vmcnt(0)
	buffer_wbinvl1_vol
	v_and_b32_e32 v0, 1, v0
	s_branch .LBB11_455
.LBB11_460:
	global_load_dwordx2 v[4:5], v[9:10], off
	s_and_saveexec_b64 s[10:11], s[4:5]
	s_cbranch_execz .LBB11_463
; %bb.461:
	v_mov_b32_e32 v8, 0
	global_load_dwordx2 v[2:3], v8, s[44:45] offset:40
	global_load_dwordx2 v[9:10], v8, s[44:45] offset:24 glc
	global_load_dwordx2 v[6:7], v8, s[44:45]
	v_mov_b32_e32 v1, s9
	s_mov_b64 s[4:5], 0
	s_waitcnt vmcnt(2)
	v_add_co_u32_e32 v11, vcc, 1, v2
	v_addc_co_u32_e32 v12, vcc, 0, v3, vcc
	v_add_co_u32_e32 v0, vcc, s8, v11
	v_addc_co_u32_e32 v1, vcc, v12, v1, vcc
	v_cmp_eq_u64_e32 vcc, 0, v[0:1]
	v_cndmask_b32_e32 v1, v1, v12, vcc
	v_cndmask_b32_e32 v0, v0, v11, vcc
	v_and_b32_e32 v3, v1, v3
	v_and_b32_e32 v2, v0, v2
	v_mul_lo_u32 v3, v3, 24
	v_mul_hi_u32 v11, v2, 24
	v_mul_lo_u32 v12, v2, 24
	s_waitcnt vmcnt(1)
	v_mov_b32_e32 v2, v9
	v_add_u32_e32 v3, v11, v3
	s_waitcnt vmcnt(0)
	v_add_co_u32_e32 v6, vcc, v6, v12
	v_addc_co_u32_e32 v7, vcc, v7, v3, vcc
	global_store_dwordx2 v[6:7], v[9:10], off
	v_mov_b32_e32 v3, v10
	s_waitcnt vmcnt(0)
	global_atomic_cmpswap_x2 v[2:3], v8, v[0:3], s[44:45] offset:24 glc
	s_waitcnt vmcnt(0)
	v_cmp_ne_u64_e32 vcc, v[2:3], v[9:10]
	s_and_b64 exec, exec, vcc
	s_cbranch_execz .LBB11_463
.LBB11_462:                             ; =>This Inner Loop Header: Depth=1
	s_sleep 1
	global_store_dwordx2 v[6:7], v[2:3], off
	s_waitcnt vmcnt(0)
	global_atomic_cmpswap_x2 v[9:10], v8, v[0:3], s[44:45] offset:24 glc
	s_waitcnt vmcnt(0)
	v_cmp_eq_u64_e32 vcc, v[9:10], v[2:3]
	v_mov_b32_e32 v2, v9
	s_or_b64 s[4:5], vcc, s[4:5]
	v_mov_b32_e32 v3, v10
	s_andn2_b64 exec, exec, s[4:5]
	s_cbranch_execnz .LBB11_462
.LBB11_463:
	s_or_b64 exec, exec, s[10:11]
	s_and_b64 vcc, exec, s[6:7]
	s_cbranch_vccz .LBB11_548
; %bb.464:
	s_waitcnt vmcnt(0)
	v_and_b32_e32 v29, 2, v4
	v_mov_b32_e32 v26, 0
	v_and_b32_e32 v0, -3, v4
	v_mov_b32_e32 v1, v5
	s_mov_b64 s[10:11], 3
	v_mov_b32_e32 v8, 2
	v_mov_b32_e32 v9, 1
	s_getpc_b64 s[8:9]
	s_add_u32 s8, s8, .str.7@rel32@lo+4
	s_addc_u32 s9, s9, .str.7@rel32@hi+12
	s_branch .LBB11_466
.LBB11_465:                             ;   in Loop: Header=BB11_466 Depth=1
	s_or_b64 exec, exec, s[16:17]
	s_sub_u32 s10, s10, s12
	s_subb_u32 s11, s11, s13
	s_add_u32 s8, s8, s12
	s_addc_u32 s9, s9, s13
	s_cmp_lg_u64 s[10:11], 0
	s_cbranch_scc0 .LBB11_547
.LBB11_466:                             ; =>This Loop Header: Depth=1
                                        ;     Child Loop BB11_469 Depth 2
                                        ;     Child Loop BB11_476 Depth 2
	;; [unrolled: 1-line block ×11, first 2 shown]
	v_cmp_lt_u64_e64 s[4:5], s[10:11], 56
	v_cmp_gt_u64_e64 s[14:15], s[10:11], 7
	s_and_b64 s[4:5], s[4:5], exec
	s_cselect_b32 s13, s11, 0
	s_cselect_b32 s12, s10, 56
	s_and_b64 vcc, exec, s[14:15]
	s_cbranch_vccnz .LBB11_471
; %bb.467:                              ;   in Loop: Header=BB11_466 Depth=1
	s_waitcnt vmcnt(0)
	v_mov_b32_e32 v2, 0
	s_cmp_eq_u64 s[10:11], 0
	v_mov_b32_e32 v3, 0
	s_mov_b64 s[4:5], 0
	s_cbranch_scc1 .LBB11_470
; %bb.468:                              ;   in Loop: Header=BB11_466 Depth=1
	v_mov_b32_e32 v2, 0
	s_lshl_b64 s[14:15], s[12:13], 3
	s_mov_b64 s[16:17], 0
	v_mov_b32_e32 v3, 0
	s_mov_b64 s[18:19], s[8:9]
.LBB11_469:                             ;   Parent Loop BB11_466 Depth=1
                                        ; =>  This Inner Loop Header: Depth=2
	global_load_ubyte v6, v26, s[18:19]
	s_waitcnt vmcnt(0)
	v_and_b32_e32 v25, 0xffff, v6
	v_lshlrev_b64 v[6:7], s16, v[25:26]
	s_add_u32 s16, s16, 8
	s_addc_u32 s17, s17, 0
	s_add_u32 s18, s18, 1
	s_addc_u32 s19, s19, 0
	v_or_b32_e32 v2, v6, v2
	s_cmp_lg_u32 s14, s16
	v_or_b32_e32 v3, v7, v3
	s_cbranch_scc1 .LBB11_469
.LBB11_470:                             ;   in Loop: Header=BB11_466 Depth=1
	s_mov_b32 s18, 0
	s_andn2_b64 vcc, exec, s[4:5]
	s_mov_b64 s[4:5], s[8:9]
	s_cbranch_vccz .LBB11_472
	s_branch .LBB11_473
.LBB11_471:                             ;   in Loop: Header=BB11_466 Depth=1
                                        ; implicit-def: $vgpr2_vgpr3
                                        ; implicit-def: $sgpr18
	s_mov_b64 s[4:5], s[8:9]
.LBB11_472:                             ;   in Loop: Header=BB11_466 Depth=1
	global_load_dwordx2 v[2:3], v26, s[8:9]
	s_add_i32 s18, s12, -8
	s_add_u32 s4, s8, 8
	s_addc_u32 s5, s9, 0
.LBB11_473:                             ;   in Loop: Header=BB11_466 Depth=1
	s_cmp_gt_u32 s18, 7
	s_cbranch_scc1 .LBB11_477
; %bb.474:                              ;   in Loop: Header=BB11_466 Depth=1
	s_cmp_eq_u32 s18, 0
	s_cbranch_scc1 .LBB11_478
; %bb.475:                              ;   in Loop: Header=BB11_466 Depth=1
	v_mov_b32_e32 v10, 0
	s_mov_b64 s[14:15], 0
	v_mov_b32_e32 v11, 0
	s_mov_b64 s[16:17], 0
.LBB11_476:                             ;   Parent Loop BB11_466 Depth=1
                                        ; =>  This Inner Loop Header: Depth=2
	s_add_u32 s20, s4, s16
	s_addc_u32 s21, s5, s17
	global_load_ubyte v6, v26, s[20:21]
	s_add_u32 s16, s16, 1
	s_addc_u32 s17, s17, 0
	s_waitcnt vmcnt(0)
	v_and_b32_e32 v25, 0xffff, v6
	v_lshlrev_b64 v[6:7], s14, v[25:26]
	s_add_u32 s14, s14, 8
	s_addc_u32 s15, s15, 0
	v_or_b32_e32 v10, v6, v10
	s_cmp_lg_u32 s18, s16
	v_or_b32_e32 v11, v7, v11
	s_cbranch_scc1 .LBB11_476
	s_branch .LBB11_479
.LBB11_477:                             ;   in Loop: Header=BB11_466 Depth=1
                                        ; implicit-def: $vgpr10_vgpr11
                                        ; implicit-def: $sgpr19
	s_branch .LBB11_480
.LBB11_478:                             ;   in Loop: Header=BB11_466 Depth=1
	v_mov_b32_e32 v10, 0
	v_mov_b32_e32 v11, 0
.LBB11_479:                             ;   in Loop: Header=BB11_466 Depth=1
	s_mov_b32 s19, 0
	s_cbranch_execnz .LBB11_481
.LBB11_480:                             ;   in Loop: Header=BB11_466 Depth=1
	global_load_dwordx2 v[10:11], v26, s[4:5]
	s_add_i32 s19, s18, -8
	s_add_u32 s4, s4, 8
	s_addc_u32 s5, s5, 0
.LBB11_481:                             ;   in Loop: Header=BB11_466 Depth=1
	s_cmp_gt_u32 s19, 7
	s_cbranch_scc1 .LBB11_485
; %bb.482:                              ;   in Loop: Header=BB11_466 Depth=1
	s_cmp_eq_u32 s19, 0
	s_cbranch_scc1 .LBB11_486
; %bb.483:                              ;   in Loop: Header=BB11_466 Depth=1
	v_mov_b32_e32 v12, 0
	s_mov_b64 s[14:15], 0
	v_mov_b32_e32 v13, 0
	s_mov_b64 s[16:17], 0
.LBB11_484:                             ;   Parent Loop BB11_466 Depth=1
                                        ; =>  This Inner Loop Header: Depth=2
	s_add_u32 s20, s4, s16
	s_addc_u32 s21, s5, s17
	global_load_ubyte v6, v26, s[20:21]
	s_add_u32 s16, s16, 1
	s_addc_u32 s17, s17, 0
	s_waitcnt vmcnt(0)
	v_and_b32_e32 v25, 0xffff, v6
	v_lshlrev_b64 v[6:7], s14, v[25:26]
	s_add_u32 s14, s14, 8
	s_addc_u32 s15, s15, 0
	v_or_b32_e32 v12, v6, v12
	s_cmp_lg_u32 s19, s16
	v_or_b32_e32 v13, v7, v13
	s_cbranch_scc1 .LBB11_484
	s_branch .LBB11_487
.LBB11_485:                             ;   in Loop: Header=BB11_466 Depth=1
                                        ; implicit-def: $sgpr18
	s_branch .LBB11_488
.LBB11_486:                             ;   in Loop: Header=BB11_466 Depth=1
	v_mov_b32_e32 v12, 0
	v_mov_b32_e32 v13, 0
.LBB11_487:                             ;   in Loop: Header=BB11_466 Depth=1
	s_mov_b32 s18, 0
	s_cbranch_execnz .LBB11_489
.LBB11_488:                             ;   in Loop: Header=BB11_466 Depth=1
	global_load_dwordx2 v[12:13], v26, s[4:5]
	s_add_i32 s18, s19, -8
	s_add_u32 s4, s4, 8
	s_addc_u32 s5, s5, 0
.LBB11_489:                             ;   in Loop: Header=BB11_466 Depth=1
	s_cmp_gt_u32 s18, 7
	s_cbranch_scc1 .LBB11_493
; %bb.490:                              ;   in Loop: Header=BB11_466 Depth=1
	s_cmp_eq_u32 s18, 0
	s_cbranch_scc1 .LBB11_494
; %bb.491:                              ;   in Loop: Header=BB11_466 Depth=1
	v_mov_b32_e32 v14, 0
	s_mov_b64 s[14:15], 0
	v_mov_b32_e32 v15, 0
	s_mov_b64 s[16:17], 0
.LBB11_492:                             ;   Parent Loop BB11_466 Depth=1
                                        ; =>  This Inner Loop Header: Depth=2
	s_add_u32 s20, s4, s16
	s_addc_u32 s21, s5, s17
	global_load_ubyte v6, v26, s[20:21]
	s_add_u32 s16, s16, 1
	s_addc_u32 s17, s17, 0
	s_waitcnt vmcnt(0)
	v_and_b32_e32 v25, 0xffff, v6
	v_lshlrev_b64 v[6:7], s14, v[25:26]
	s_add_u32 s14, s14, 8
	s_addc_u32 s15, s15, 0
	v_or_b32_e32 v14, v6, v14
	s_cmp_lg_u32 s18, s16
	v_or_b32_e32 v15, v7, v15
	s_cbranch_scc1 .LBB11_492
	s_branch .LBB11_495
.LBB11_493:                             ;   in Loop: Header=BB11_466 Depth=1
                                        ; implicit-def: $vgpr14_vgpr15
                                        ; implicit-def: $sgpr19
	s_branch .LBB11_496
.LBB11_494:                             ;   in Loop: Header=BB11_466 Depth=1
	v_mov_b32_e32 v14, 0
	v_mov_b32_e32 v15, 0
.LBB11_495:                             ;   in Loop: Header=BB11_466 Depth=1
	s_mov_b32 s19, 0
	s_cbranch_execnz .LBB11_497
.LBB11_496:                             ;   in Loop: Header=BB11_466 Depth=1
	global_load_dwordx2 v[14:15], v26, s[4:5]
	s_add_i32 s19, s18, -8
	s_add_u32 s4, s4, 8
	s_addc_u32 s5, s5, 0
.LBB11_497:                             ;   in Loop: Header=BB11_466 Depth=1
	s_cmp_gt_u32 s19, 7
	s_cbranch_scc1 .LBB11_501
; %bb.498:                              ;   in Loop: Header=BB11_466 Depth=1
	s_cmp_eq_u32 s19, 0
	s_cbranch_scc1 .LBB11_502
; %bb.499:                              ;   in Loop: Header=BB11_466 Depth=1
	v_mov_b32_e32 v16, 0
	s_mov_b64 s[14:15], 0
	v_mov_b32_e32 v17, 0
	s_mov_b64 s[16:17], 0
.LBB11_500:                             ;   Parent Loop BB11_466 Depth=1
                                        ; =>  This Inner Loop Header: Depth=2
	s_add_u32 s20, s4, s16
	s_addc_u32 s21, s5, s17
	global_load_ubyte v6, v26, s[20:21]
	s_add_u32 s16, s16, 1
	s_addc_u32 s17, s17, 0
	s_waitcnt vmcnt(0)
	v_and_b32_e32 v25, 0xffff, v6
	v_lshlrev_b64 v[6:7], s14, v[25:26]
	s_add_u32 s14, s14, 8
	s_addc_u32 s15, s15, 0
	v_or_b32_e32 v16, v6, v16
	s_cmp_lg_u32 s19, s16
	v_or_b32_e32 v17, v7, v17
	s_cbranch_scc1 .LBB11_500
	s_branch .LBB11_503
.LBB11_501:                             ;   in Loop: Header=BB11_466 Depth=1
                                        ; implicit-def: $sgpr18
	s_branch .LBB11_504
.LBB11_502:                             ;   in Loop: Header=BB11_466 Depth=1
	v_mov_b32_e32 v16, 0
	v_mov_b32_e32 v17, 0
.LBB11_503:                             ;   in Loop: Header=BB11_466 Depth=1
	s_mov_b32 s18, 0
	s_cbranch_execnz .LBB11_505
.LBB11_504:                             ;   in Loop: Header=BB11_466 Depth=1
	global_load_dwordx2 v[16:17], v26, s[4:5]
	s_add_i32 s18, s19, -8
	s_add_u32 s4, s4, 8
	s_addc_u32 s5, s5, 0
.LBB11_505:                             ;   in Loop: Header=BB11_466 Depth=1
	s_cmp_gt_u32 s18, 7
	s_cbranch_scc1 .LBB11_509
; %bb.506:                              ;   in Loop: Header=BB11_466 Depth=1
	s_cmp_eq_u32 s18, 0
	s_cbranch_scc1 .LBB11_510
; %bb.507:                              ;   in Loop: Header=BB11_466 Depth=1
	v_mov_b32_e32 v18, 0
	s_mov_b64 s[14:15], 0
	v_mov_b32_e32 v19, 0
	s_mov_b64 s[16:17], 0
.LBB11_508:                             ;   Parent Loop BB11_466 Depth=1
                                        ; =>  This Inner Loop Header: Depth=2
	s_add_u32 s20, s4, s16
	s_addc_u32 s21, s5, s17
	global_load_ubyte v6, v26, s[20:21]
	s_add_u32 s16, s16, 1
	s_addc_u32 s17, s17, 0
	s_waitcnt vmcnt(0)
	v_and_b32_e32 v25, 0xffff, v6
	v_lshlrev_b64 v[6:7], s14, v[25:26]
	s_add_u32 s14, s14, 8
	s_addc_u32 s15, s15, 0
	v_or_b32_e32 v18, v6, v18
	s_cmp_lg_u32 s18, s16
	v_or_b32_e32 v19, v7, v19
	s_cbranch_scc1 .LBB11_508
	s_branch .LBB11_511
.LBB11_509:                             ;   in Loop: Header=BB11_466 Depth=1
                                        ; implicit-def: $vgpr18_vgpr19
                                        ; implicit-def: $sgpr19
	s_branch .LBB11_512
.LBB11_510:                             ;   in Loop: Header=BB11_466 Depth=1
	v_mov_b32_e32 v18, 0
	v_mov_b32_e32 v19, 0
.LBB11_511:                             ;   in Loop: Header=BB11_466 Depth=1
	s_mov_b32 s19, 0
	s_cbranch_execnz .LBB11_513
.LBB11_512:                             ;   in Loop: Header=BB11_466 Depth=1
	global_load_dwordx2 v[18:19], v26, s[4:5]
	s_add_i32 s19, s18, -8
	s_add_u32 s4, s4, 8
	s_addc_u32 s5, s5, 0
.LBB11_513:                             ;   in Loop: Header=BB11_466 Depth=1
	s_cmp_gt_u32 s19, 7
	s_cbranch_scc1 .LBB11_517
; %bb.514:                              ;   in Loop: Header=BB11_466 Depth=1
	s_cmp_eq_u32 s19, 0
	s_cbranch_scc1 .LBB11_518
; %bb.515:                              ;   in Loop: Header=BB11_466 Depth=1
	v_mov_b32_e32 v20, 0
	s_mov_b64 s[14:15], 0
	v_mov_b32_e32 v21, 0
	s_mov_b64 s[16:17], s[4:5]
.LBB11_516:                             ;   Parent Loop BB11_466 Depth=1
                                        ; =>  This Inner Loop Header: Depth=2
	global_load_ubyte v6, v26, s[16:17]
	s_add_i32 s19, s19, -1
	s_waitcnt vmcnt(0)
	v_and_b32_e32 v25, 0xffff, v6
	v_lshlrev_b64 v[6:7], s14, v[25:26]
	s_add_u32 s14, s14, 8
	s_addc_u32 s15, s15, 0
	s_add_u32 s16, s16, 1
	s_addc_u32 s17, s17, 0
	v_or_b32_e32 v20, v6, v20
	s_cmp_lg_u32 s19, 0
	v_or_b32_e32 v21, v7, v21
	s_cbranch_scc1 .LBB11_516
	s_branch .LBB11_519
.LBB11_517:                             ;   in Loop: Header=BB11_466 Depth=1
	s_branch .LBB11_520
.LBB11_518:                             ;   in Loop: Header=BB11_466 Depth=1
	v_mov_b32_e32 v20, 0
	v_mov_b32_e32 v21, 0
.LBB11_519:                             ;   in Loop: Header=BB11_466 Depth=1
	s_cbranch_execnz .LBB11_521
.LBB11_520:                             ;   in Loop: Header=BB11_466 Depth=1
	global_load_dwordx2 v[20:21], v26, s[4:5]
.LBB11_521:                             ;   in Loop: Header=BB11_466 Depth=1
	v_readfirstlane_b32 s4, v42
	v_mov_b32_e32 v6, 0
	v_mov_b32_e32 v7, 0
	v_cmp_eq_u32_e64 s[4:5], s4, v42
	s_and_saveexec_b64 s[14:15], s[4:5]
	s_cbranch_execz .LBB11_527
; %bb.522:                              ;   in Loop: Header=BB11_466 Depth=1
	global_load_dwordx2 v[24:25], v26, s[44:45] offset:24 glc
	s_waitcnt vmcnt(0)
	buffer_wbinvl1_vol
	global_load_dwordx2 v[6:7], v26, s[44:45] offset:40
	global_load_dwordx2 v[22:23], v26, s[44:45]
	s_waitcnt vmcnt(1)
	v_and_b32_e32 v6, v6, v24
	v_and_b32_e32 v7, v7, v25
	v_mul_lo_u32 v7, v7, 24
	v_mul_hi_u32 v27, v6, 24
	v_mul_lo_u32 v6, v6, 24
	v_add_u32_e32 v7, v27, v7
	s_waitcnt vmcnt(0)
	v_add_co_u32_e32 v6, vcc, v22, v6
	v_addc_co_u32_e32 v7, vcc, v23, v7, vcc
	global_load_dwordx2 v[22:23], v[6:7], off glc
	s_waitcnt vmcnt(0)
	global_atomic_cmpswap_x2 v[6:7], v26, v[22:25], s[44:45] offset:24 glc
	s_waitcnt vmcnt(0)
	buffer_wbinvl1_vol
	v_cmp_ne_u64_e32 vcc, v[6:7], v[24:25]
	s_and_saveexec_b64 s[16:17], vcc
	s_cbranch_execz .LBB11_526
; %bb.523:                              ;   in Loop: Header=BB11_466 Depth=1
	s_mov_b64 s[18:19], 0
.LBB11_524:                             ;   Parent Loop BB11_466 Depth=1
                                        ; =>  This Inner Loop Header: Depth=2
	s_sleep 1
	global_load_dwordx2 v[22:23], v26, s[44:45] offset:40
	global_load_dwordx2 v[27:28], v26, s[44:45]
	v_mov_b32_e32 v25, v7
	v_mov_b32_e32 v24, v6
	s_waitcnt vmcnt(1)
	v_and_b32_e32 v6, v22, v24
	s_waitcnt vmcnt(0)
	v_mad_u64_u32 v[6:7], s[20:21], v6, 24, v[27:28]
	v_and_b32_e32 v22, v23, v25
	v_mad_u64_u32 v[22:23], s[20:21], v22, 24, v[7:8]
	v_mov_b32_e32 v7, v22
	global_load_dwordx2 v[22:23], v[6:7], off glc
	s_waitcnt vmcnt(0)
	global_atomic_cmpswap_x2 v[6:7], v26, v[22:25], s[44:45] offset:24 glc
	s_waitcnt vmcnt(0)
	buffer_wbinvl1_vol
	v_cmp_eq_u64_e32 vcc, v[6:7], v[24:25]
	s_or_b64 s[18:19], vcc, s[18:19]
	s_andn2_b64 exec, exec, s[18:19]
	s_cbranch_execnz .LBB11_524
; %bb.525:                              ;   in Loop: Header=BB11_466 Depth=1
	s_or_b64 exec, exec, s[18:19]
.LBB11_526:                             ;   in Loop: Header=BB11_466 Depth=1
	s_or_b64 exec, exec, s[16:17]
.LBB11_527:                             ;   in Loop: Header=BB11_466 Depth=1
	s_or_b64 exec, exec, s[14:15]
	global_load_dwordx2 v[27:28], v26, s[44:45] offset:40
	global_load_dwordx4 v[22:25], v26, s[44:45]
	v_readfirstlane_b32 s14, v6
	v_readfirstlane_b32 s15, v7
	s_mov_b64 s[18:19], exec
	s_waitcnt vmcnt(1)
	v_readfirstlane_b32 s16, v27
	v_readfirstlane_b32 s17, v28
	s_and_b64 s[16:17], s[14:15], s[16:17]
	s_mul_i32 s20, s17, 24
	s_mul_hi_u32 s21, s16, 24
	s_mul_i32 s22, s16, 24
	s_add_i32 s20, s21, s20
	v_mov_b32_e32 v6, s20
	s_waitcnt vmcnt(0)
	v_add_co_u32_e32 v27, vcc, s22, v22
	v_addc_co_u32_e32 v28, vcc, v23, v6, vcc
	s_and_saveexec_b64 s[20:21], s[4:5]
	s_cbranch_execz .LBB11_529
; %bb.528:                              ;   in Loop: Header=BB11_466 Depth=1
	v_mov_b32_e32 v6, s18
	v_mov_b32_e32 v7, s19
	global_store_dwordx4 v[27:28], v[6:9], off offset:8
.LBB11_529:                             ;   in Loop: Header=BB11_466 Depth=1
	s_or_b64 exec, exec, s[20:21]
	v_cmp_gt_u64_e64 vcc, s[10:11], 56
	v_or_b32_e32 v6, 0, v1
	v_cndmask_b32_e32 v1, v6, v1, vcc
	v_or_b32_e32 v6, v0, v29
	s_lshl_b32 s18, s12, 2
	s_lshl_b64 s[16:17], s[16:17], 12
	v_cndmask_b32_e32 v0, v6, v0, vcc
	s_add_i32 s18, s18, 28
	v_mov_b32_e32 v6, s17
	v_add_co_u32_e32 v24, vcc, s16, v24
	s_and_b32 s18, s18, 0x1e0
	v_and_b32_e32 v0, 0xffffff1f, v0
	v_addc_co_u32_e32 v30, vcc, v25, v6, vcc
	v_or_b32_e32 v0, s18, v0
	v_readfirstlane_b32 s16, v24
	v_readfirstlane_b32 s17, v30
	s_nop 4
	global_store_dwordx4 v41, v[0:3], s[16:17]
	global_store_dwordx4 v41, v[10:13], s[16:17] offset:16
	global_store_dwordx4 v41, v[14:17], s[16:17] offset:32
	;; [unrolled: 1-line block ×3, first 2 shown]
	s_and_saveexec_b64 s[16:17], s[4:5]
	s_cbranch_execz .LBB11_537
; %bb.530:                              ;   in Loop: Header=BB11_466 Depth=1
	global_load_dwordx2 v[12:13], v26, s[44:45] offset:32 glc
	global_load_dwordx2 v[0:1], v26, s[44:45] offset:40
	v_mov_b32_e32 v10, s14
	v_mov_b32_e32 v11, s15
	s_waitcnt vmcnt(0)
	v_readfirstlane_b32 s18, v0
	v_readfirstlane_b32 s19, v1
	s_and_b64 s[18:19], s[18:19], s[14:15]
	s_mul_i32 s19, s19, 24
	s_mul_hi_u32 s20, s18, 24
	s_mul_i32 s18, s18, 24
	s_add_i32 s19, s20, s19
	v_mov_b32_e32 v0, s19
	v_add_co_u32_e32 v6, vcc, s18, v22
	v_addc_co_u32_e32 v7, vcc, v23, v0, vcc
	global_store_dwordx2 v[6:7], v[12:13], off
	s_waitcnt vmcnt(0)
	global_atomic_cmpswap_x2 v[2:3], v26, v[10:13], s[44:45] offset:32 glc
	s_waitcnt vmcnt(0)
	v_cmp_ne_u64_e32 vcc, v[2:3], v[12:13]
	s_and_saveexec_b64 s[18:19], vcc
	s_cbranch_execz .LBB11_533
; %bb.531:                              ;   in Loop: Header=BB11_466 Depth=1
	s_mov_b64 s[20:21], 0
.LBB11_532:                             ;   Parent Loop BB11_466 Depth=1
                                        ; =>  This Inner Loop Header: Depth=2
	s_sleep 1
	global_store_dwordx2 v[6:7], v[2:3], off
	v_mov_b32_e32 v0, s14
	v_mov_b32_e32 v1, s15
	s_waitcnt vmcnt(0)
	global_atomic_cmpswap_x2 v[0:1], v26, v[0:3], s[44:45] offset:32 glc
	s_waitcnt vmcnt(0)
	v_cmp_eq_u64_e32 vcc, v[0:1], v[2:3]
	v_mov_b32_e32 v3, v1
	s_or_b64 s[20:21], vcc, s[20:21]
	v_mov_b32_e32 v2, v0
	s_andn2_b64 exec, exec, s[20:21]
	s_cbranch_execnz .LBB11_532
.LBB11_533:                             ;   in Loop: Header=BB11_466 Depth=1
	s_or_b64 exec, exec, s[18:19]
	global_load_dwordx2 v[0:1], v26, s[44:45] offset:16
	s_mov_b64 s[20:21], exec
	v_mbcnt_lo_u32_b32 v2, s20, 0
	v_mbcnt_hi_u32_b32 v2, s21, v2
	v_cmp_eq_u32_e32 vcc, 0, v2
	s_and_saveexec_b64 s[18:19], vcc
	s_cbranch_execz .LBB11_535
; %bb.534:                              ;   in Loop: Header=BB11_466 Depth=1
	s_bcnt1_i32_b64 s20, s[20:21]
	v_mov_b32_e32 v25, s20
	s_waitcnt vmcnt(0)
	global_atomic_add_x2 v[0:1], v[25:26], off offset:8
.LBB11_535:                             ;   in Loop: Header=BB11_466 Depth=1
	s_or_b64 exec, exec, s[18:19]
	s_waitcnt vmcnt(0)
	global_load_dwordx2 v[2:3], v[0:1], off offset:16
	s_waitcnt vmcnt(0)
	v_cmp_eq_u64_e32 vcc, 0, v[2:3]
	s_cbranch_vccnz .LBB11_537
; %bb.536:                              ;   in Loop: Header=BB11_466 Depth=1
	global_load_dword v25, v[0:1], off offset:24
	s_waitcnt vmcnt(0)
	v_and_b32_e32 v0, 0xffffff, v25
	v_readfirstlane_b32 m0, v0
	global_store_dwordx2 v[2:3], v[25:26], off
	s_sendmsg sendmsg(MSG_INTERRUPT)
.LBB11_537:                             ;   in Loop: Header=BB11_466 Depth=1
	s_or_b64 exec, exec, s[16:17]
	v_add_co_u32_e32 v0, vcc, v24, v41
	v_addc_co_u32_e32 v1, vcc, 0, v30, vcc
	s_branch .LBB11_541
.LBB11_538:                             ;   in Loop: Header=BB11_541 Depth=2
	s_or_b64 exec, exec, s[16:17]
	v_readfirstlane_b32 s16, v2
	s_cmp_eq_u32 s16, 0
	s_cbranch_scc1 .LBB11_540
; %bb.539:                              ;   in Loop: Header=BB11_541 Depth=2
	s_sleep 1
	s_cbranch_execnz .LBB11_541
	s_branch .LBB11_543
.LBB11_540:                             ;   in Loop: Header=BB11_466 Depth=1
	s_branch .LBB11_543
.LBB11_541:                             ;   Parent Loop BB11_466 Depth=1
                                        ; =>  This Inner Loop Header: Depth=2
	v_mov_b32_e32 v2, 1
	s_and_saveexec_b64 s[16:17], s[4:5]
	s_cbranch_execz .LBB11_538
; %bb.542:                              ;   in Loop: Header=BB11_541 Depth=2
	global_load_dword v2, v[27:28], off offset:20 glc
	s_waitcnt vmcnt(0)
	buffer_wbinvl1_vol
	v_and_b32_e32 v2, 1, v2
	s_branch .LBB11_538
.LBB11_543:                             ;   in Loop: Header=BB11_466 Depth=1
	global_load_dwordx4 v[0:3], v[0:1], off
	s_and_saveexec_b64 s[16:17], s[4:5]
	s_cbranch_execz .LBB11_465
; %bb.544:                              ;   in Loop: Header=BB11_466 Depth=1
	global_load_dwordx2 v[2:3], v26, s[44:45] offset:40
	global_load_dwordx2 v[6:7], v26, s[44:45] offset:24 glc
	global_load_dwordx2 v[13:14], v26, s[44:45]
	v_mov_b32_e32 v11, s15
	s_waitcnt vmcnt(2)
	v_add_co_u32_e32 v12, vcc, 1, v2
	v_addc_co_u32_e32 v15, vcc, 0, v3, vcc
	v_add_co_u32_e32 v10, vcc, s14, v12
	v_addc_co_u32_e32 v11, vcc, v15, v11, vcc
	v_cmp_eq_u64_e32 vcc, 0, v[10:11]
	v_cndmask_b32_e32 v11, v11, v15, vcc
	v_cndmask_b32_e32 v10, v10, v12, vcc
	v_and_b32_e32 v3, v11, v3
	v_and_b32_e32 v2, v10, v2
	v_mul_lo_u32 v3, v3, 24
	v_mul_hi_u32 v15, v2, 24
	v_mul_lo_u32 v2, v2, 24
	s_waitcnt vmcnt(1)
	v_mov_b32_e32 v12, v6
	v_add_u32_e32 v3, v15, v3
	s_waitcnt vmcnt(0)
	v_add_co_u32_e32 v2, vcc, v13, v2
	v_addc_co_u32_e32 v3, vcc, v14, v3, vcc
	global_store_dwordx2 v[2:3], v[6:7], off
	v_mov_b32_e32 v13, v7
	s_waitcnt vmcnt(0)
	global_atomic_cmpswap_x2 v[12:13], v26, v[10:13], s[44:45] offset:24 glc
	s_waitcnt vmcnt(0)
	v_cmp_ne_u64_e32 vcc, v[12:13], v[6:7]
	s_and_b64 exec, exec, vcc
	s_cbranch_execz .LBB11_465
; %bb.545:                              ;   in Loop: Header=BB11_466 Depth=1
	s_mov_b64 s[4:5], 0
.LBB11_546:                             ;   Parent Loop BB11_466 Depth=1
                                        ; =>  This Inner Loop Header: Depth=2
	s_sleep 1
	global_store_dwordx2 v[2:3], v[12:13], off
	s_waitcnt vmcnt(0)
	global_atomic_cmpswap_x2 v[6:7], v26, v[10:13], s[44:45] offset:24 glc
	s_waitcnt vmcnt(0)
	v_cmp_eq_u64_e32 vcc, v[6:7], v[12:13]
	v_mov_b32_e32 v13, v7
	s_or_b64 s[4:5], vcc, s[4:5]
	v_mov_b32_e32 v12, v6
	s_andn2_b64 exec, exec, s[4:5]
	s_cbranch_execnz .LBB11_546
	s_branch .LBB11_465
.LBB11_547:
	s_mov_b64 s[4:5], 0
	s_branch .LBB11_549
.LBB11_548:
	s_mov_b64 s[4:5], -1
                                        ; implicit-def: $vgpr0_vgpr1
.LBB11_549:
	s_and_b64 vcc, exec, s[4:5]
	s_cbranch_vccz .LBB11_576
; %bb.550:
	v_readfirstlane_b32 s4, v42
	v_mov_b32_e32 v7, 0
	v_mov_b32_e32 v8, 0
	v_cmp_eq_u32_e64 s[4:5], s4, v42
	s_and_saveexec_b64 s[8:9], s[4:5]
	s_cbranch_execz .LBB11_556
; %bb.551:
	s_waitcnt vmcnt(0)
	v_mov_b32_e32 v0, 0
	global_load_dwordx2 v[9:10], v0, s[44:45] offset:24 glc
	s_waitcnt vmcnt(0)
	buffer_wbinvl1_vol
	global_load_dwordx2 v[1:2], v0, s[44:45] offset:40
	global_load_dwordx2 v[6:7], v0, s[44:45]
	s_waitcnt vmcnt(1)
	v_and_b32_e32 v1, v1, v9
	v_and_b32_e32 v2, v2, v10
	v_mul_lo_u32 v2, v2, 24
	v_mul_hi_u32 v3, v1, 24
	v_mul_lo_u32 v1, v1, 24
	v_add_u32_e32 v2, v3, v2
	s_waitcnt vmcnt(0)
	v_add_co_u32_e32 v1, vcc, v6, v1
	v_addc_co_u32_e32 v2, vcc, v7, v2, vcc
	global_load_dwordx2 v[7:8], v[1:2], off glc
	s_waitcnt vmcnt(0)
	global_atomic_cmpswap_x2 v[7:8], v0, v[7:10], s[44:45] offset:24 glc
	s_waitcnt vmcnt(0)
	buffer_wbinvl1_vol
	v_cmp_ne_u64_e32 vcc, v[7:8], v[9:10]
	s_and_saveexec_b64 s[10:11], vcc
	s_cbranch_execz .LBB11_555
; %bb.552:
	s_mov_b64 s[12:13], 0
.LBB11_553:                             ; =>This Inner Loop Header: Depth=1
	s_sleep 1
	global_load_dwordx2 v[1:2], v0, s[44:45] offset:40
	global_load_dwordx2 v[11:12], v0, s[44:45]
	v_mov_b32_e32 v10, v8
	v_mov_b32_e32 v9, v7
	s_waitcnt vmcnt(1)
	v_and_b32_e32 v1, v1, v9
	s_waitcnt vmcnt(0)
	v_mad_u64_u32 v[6:7], s[14:15], v1, 24, v[11:12]
	v_and_b32_e32 v2, v2, v10
	v_mov_b32_e32 v1, v7
	v_mad_u64_u32 v[1:2], s[14:15], v2, 24, v[1:2]
	v_mov_b32_e32 v7, v1
	global_load_dwordx2 v[7:8], v[6:7], off glc
	s_waitcnt vmcnt(0)
	global_atomic_cmpswap_x2 v[7:8], v0, v[7:10], s[44:45] offset:24 glc
	s_waitcnt vmcnt(0)
	buffer_wbinvl1_vol
	v_cmp_eq_u64_e32 vcc, v[7:8], v[9:10]
	s_or_b64 s[12:13], vcc, s[12:13]
	s_andn2_b64 exec, exec, s[12:13]
	s_cbranch_execnz .LBB11_553
; %bb.554:
	s_or_b64 exec, exec, s[12:13]
.LBB11_555:
	s_or_b64 exec, exec, s[10:11]
.LBB11_556:
	s_or_b64 exec, exec, s[8:9]
	v_mov_b32_e32 v6, 0
	global_load_dwordx2 v[9:10], v6, s[44:45] offset:40
	global_load_dwordx4 v[0:3], v6, s[44:45]
	v_readfirstlane_b32 s8, v7
	v_readfirstlane_b32 s9, v8
	s_mov_b64 s[10:11], exec
	s_waitcnt vmcnt(1)
	v_readfirstlane_b32 s12, v9
	v_readfirstlane_b32 s13, v10
	s_and_b64 s[12:13], s[8:9], s[12:13]
	s_mul_i32 s14, s13, 24
	s_mul_hi_u32 s15, s12, 24
	s_mul_i32 s16, s12, 24
	s_add_i32 s14, s15, s14
	v_mov_b32_e32 v7, s14
	s_waitcnt vmcnt(0)
	v_add_co_u32_e32 v8, vcc, s16, v0
	v_addc_co_u32_e32 v9, vcc, v1, v7, vcc
	s_and_saveexec_b64 s[14:15], s[4:5]
	s_cbranch_execz .LBB11_558
; %bb.557:
	v_mov_b32_e32 v10, s10
	v_mov_b32_e32 v11, s11
	;; [unrolled: 1-line block ×4, first 2 shown]
	global_store_dwordx4 v[8:9], v[10:13], off offset:8
.LBB11_558:
	s_or_b64 exec, exec, s[14:15]
	s_lshl_b64 s[10:11], s[12:13], 12
	v_mov_b32_e32 v7, s11
	v_add_co_u32_e32 v2, vcc, s10, v2
	v_addc_co_u32_e32 v3, vcc, v3, v7, vcc
	s_movk_i32 s10, 0xff1f
	v_and_or_b32 v4, v4, s10, 32
	v_add_co_u32_e32 v10, vcc, v2, v41
	s_mov_b32 s12, 0
	v_mov_b32_e32 v7, v6
	v_readfirstlane_b32 s10, v2
	v_readfirstlane_b32 s11, v3
	v_addc_co_u32_e32 v11, vcc, 0, v3, vcc
	s_mov_b32 s13, s12
	s_mov_b32 s14, s12
	;; [unrolled: 1-line block ×3, first 2 shown]
	s_nop 0
	global_store_dwordx4 v41, v[4:7], s[10:11]
	v_mov_b32_e32 v2, s12
	v_mov_b32_e32 v3, s13
	;; [unrolled: 1-line block ×4, first 2 shown]
	global_store_dwordx4 v41, v[2:5], s[10:11] offset:16
	global_store_dwordx4 v41, v[2:5], s[10:11] offset:32
	;; [unrolled: 1-line block ×3, first 2 shown]
	s_and_saveexec_b64 s[10:11], s[4:5]
	s_cbranch_execz .LBB11_566
; %bb.559:
	v_mov_b32_e32 v6, 0
	global_load_dwordx2 v[14:15], v6, s[44:45] offset:32 glc
	global_load_dwordx2 v[2:3], v6, s[44:45] offset:40
	v_mov_b32_e32 v12, s8
	v_mov_b32_e32 v13, s9
	s_waitcnt vmcnt(0)
	v_readfirstlane_b32 s12, v2
	v_readfirstlane_b32 s13, v3
	s_and_b64 s[12:13], s[12:13], s[8:9]
	s_mul_i32 s13, s13, 24
	s_mul_hi_u32 s14, s12, 24
	s_mul_i32 s12, s12, 24
	s_add_i32 s13, s14, s13
	v_mov_b32_e32 v2, s13
	v_add_co_u32_e32 v4, vcc, s12, v0
	v_addc_co_u32_e32 v5, vcc, v1, v2, vcc
	global_store_dwordx2 v[4:5], v[14:15], off
	s_waitcnt vmcnt(0)
	global_atomic_cmpswap_x2 v[2:3], v6, v[12:15], s[44:45] offset:32 glc
	s_waitcnt vmcnt(0)
	v_cmp_ne_u64_e32 vcc, v[2:3], v[14:15]
	s_and_saveexec_b64 s[12:13], vcc
	s_cbranch_execz .LBB11_562
; %bb.560:
	s_mov_b64 s[14:15], 0
.LBB11_561:                             ; =>This Inner Loop Header: Depth=1
	s_sleep 1
	global_store_dwordx2 v[4:5], v[2:3], off
	v_mov_b32_e32 v0, s8
	v_mov_b32_e32 v1, s9
	s_waitcnt vmcnt(0)
	global_atomic_cmpswap_x2 v[0:1], v6, v[0:3], s[44:45] offset:32 glc
	s_waitcnt vmcnt(0)
	v_cmp_eq_u64_e32 vcc, v[0:1], v[2:3]
	v_mov_b32_e32 v3, v1
	s_or_b64 s[14:15], vcc, s[14:15]
	v_mov_b32_e32 v2, v0
	s_andn2_b64 exec, exec, s[14:15]
	s_cbranch_execnz .LBB11_561
.LBB11_562:
	s_or_b64 exec, exec, s[12:13]
	v_mov_b32_e32 v3, 0
	global_load_dwordx2 v[0:1], v3, s[44:45] offset:16
	s_mov_b64 s[12:13], exec
	v_mbcnt_lo_u32_b32 v2, s12, 0
	v_mbcnt_hi_u32_b32 v2, s13, v2
	v_cmp_eq_u32_e32 vcc, 0, v2
	s_and_saveexec_b64 s[14:15], vcc
	s_cbranch_execz .LBB11_564
; %bb.563:
	s_bcnt1_i32_b64 s12, s[12:13]
	v_mov_b32_e32 v2, s12
	s_waitcnt vmcnt(0)
	global_atomic_add_x2 v[0:1], v[2:3], off offset:8
.LBB11_564:
	s_or_b64 exec, exec, s[14:15]
	s_waitcnt vmcnt(0)
	global_load_dwordx2 v[2:3], v[0:1], off offset:16
	s_waitcnt vmcnt(0)
	v_cmp_eq_u64_e32 vcc, 0, v[2:3]
	s_cbranch_vccnz .LBB11_566
; %bb.565:
	global_load_dword v0, v[0:1], off offset:24
	v_mov_b32_e32 v1, 0
	s_waitcnt vmcnt(0)
	global_store_dwordx2 v[2:3], v[0:1], off
	v_and_b32_e32 v0, 0xffffff, v0
	v_readfirstlane_b32 m0, v0
	s_sendmsg sendmsg(MSG_INTERRUPT)
.LBB11_566:
	s_or_b64 exec, exec, s[10:11]
	s_branch .LBB11_570
.LBB11_567:                             ;   in Loop: Header=BB11_570 Depth=1
	s_or_b64 exec, exec, s[10:11]
	v_readfirstlane_b32 s10, v0
	s_cmp_eq_u32 s10, 0
	s_cbranch_scc1 .LBB11_569
; %bb.568:                              ;   in Loop: Header=BB11_570 Depth=1
	s_sleep 1
	s_cbranch_execnz .LBB11_570
	s_branch .LBB11_572
.LBB11_569:
	s_branch .LBB11_572
.LBB11_570:                             ; =>This Inner Loop Header: Depth=1
	v_mov_b32_e32 v0, 1
	s_and_saveexec_b64 s[10:11], s[4:5]
	s_cbranch_execz .LBB11_567
; %bb.571:                              ;   in Loop: Header=BB11_570 Depth=1
	global_load_dword v0, v[8:9], off offset:20 glc
	s_waitcnt vmcnt(0)
	buffer_wbinvl1_vol
	v_and_b32_e32 v0, 1, v0
	s_branch .LBB11_567
.LBB11_572:
	global_load_dwordx2 v[0:1], v[10:11], off
	s_and_saveexec_b64 s[10:11], s[4:5]
	s_cbranch_execz .LBB11_575
; %bb.573:
	v_mov_b32_e32 v8, 0
	global_load_dwordx2 v[4:5], v8, s[44:45] offset:40
	global_load_dwordx2 v[9:10], v8, s[44:45] offset:24 glc
	global_load_dwordx2 v[6:7], v8, s[44:45]
	v_mov_b32_e32 v3, s9
	s_mov_b64 s[4:5], 0
	s_waitcnt vmcnt(2)
	v_add_co_u32_e32 v11, vcc, 1, v4
	v_addc_co_u32_e32 v12, vcc, 0, v5, vcc
	v_add_co_u32_e32 v2, vcc, s8, v11
	v_addc_co_u32_e32 v3, vcc, v12, v3, vcc
	v_cmp_eq_u64_e32 vcc, 0, v[2:3]
	v_cndmask_b32_e32 v3, v3, v12, vcc
	v_cndmask_b32_e32 v2, v2, v11, vcc
	v_and_b32_e32 v5, v3, v5
	v_and_b32_e32 v4, v2, v4
	v_mul_lo_u32 v5, v5, 24
	v_mul_hi_u32 v11, v4, 24
	v_mul_lo_u32 v12, v4, 24
	s_waitcnt vmcnt(1)
	v_mov_b32_e32 v4, v9
	v_add_u32_e32 v5, v11, v5
	s_waitcnt vmcnt(0)
	v_add_co_u32_e32 v6, vcc, v6, v12
	v_addc_co_u32_e32 v7, vcc, v7, v5, vcc
	global_store_dwordx2 v[6:7], v[9:10], off
	v_mov_b32_e32 v5, v10
	s_waitcnt vmcnt(0)
	global_atomic_cmpswap_x2 v[4:5], v8, v[2:5], s[44:45] offset:24 glc
	s_waitcnt vmcnt(0)
	v_cmp_ne_u64_e32 vcc, v[4:5], v[9:10]
	s_and_b64 exec, exec, vcc
	s_cbranch_execz .LBB11_575
.LBB11_574:                             ; =>This Inner Loop Header: Depth=1
	s_sleep 1
	global_store_dwordx2 v[6:7], v[4:5], off
	s_waitcnt vmcnt(0)
	global_atomic_cmpswap_x2 v[9:10], v8, v[2:5], s[44:45] offset:24 glc
	s_waitcnt vmcnt(0)
	v_cmp_eq_u64_e32 vcc, v[9:10], v[4:5]
	v_mov_b32_e32 v4, v9
	s_or_b64 s[4:5], vcc, s[4:5]
	v_mov_b32_e32 v5, v10
	s_andn2_b64 exec, exec, s[4:5]
	s_cbranch_execnz .LBB11_574
.LBB11_575:
	s_or_b64 exec, exec, s[10:11]
.LBB11_576:
	s_getpc_b64 s[8:9]
	s_add_u32 s8, s8, .str.1@rel32@lo+4
	s_addc_u32 s9, s9, .str.1@rel32@hi+12
	s_cmp_lg_u64 s[8:9], 0
	s_cbranch_scc0 .LBB11_661
; %bb.577:
	s_waitcnt vmcnt(0)
	v_and_b32_e32 v6, -3, v0
	v_mov_b32_e32 v7, v1
	s_mov_b64 s[10:11], 0x4f
	v_mov_b32_e32 v26, 0
	v_mov_b32_e32 v4, 2
	v_mov_b32_e32 v5, 1
	s_branch .LBB11_579
.LBB11_578:                             ;   in Loop: Header=BB11_579 Depth=1
	s_or_b64 exec, exec, s[16:17]
	s_sub_u32 s10, s10, s12
	s_subb_u32 s11, s11, s13
	s_add_u32 s8, s8, s12
	s_addc_u32 s9, s9, s13
	s_cmp_lg_u64 s[10:11], 0
	s_cbranch_scc0 .LBB11_660
.LBB11_579:                             ; =>This Loop Header: Depth=1
                                        ;     Child Loop BB11_582 Depth 2
                                        ;     Child Loop BB11_589 Depth 2
	;; [unrolled: 1-line block ×11, first 2 shown]
	v_cmp_lt_u64_e64 s[4:5], s[10:11], 56
	v_cmp_gt_u64_e64 s[14:15], s[10:11], 7
	s_and_b64 s[4:5], s[4:5], exec
	s_cselect_b32 s13, s11, 0
	s_cselect_b32 s12, s10, 56
	s_and_b64 vcc, exec, s[14:15]
	s_cbranch_vccnz .LBB11_584
; %bb.580:                              ;   in Loop: Header=BB11_579 Depth=1
	s_waitcnt vmcnt(0)
	v_mov_b32_e32 v8, 0
	s_cmp_eq_u64 s[10:11], 0
	v_mov_b32_e32 v9, 0
	s_mov_b64 s[4:5], 0
	s_cbranch_scc1 .LBB11_583
; %bb.581:                              ;   in Loop: Header=BB11_579 Depth=1
	v_mov_b32_e32 v8, 0
	s_lshl_b64 s[14:15], s[12:13], 3
	s_mov_b64 s[16:17], 0
	v_mov_b32_e32 v9, 0
	s_mov_b64 s[18:19], s[8:9]
.LBB11_582:                             ;   Parent Loop BB11_579 Depth=1
                                        ; =>  This Inner Loop Header: Depth=2
	global_load_ubyte v2, v26, s[18:19]
	s_waitcnt vmcnt(0)
	v_and_b32_e32 v25, 0xffff, v2
	v_lshlrev_b64 v[2:3], s16, v[25:26]
	s_add_u32 s16, s16, 8
	s_addc_u32 s17, s17, 0
	s_add_u32 s18, s18, 1
	s_addc_u32 s19, s19, 0
	v_or_b32_e32 v8, v2, v8
	s_cmp_lg_u32 s14, s16
	v_or_b32_e32 v9, v3, v9
	s_cbranch_scc1 .LBB11_582
.LBB11_583:                             ;   in Loop: Header=BB11_579 Depth=1
	s_mov_b32 s18, 0
	s_andn2_b64 vcc, exec, s[4:5]
	s_mov_b64 s[4:5], s[8:9]
	s_cbranch_vccz .LBB11_585
	s_branch .LBB11_586
.LBB11_584:                             ;   in Loop: Header=BB11_579 Depth=1
                                        ; implicit-def: $sgpr18
	s_mov_b64 s[4:5], s[8:9]
.LBB11_585:                             ;   in Loop: Header=BB11_579 Depth=1
	global_load_dwordx2 v[8:9], v26, s[8:9]
	s_add_i32 s18, s12, -8
	s_add_u32 s4, s8, 8
	s_addc_u32 s5, s9, 0
.LBB11_586:                             ;   in Loop: Header=BB11_579 Depth=1
	s_cmp_gt_u32 s18, 7
	s_cbranch_scc1 .LBB11_590
; %bb.587:                              ;   in Loop: Header=BB11_579 Depth=1
	s_cmp_eq_u32 s18, 0
	s_cbranch_scc1 .LBB11_591
; %bb.588:                              ;   in Loop: Header=BB11_579 Depth=1
	v_mov_b32_e32 v10, 0
	s_mov_b64 s[14:15], 0
	v_mov_b32_e32 v11, 0
	s_mov_b64 s[16:17], 0
.LBB11_589:                             ;   Parent Loop BB11_579 Depth=1
                                        ; =>  This Inner Loop Header: Depth=2
	s_add_u32 s20, s4, s16
	s_addc_u32 s21, s5, s17
	global_load_ubyte v2, v26, s[20:21]
	s_add_u32 s16, s16, 1
	s_addc_u32 s17, s17, 0
	s_waitcnt vmcnt(0)
	v_and_b32_e32 v25, 0xffff, v2
	v_lshlrev_b64 v[2:3], s14, v[25:26]
	s_add_u32 s14, s14, 8
	s_addc_u32 s15, s15, 0
	v_or_b32_e32 v10, v2, v10
	s_cmp_lg_u32 s18, s16
	v_or_b32_e32 v11, v3, v11
	s_cbranch_scc1 .LBB11_589
	s_branch .LBB11_592
.LBB11_590:                             ;   in Loop: Header=BB11_579 Depth=1
                                        ; implicit-def: $vgpr10_vgpr11
                                        ; implicit-def: $sgpr19
	s_branch .LBB11_593
.LBB11_591:                             ;   in Loop: Header=BB11_579 Depth=1
	v_mov_b32_e32 v10, 0
	v_mov_b32_e32 v11, 0
.LBB11_592:                             ;   in Loop: Header=BB11_579 Depth=1
	s_mov_b32 s19, 0
	s_cbranch_execnz .LBB11_594
.LBB11_593:                             ;   in Loop: Header=BB11_579 Depth=1
	global_load_dwordx2 v[10:11], v26, s[4:5]
	s_add_i32 s19, s18, -8
	s_add_u32 s4, s4, 8
	s_addc_u32 s5, s5, 0
.LBB11_594:                             ;   in Loop: Header=BB11_579 Depth=1
	s_cmp_gt_u32 s19, 7
	s_cbranch_scc1 .LBB11_598
; %bb.595:                              ;   in Loop: Header=BB11_579 Depth=1
	s_cmp_eq_u32 s19, 0
	s_cbranch_scc1 .LBB11_599
; %bb.596:                              ;   in Loop: Header=BB11_579 Depth=1
	v_mov_b32_e32 v12, 0
	s_mov_b64 s[14:15], 0
	v_mov_b32_e32 v13, 0
	s_mov_b64 s[16:17], 0
.LBB11_597:                             ;   Parent Loop BB11_579 Depth=1
                                        ; =>  This Inner Loop Header: Depth=2
	s_add_u32 s20, s4, s16
	s_addc_u32 s21, s5, s17
	global_load_ubyte v2, v26, s[20:21]
	s_add_u32 s16, s16, 1
	s_addc_u32 s17, s17, 0
	s_waitcnt vmcnt(0)
	v_and_b32_e32 v25, 0xffff, v2
	v_lshlrev_b64 v[2:3], s14, v[25:26]
	s_add_u32 s14, s14, 8
	s_addc_u32 s15, s15, 0
	v_or_b32_e32 v12, v2, v12
	s_cmp_lg_u32 s19, s16
	v_or_b32_e32 v13, v3, v13
	s_cbranch_scc1 .LBB11_597
	s_branch .LBB11_600
.LBB11_598:                             ;   in Loop: Header=BB11_579 Depth=1
                                        ; implicit-def: $sgpr18
	s_branch .LBB11_601
.LBB11_599:                             ;   in Loop: Header=BB11_579 Depth=1
	v_mov_b32_e32 v12, 0
	v_mov_b32_e32 v13, 0
.LBB11_600:                             ;   in Loop: Header=BB11_579 Depth=1
	s_mov_b32 s18, 0
	s_cbranch_execnz .LBB11_602
.LBB11_601:                             ;   in Loop: Header=BB11_579 Depth=1
	global_load_dwordx2 v[12:13], v26, s[4:5]
	s_add_i32 s18, s19, -8
	s_add_u32 s4, s4, 8
	s_addc_u32 s5, s5, 0
.LBB11_602:                             ;   in Loop: Header=BB11_579 Depth=1
	s_cmp_gt_u32 s18, 7
	s_cbranch_scc1 .LBB11_606
; %bb.603:                              ;   in Loop: Header=BB11_579 Depth=1
	s_cmp_eq_u32 s18, 0
	s_cbranch_scc1 .LBB11_607
; %bb.604:                              ;   in Loop: Header=BB11_579 Depth=1
	v_mov_b32_e32 v14, 0
	s_mov_b64 s[14:15], 0
	v_mov_b32_e32 v15, 0
	s_mov_b64 s[16:17], 0
.LBB11_605:                             ;   Parent Loop BB11_579 Depth=1
                                        ; =>  This Inner Loop Header: Depth=2
	s_add_u32 s20, s4, s16
	s_addc_u32 s21, s5, s17
	global_load_ubyte v2, v26, s[20:21]
	s_add_u32 s16, s16, 1
	s_addc_u32 s17, s17, 0
	s_waitcnt vmcnt(0)
	v_and_b32_e32 v25, 0xffff, v2
	v_lshlrev_b64 v[2:3], s14, v[25:26]
	s_add_u32 s14, s14, 8
	s_addc_u32 s15, s15, 0
	v_or_b32_e32 v14, v2, v14
	s_cmp_lg_u32 s18, s16
	v_or_b32_e32 v15, v3, v15
	s_cbranch_scc1 .LBB11_605
	s_branch .LBB11_608
.LBB11_606:                             ;   in Loop: Header=BB11_579 Depth=1
                                        ; implicit-def: $vgpr14_vgpr15
                                        ; implicit-def: $sgpr19
	s_branch .LBB11_609
.LBB11_607:                             ;   in Loop: Header=BB11_579 Depth=1
	v_mov_b32_e32 v14, 0
	v_mov_b32_e32 v15, 0
.LBB11_608:                             ;   in Loop: Header=BB11_579 Depth=1
	s_mov_b32 s19, 0
	s_cbranch_execnz .LBB11_610
.LBB11_609:                             ;   in Loop: Header=BB11_579 Depth=1
	global_load_dwordx2 v[14:15], v26, s[4:5]
	s_add_i32 s19, s18, -8
	s_add_u32 s4, s4, 8
	s_addc_u32 s5, s5, 0
.LBB11_610:                             ;   in Loop: Header=BB11_579 Depth=1
	s_cmp_gt_u32 s19, 7
	s_cbranch_scc1 .LBB11_614
; %bb.611:                              ;   in Loop: Header=BB11_579 Depth=1
	s_cmp_eq_u32 s19, 0
	s_cbranch_scc1 .LBB11_615
; %bb.612:                              ;   in Loop: Header=BB11_579 Depth=1
	v_mov_b32_e32 v16, 0
	s_mov_b64 s[14:15], 0
	v_mov_b32_e32 v17, 0
	s_mov_b64 s[16:17], 0
.LBB11_613:                             ;   Parent Loop BB11_579 Depth=1
                                        ; =>  This Inner Loop Header: Depth=2
	s_add_u32 s20, s4, s16
	s_addc_u32 s21, s5, s17
	global_load_ubyte v2, v26, s[20:21]
	s_add_u32 s16, s16, 1
	s_addc_u32 s17, s17, 0
	s_waitcnt vmcnt(0)
	v_and_b32_e32 v25, 0xffff, v2
	v_lshlrev_b64 v[2:3], s14, v[25:26]
	s_add_u32 s14, s14, 8
	s_addc_u32 s15, s15, 0
	v_or_b32_e32 v16, v2, v16
	s_cmp_lg_u32 s19, s16
	v_or_b32_e32 v17, v3, v17
	s_cbranch_scc1 .LBB11_613
	s_branch .LBB11_616
.LBB11_614:                             ;   in Loop: Header=BB11_579 Depth=1
                                        ; implicit-def: $sgpr18
	s_branch .LBB11_617
.LBB11_615:                             ;   in Loop: Header=BB11_579 Depth=1
	v_mov_b32_e32 v16, 0
	v_mov_b32_e32 v17, 0
.LBB11_616:                             ;   in Loop: Header=BB11_579 Depth=1
	s_mov_b32 s18, 0
	s_cbranch_execnz .LBB11_618
.LBB11_617:                             ;   in Loop: Header=BB11_579 Depth=1
	global_load_dwordx2 v[16:17], v26, s[4:5]
	s_add_i32 s18, s19, -8
	s_add_u32 s4, s4, 8
	s_addc_u32 s5, s5, 0
.LBB11_618:                             ;   in Loop: Header=BB11_579 Depth=1
	s_cmp_gt_u32 s18, 7
	s_cbranch_scc1 .LBB11_622
; %bb.619:                              ;   in Loop: Header=BB11_579 Depth=1
	s_cmp_eq_u32 s18, 0
	s_cbranch_scc1 .LBB11_623
; %bb.620:                              ;   in Loop: Header=BB11_579 Depth=1
	v_mov_b32_e32 v18, 0
	s_mov_b64 s[14:15], 0
	v_mov_b32_e32 v19, 0
	s_mov_b64 s[16:17], 0
.LBB11_621:                             ;   Parent Loop BB11_579 Depth=1
                                        ; =>  This Inner Loop Header: Depth=2
	s_add_u32 s20, s4, s16
	s_addc_u32 s21, s5, s17
	global_load_ubyte v2, v26, s[20:21]
	s_add_u32 s16, s16, 1
	s_addc_u32 s17, s17, 0
	s_waitcnt vmcnt(0)
	v_and_b32_e32 v25, 0xffff, v2
	v_lshlrev_b64 v[2:3], s14, v[25:26]
	s_add_u32 s14, s14, 8
	s_addc_u32 s15, s15, 0
	v_or_b32_e32 v18, v2, v18
	s_cmp_lg_u32 s18, s16
	v_or_b32_e32 v19, v3, v19
	s_cbranch_scc1 .LBB11_621
	s_branch .LBB11_624
.LBB11_622:                             ;   in Loop: Header=BB11_579 Depth=1
                                        ; implicit-def: $vgpr18_vgpr19
                                        ; implicit-def: $sgpr19
	s_branch .LBB11_625
.LBB11_623:                             ;   in Loop: Header=BB11_579 Depth=1
	v_mov_b32_e32 v18, 0
	v_mov_b32_e32 v19, 0
.LBB11_624:                             ;   in Loop: Header=BB11_579 Depth=1
	s_mov_b32 s19, 0
	s_cbranch_execnz .LBB11_626
.LBB11_625:                             ;   in Loop: Header=BB11_579 Depth=1
	global_load_dwordx2 v[18:19], v26, s[4:5]
	s_add_i32 s19, s18, -8
	s_add_u32 s4, s4, 8
	s_addc_u32 s5, s5, 0
.LBB11_626:                             ;   in Loop: Header=BB11_579 Depth=1
	s_cmp_gt_u32 s19, 7
	s_cbranch_scc1 .LBB11_630
; %bb.627:                              ;   in Loop: Header=BB11_579 Depth=1
	s_cmp_eq_u32 s19, 0
	s_cbranch_scc1 .LBB11_631
; %bb.628:                              ;   in Loop: Header=BB11_579 Depth=1
	v_mov_b32_e32 v20, 0
	s_mov_b64 s[14:15], 0
	v_mov_b32_e32 v21, 0
	s_mov_b64 s[16:17], s[4:5]
.LBB11_629:                             ;   Parent Loop BB11_579 Depth=1
                                        ; =>  This Inner Loop Header: Depth=2
	global_load_ubyte v2, v26, s[16:17]
	s_add_i32 s19, s19, -1
	s_waitcnt vmcnt(0)
	v_and_b32_e32 v25, 0xffff, v2
	v_lshlrev_b64 v[2:3], s14, v[25:26]
	s_add_u32 s14, s14, 8
	s_addc_u32 s15, s15, 0
	s_add_u32 s16, s16, 1
	s_addc_u32 s17, s17, 0
	v_or_b32_e32 v20, v2, v20
	s_cmp_lg_u32 s19, 0
	v_or_b32_e32 v21, v3, v21
	s_cbranch_scc1 .LBB11_629
	s_branch .LBB11_632
.LBB11_630:                             ;   in Loop: Header=BB11_579 Depth=1
	s_branch .LBB11_633
.LBB11_631:                             ;   in Loop: Header=BB11_579 Depth=1
	v_mov_b32_e32 v20, 0
	v_mov_b32_e32 v21, 0
.LBB11_632:                             ;   in Loop: Header=BB11_579 Depth=1
	s_cbranch_execnz .LBB11_634
.LBB11_633:                             ;   in Loop: Header=BB11_579 Depth=1
	global_load_dwordx2 v[20:21], v26, s[4:5]
.LBB11_634:                             ;   in Loop: Header=BB11_579 Depth=1
	v_readfirstlane_b32 s4, v42
	v_mov_b32_e32 v2, 0
	v_mov_b32_e32 v3, 0
	v_cmp_eq_u32_e64 s[4:5], s4, v42
	s_and_saveexec_b64 s[14:15], s[4:5]
	s_cbranch_execz .LBB11_640
; %bb.635:                              ;   in Loop: Header=BB11_579 Depth=1
	global_load_dwordx2 v[24:25], v26, s[44:45] offset:24 glc
	s_waitcnt vmcnt(0)
	buffer_wbinvl1_vol
	global_load_dwordx2 v[2:3], v26, s[44:45] offset:40
	global_load_dwordx2 v[22:23], v26, s[44:45]
	s_waitcnt vmcnt(1)
	v_and_b32_e32 v2, v2, v24
	v_and_b32_e32 v3, v3, v25
	v_mul_lo_u32 v3, v3, 24
	v_mul_hi_u32 v27, v2, 24
	v_mul_lo_u32 v2, v2, 24
	v_add_u32_e32 v3, v27, v3
	s_waitcnt vmcnt(0)
	v_add_co_u32_e32 v2, vcc, v22, v2
	v_addc_co_u32_e32 v3, vcc, v23, v3, vcc
	global_load_dwordx2 v[22:23], v[2:3], off glc
	s_waitcnt vmcnt(0)
	global_atomic_cmpswap_x2 v[2:3], v26, v[22:25], s[44:45] offset:24 glc
	s_waitcnt vmcnt(0)
	buffer_wbinvl1_vol
	v_cmp_ne_u64_e32 vcc, v[2:3], v[24:25]
	s_and_saveexec_b64 s[16:17], vcc
	s_cbranch_execz .LBB11_639
; %bb.636:                              ;   in Loop: Header=BB11_579 Depth=1
	s_mov_b64 s[18:19], 0
.LBB11_637:                             ;   Parent Loop BB11_579 Depth=1
                                        ; =>  This Inner Loop Header: Depth=2
	s_sleep 1
	global_load_dwordx2 v[22:23], v26, s[44:45] offset:40
	global_load_dwordx2 v[27:28], v26, s[44:45]
	v_mov_b32_e32 v25, v3
	v_mov_b32_e32 v24, v2
	s_waitcnt vmcnt(1)
	v_and_b32_e32 v2, v22, v24
	s_waitcnt vmcnt(0)
	v_mad_u64_u32 v[2:3], s[20:21], v2, 24, v[27:28]
	v_and_b32_e32 v22, v23, v25
	v_mad_u64_u32 v[22:23], s[20:21], v22, 24, v[3:4]
	v_mov_b32_e32 v3, v22
	global_load_dwordx2 v[22:23], v[2:3], off glc
	s_waitcnt vmcnt(0)
	global_atomic_cmpswap_x2 v[2:3], v26, v[22:25], s[44:45] offset:24 glc
	s_waitcnt vmcnt(0)
	buffer_wbinvl1_vol
	v_cmp_eq_u64_e32 vcc, v[2:3], v[24:25]
	s_or_b64 s[18:19], vcc, s[18:19]
	s_andn2_b64 exec, exec, s[18:19]
	s_cbranch_execnz .LBB11_637
; %bb.638:                              ;   in Loop: Header=BB11_579 Depth=1
	s_or_b64 exec, exec, s[18:19]
.LBB11_639:                             ;   in Loop: Header=BB11_579 Depth=1
	s_or_b64 exec, exec, s[16:17]
.LBB11_640:                             ;   in Loop: Header=BB11_579 Depth=1
	s_or_b64 exec, exec, s[14:15]
	global_load_dwordx2 v[27:28], v26, s[44:45] offset:40
	global_load_dwordx4 v[22:25], v26, s[44:45]
	v_readfirstlane_b32 s14, v2
	v_readfirstlane_b32 s15, v3
	s_mov_b64 s[16:17], exec
	s_waitcnt vmcnt(1)
	v_readfirstlane_b32 s18, v27
	v_readfirstlane_b32 s19, v28
	s_and_b64 s[18:19], s[14:15], s[18:19]
	s_mul_i32 s20, s19, 24
	s_mul_hi_u32 s21, s18, 24
	s_mul_i32 s22, s18, 24
	s_add_i32 s20, s21, s20
	v_mov_b32_e32 v2, s20
	s_waitcnt vmcnt(0)
	v_add_co_u32_e32 v27, vcc, s22, v22
	v_addc_co_u32_e32 v28, vcc, v23, v2, vcc
	s_and_saveexec_b64 s[20:21], s[4:5]
	s_cbranch_execz .LBB11_642
; %bb.641:                              ;   in Loop: Header=BB11_579 Depth=1
	v_mov_b32_e32 v2, s16
	v_mov_b32_e32 v3, s17
	global_store_dwordx4 v[27:28], v[2:5], off offset:8
.LBB11_642:                             ;   in Loop: Header=BB11_579 Depth=1
	s_or_b64 exec, exec, s[20:21]
	s_lshl_b64 s[16:17], s[18:19], 12
	v_mov_b32_e32 v2, s17
	v_add_co_u32_e32 v24, vcc, s16, v24
	v_addc_co_u32_e32 v29, vcc, v25, v2, vcc
	v_cmp_gt_u64_e64 vcc, s[10:11], 56
	v_or_b32_e32 v2, 2, v6
	s_lshl_b32 s16, s12, 2
	v_cndmask_b32_e32 v2, v2, v6, vcc
	s_add_i32 s16, s16, 28
	s_and_b32 s16, s16, 0x1e0
	v_and_b32_e32 v2, 0xffffff1f, v2
	v_or_b32_e32 v6, s16, v2
	v_readfirstlane_b32 s16, v24
	v_readfirstlane_b32 s17, v29
	s_nop 4
	global_store_dwordx4 v41, v[6:9], s[16:17]
	global_store_dwordx4 v41, v[10:13], s[16:17] offset:16
	global_store_dwordx4 v41, v[14:17], s[16:17] offset:32
	;; [unrolled: 1-line block ×3, first 2 shown]
	s_and_saveexec_b64 s[16:17], s[4:5]
	s_cbranch_execz .LBB11_650
; %bb.643:                              ;   in Loop: Header=BB11_579 Depth=1
	global_load_dwordx2 v[10:11], v26, s[44:45] offset:32 glc
	global_load_dwordx2 v[2:3], v26, s[44:45] offset:40
	v_mov_b32_e32 v8, s14
	v_mov_b32_e32 v9, s15
	s_waitcnt vmcnt(0)
	v_readfirstlane_b32 s18, v2
	v_readfirstlane_b32 s19, v3
	s_and_b64 s[18:19], s[18:19], s[14:15]
	s_mul_i32 s19, s19, 24
	s_mul_hi_u32 s20, s18, 24
	s_mul_i32 s18, s18, 24
	s_add_i32 s19, s20, s19
	v_mov_b32_e32 v3, s19
	v_add_co_u32_e32 v2, vcc, s18, v22
	v_addc_co_u32_e32 v3, vcc, v23, v3, vcc
	global_store_dwordx2 v[2:3], v[10:11], off
	s_waitcnt vmcnt(0)
	global_atomic_cmpswap_x2 v[8:9], v26, v[8:11], s[44:45] offset:32 glc
	s_waitcnt vmcnt(0)
	v_cmp_ne_u64_e32 vcc, v[8:9], v[10:11]
	s_and_saveexec_b64 s[18:19], vcc
	s_cbranch_execz .LBB11_646
; %bb.644:                              ;   in Loop: Header=BB11_579 Depth=1
	s_mov_b64 s[20:21], 0
.LBB11_645:                             ;   Parent Loop BB11_579 Depth=1
                                        ; =>  This Inner Loop Header: Depth=2
	s_sleep 1
	global_store_dwordx2 v[2:3], v[8:9], off
	v_mov_b32_e32 v6, s14
	v_mov_b32_e32 v7, s15
	s_waitcnt vmcnt(0)
	global_atomic_cmpswap_x2 v[6:7], v26, v[6:9], s[44:45] offset:32 glc
	s_waitcnt vmcnt(0)
	v_cmp_eq_u64_e32 vcc, v[6:7], v[8:9]
	v_mov_b32_e32 v9, v7
	s_or_b64 s[20:21], vcc, s[20:21]
	v_mov_b32_e32 v8, v6
	s_andn2_b64 exec, exec, s[20:21]
	s_cbranch_execnz .LBB11_645
.LBB11_646:                             ;   in Loop: Header=BB11_579 Depth=1
	s_or_b64 exec, exec, s[18:19]
	global_load_dwordx2 v[2:3], v26, s[44:45] offset:16
	s_mov_b64 s[20:21], exec
	v_mbcnt_lo_u32_b32 v6, s20, 0
	v_mbcnt_hi_u32_b32 v6, s21, v6
	v_cmp_eq_u32_e32 vcc, 0, v6
	s_and_saveexec_b64 s[18:19], vcc
	s_cbranch_execz .LBB11_648
; %bb.647:                              ;   in Loop: Header=BB11_579 Depth=1
	s_bcnt1_i32_b64 s20, s[20:21]
	v_mov_b32_e32 v25, s20
	s_waitcnt vmcnt(0)
	global_atomic_add_x2 v[2:3], v[25:26], off offset:8
.LBB11_648:                             ;   in Loop: Header=BB11_579 Depth=1
	s_or_b64 exec, exec, s[18:19]
	s_waitcnt vmcnt(0)
	global_load_dwordx2 v[6:7], v[2:3], off offset:16
	s_waitcnt vmcnt(0)
	v_cmp_eq_u64_e32 vcc, 0, v[6:7]
	s_cbranch_vccnz .LBB11_650
; %bb.649:                              ;   in Loop: Header=BB11_579 Depth=1
	global_load_dword v25, v[2:3], off offset:24
	s_waitcnt vmcnt(0)
	v_and_b32_e32 v2, 0xffffff, v25
	v_readfirstlane_b32 m0, v2
	global_store_dwordx2 v[6:7], v[25:26], off
	s_sendmsg sendmsg(MSG_INTERRUPT)
.LBB11_650:                             ;   in Loop: Header=BB11_579 Depth=1
	s_or_b64 exec, exec, s[16:17]
	v_add_co_u32_e32 v2, vcc, v24, v41
	v_addc_co_u32_e32 v3, vcc, 0, v29, vcc
	s_branch .LBB11_654
.LBB11_651:                             ;   in Loop: Header=BB11_654 Depth=2
	s_or_b64 exec, exec, s[16:17]
	v_readfirstlane_b32 s16, v6
	s_cmp_eq_u32 s16, 0
	s_cbranch_scc1 .LBB11_653
; %bb.652:                              ;   in Loop: Header=BB11_654 Depth=2
	s_sleep 1
	s_cbranch_execnz .LBB11_654
	s_branch .LBB11_656
.LBB11_653:                             ;   in Loop: Header=BB11_579 Depth=1
	s_branch .LBB11_656
.LBB11_654:                             ;   Parent Loop BB11_579 Depth=1
                                        ; =>  This Inner Loop Header: Depth=2
	v_mov_b32_e32 v6, 1
	s_and_saveexec_b64 s[16:17], s[4:5]
	s_cbranch_execz .LBB11_651
; %bb.655:                              ;   in Loop: Header=BB11_654 Depth=2
	global_load_dword v6, v[27:28], off offset:20 glc
	s_waitcnt vmcnt(0)
	buffer_wbinvl1_vol
	v_and_b32_e32 v6, 1, v6
	s_branch .LBB11_651
.LBB11_656:                             ;   in Loop: Header=BB11_579 Depth=1
	global_load_dwordx4 v[6:9], v[2:3], off
	s_and_saveexec_b64 s[16:17], s[4:5]
	s_cbranch_execz .LBB11_578
; %bb.657:                              ;   in Loop: Header=BB11_579 Depth=1
	global_load_dwordx2 v[2:3], v26, s[44:45] offset:40
	global_load_dwordx2 v[12:13], v26, s[44:45] offset:24 glc
	global_load_dwordx2 v[14:15], v26, s[44:45]
	s_waitcnt vmcnt(3)
	v_mov_b32_e32 v9, s15
	s_waitcnt vmcnt(2)
	v_add_co_u32_e32 v10, vcc, 1, v2
	v_addc_co_u32_e32 v11, vcc, 0, v3, vcc
	v_add_co_u32_e32 v8, vcc, s14, v10
	v_addc_co_u32_e32 v9, vcc, v11, v9, vcc
	v_cmp_eq_u64_e32 vcc, 0, v[8:9]
	v_cndmask_b32_e32 v9, v9, v11, vcc
	v_cndmask_b32_e32 v8, v8, v10, vcc
	v_and_b32_e32 v3, v9, v3
	v_and_b32_e32 v2, v8, v2
	v_mul_lo_u32 v3, v3, 24
	v_mul_hi_u32 v11, v2, 24
	v_mul_lo_u32 v2, v2, 24
	s_waitcnt vmcnt(1)
	v_mov_b32_e32 v10, v12
	v_add_u32_e32 v3, v11, v3
	s_waitcnt vmcnt(0)
	v_add_co_u32_e32 v2, vcc, v14, v2
	v_addc_co_u32_e32 v3, vcc, v15, v3, vcc
	global_store_dwordx2 v[2:3], v[12:13], off
	v_mov_b32_e32 v11, v13
	s_waitcnt vmcnt(0)
	global_atomic_cmpswap_x2 v[10:11], v26, v[8:11], s[44:45] offset:24 glc
	s_waitcnt vmcnt(0)
	v_cmp_ne_u64_e32 vcc, v[10:11], v[12:13]
	s_and_b64 exec, exec, vcc
	s_cbranch_execz .LBB11_578
; %bb.658:                              ;   in Loop: Header=BB11_579 Depth=1
	s_mov_b64 s[4:5], 0
.LBB11_659:                             ;   Parent Loop BB11_579 Depth=1
                                        ; =>  This Inner Loop Header: Depth=2
	s_sleep 1
	global_store_dwordx2 v[2:3], v[10:11], off
	s_waitcnt vmcnt(0)
	global_atomic_cmpswap_x2 v[12:13], v26, v[8:11], s[44:45] offset:24 glc
	s_waitcnt vmcnt(0)
	v_cmp_eq_u64_e32 vcc, v[12:13], v[10:11]
	v_mov_b32_e32 v10, v12
	s_or_b64 s[4:5], vcc, s[4:5]
	v_mov_b32_e32 v11, v13
	s_andn2_b64 exec, exec, s[4:5]
	s_cbranch_execnz .LBB11_659
	s_branch .LBB11_578
.LBB11_660:
	s_mov_b64 s[4:5], 0
	s_branch .LBB11_662
.LBB11_661:
	s_mov_b64 s[4:5], -1
.LBB11_662:
	s_and_b64 vcc, exec, s[4:5]
	s_cbranch_vccz .LBB11_689
; %bb.663:
	v_readfirstlane_b32 s4, v42
	s_waitcnt vmcnt(0)
	v_mov_b32_e32 v8, 0
	v_mov_b32_e32 v9, 0
	v_cmp_eq_u32_e64 s[4:5], s4, v42
	s_and_saveexec_b64 s[8:9], s[4:5]
	s_cbranch_execz .LBB11_669
; %bb.664:
	v_mov_b32_e32 v2, 0
	global_load_dwordx2 v[5:6], v2, s[44:45] offset:24 glc
	s_waitcnt vmcnt(0)
	buffer_wbinvl1_vol
	global_load_dwordx2 v[3:4], v2, s[44:45] offset:40
	global_load_dwordx2 v[7:8], v2, s[44:45]
	s_waitcnt vmcnt(1)
	v_and_b32_e32 v3, v3, v5
	v_and_b32_e32 v4, v4, v6
	v_mul_lo_u32 v4, v4, 24
	v_mul_hi_u32 v9, v3, 24
	v_mul_lo_u32 v3, v3, 24
	v_add_u32_e32 v4, v9, v4
	s_waitcnt vmcnt(0)
	v_add_co_u32_e32 v3, vcc, v7, v3
	v_addc_co_u32_e32 v4, vcc, v8, v4, vcc
	global_load_dwordx2 v[3:4], v[3:4], off glc
	s_waitcnt vmcnt(0)
	global_atomic_cmpswap_x2 v[8:9], v2, v[3:6], s[44:45] offset:24 glc
	s_waitcnt vmcnt(0)
	buffer_wbinvl1_vol
	v_cmp_ne_u64_e32 vcc, v[8:9], v[5:6]
	s_and_saveexec_b64 s[10:11], vcc
	s_cbranch_execz .LBB11_668
; %bb.665:
	s_mov_b64 s[12:13], 0
.LBB11_666:                             ; =>This Inner Loop Header: Depth=1
	s_sleep 1
	global_load_dwordx2 v[3:4], v2, s[44:45] offset:40
	global_load_dwordx2 v[10:11], v2, s[44:45]
	v_mov_b32_e32 v5, v8
	v_mov_b32_e32 v6, v9
	s_waitcnt vmcnt(1)
	v_and_b32_e32 v3, v3, v5
	s_waitcnt vmcnt(0)
	v_mad_u64_u32 v[7:8], s[14:15], v3, 24, v[10:11]
	v_and_b32_e32 v4, v4, v6
	v_mov_b32_e32 v3, v8
	v_mad_u64_u32 v[3:4], s[14:15], v4, 24, v[3:4]
	v_mov_b32_e32 v8, v3
	global_load_dwordx2 v[3:4], v[7:8], off glc
	s_waitcnt vmcnt(0)
	global_atomic_cmpswap_x2 v[8:9], v2, v[3:6], s[44:45] offset:24 glc
	s_waitcnt vmcnt(0)
	buffer_wbinvl1_vol
	v_cmp_eq_u64_e32 vcc, v[8:9], v[5:6]
	s_or_b64 s[12:13], vcc, s[12:13]
	s_andn2_b64 exec, exec, s[12:13]
	s_cbranch_execnz .LBB11_666
; %bb.667:
	s_or_b64 exec, exec, s[12:13]
.LBB11_668:
	s_or_b64 exec, exec, s[10:11]
.LBB11_669:
	s_or_b64 exec, exec, s[8:9]
	v_mov_b32_e32 v2, 0
	global_load_dwordx2 v[10:11], v2, s[44:45] offset:40
	global_load_dwordx4 v[4:7], v2, s[44:45]
	v_readfirstlane_b32 s8, v8
	v_readfirstlane_b32 s9, v9
	s_mov_b64 s[10:11], exec
	s_waitcnt vmcnt(1)
	v_readfirstlane_b32 s12, v10
	v_readfirstlane_b32 s13, v11
	s_and_b64 s[12:13], s[8:9], s[12:13]
	s_mul_i32 s14, s13, 24
	s_mul_hi_u32 s15, s12, 24
	s_mul_i32 s16, s12, 24
	s_add_i32 s14, s15, s14
	v_mov_b32_e32 v3, s14
	s_waitcnt vmcnt(0)
	v_add_co_u32_e32 v8, vcc, s16, v4
	v_addc_co_u32_e32 v9, vcc, v5, v3, vcc
	s_and_saveexec_b64 s[14:15], s[4:5]
	s_cbranch_execz .LBB11_671
; %bb.670:
	v_mov_b32_e32 v10, s10
	v_mov_b32_e32 v11, s11
	;; [unrolled: 1-line block ×4, first 2 shown]
	global_store_dwordx4 v[8:9], v[10:13], off offset:8
.LBB11_671:
	s_or_b64 exec, exec, s[14:15]
	s_lshl_b64 s[10:11], s[12:13], 12
	v_mov_b32_e32 v3, s11
	v_add_co_u32_e32 v6, vcc, s10, v6
	v_addc_co_u32_e32 v7, vcc, v7, v3, vcc
	s_movk_i32 s10, 0xff1d
	v_and_or_b32 v0, v0, s10, 34
	s_mov_b32 s12, 0
	v_mov_b32_e32 v3, v2
	v_readfirstlane_b32 s10, v6
	v_readfirstlane_b32 s11, v7
	s_mov_b32 s13, s12
	s_mov_b32 s14, s12
	;; [unrolled: 1-line block ×3, first 2 shown]
	s_nop 1
	global_store_dwordx4 v41, v[0:3], s[10:11]
	s_nop 0
	v_mov_b32_e32 v0, s12
	v_mov_b32_e32 v1, s13
	;; [unrolled: 1-line block ×4, first 2 shown]
	global_store_dwordx4 v41, v[0:3], s[10:11] offset:16
	global_store_dwordx4 v41, v[0:3], s[10:11] offset:32
	;; [unrolled: 1-line block ×3, first 2 shown]
	s_and_saveexec_b64 s[10:11], s[4:5]
	s_cbranch_execz .LBB11_679
; %bb.672:
	v_mov_b32_e32 v6, 0
	global_load_dwordx2 v[12:13], v6, s[44:45] offset:32 glc
	global_load_dwordx2 v[0:1], v6, s[44:45] offset:40
	v_mov_b32_e32 v10, s8
	v_mov_b32_e32 v11, s9
	s_waitcnt vmcnt(0)
	v_readfirstlane_b32 s12, v0
	v_readfirstlane_b32 s13, v1
	s_and_b64 s[12:13], s[12:13], s[8:9]
	s_mul_i32 s13, s13, 24
	s_mul_hi_u32 s14, s12, 24
	s_mul_i32 s12, s12, 24
	s_add_i32 s13, s14, s13
	v_mov_b32_e32 v0, s13
	v_add_co_u32_e32 v4, vcc, s12, v4
	v_addc_co_u32_e32 v5, vcc, v5, v0, vcc
	global_store_dwordx2 v[4:5], v[12:13], off
	s_waitcnt vmcnt(0)
	global_atomic_cmpswap_x2 v[2:3], v6, v[10:13], s[44:45] offset:32 glc
	s_waitcnt vmcnt(0)
	v_cmp_ne_u64_e32 vcc, v[2:3], v[12:13]
	s_and_saveexec_b64 s[12:13], vcc
	s_cbranch_execz .LBB11_675
; %bb.673:
	s_mov_b64 s[14:15], 0
.LBB11_674:                             ; =>This Inner Loop Header: Depth=1
	s_sleep 1
	global_store_dwordx2 v[4:5], v[2:3], off
	v_mov_b32_e32 v0, s8
	v_mov_b32_e32 v1, s9
	s_waitcnt vmcnt(0)
	global_atomic_cmpswap_x2 v[0:1], v6, v[0:3], s[44:45] offset:32 glc
	s_waitcnt vmcnt(0)
	v_cmp_eq_u64_e32 vcc, v[0:1], v[2:3]
	v_mov_b32_e32 v3, v1
	s_or_b64 s[14:15], vcc, s[14:15]
	v_mov_b32_e32 v2, v0
	s_andn2_b64 exec, exec, s[14:15]
	s_cbranch_execnz .LBB11_674
.LBB11_675:
	s_or_b64 exec, exec, s[12:13]
	v_mov_b32_e32 v3, 0
	global_load_dwordx2 v[0:1], v3, s[44:45] offset:16
	s_mov_b64 s[12:13], exec
	v_mbcnt_lo_u32_b32 v2, s12, 0
	v_mbcnt_hi_u32_b32 v2, s13, v2
	v_cmp_eq_u32_e32 vcc, 0, v2
	s_and_saveexec_b64 s[14:15], vcc
	s_cbranch_execz .LBB11_677
; %bb.676:
	s_bcnt1_i32_b64 s12, s[12:13]
	v_mov_b32_e32 v2, s12
	s_waitcnt vmcnt(0)
	global_atomic_add_x2 v[0:1], v[2:3], off offset:8
.LBB11_677:
	s_or_b64 exec, exec, s[14:15]
	s_waitcnt vmcnt(0)
	global_load_dwordx2 v[2:3], v[0:1], off offset:16
	s_waitcnt vmcnt(0)
	v_cmp_eq_u64_e32 vcc, 0, v[2:3]
	s_cbranch_vccnz .LBB11_679
; %bb.678:
	global_load_dword v0, v[0:1], off offset:24
	v_mov_b32_e32 v1, 0
	s_waitcnt vmcnt(0)
	global_store_dwordx2 v[2:3], v[0:1], off
	v_and_b32_e32 v0, 0xffffff, v0
	v_readfirstlane_b32 m0, v0
	s_sendmsg sendmsg(MSG_INTERRUPT)
.LBB11_679:
	s_or_b64 exec, exec, s[10:11]
	s_branch .LBB11_683
.LBB11_680:                             ;   in Loop: Header=BB11_683 Depth=1
	s_or_b64 exec, exec, s[10:11]
	v_readfirstlane_b32 s10, v0
	s_cmp_eq_u32 s10, 0
	s_cbranch_scc1 .LBB11_682
; %bb.681:                              ;   in Loop: Header=BB11_683 Depth=1
	s_sleep 1
	s_cbranch_execnz .LBB11_683
	s_branch .LBB11_685
.LBB11_682:
	s_branch .LBB11_685
.LBB11_683:                             ; =>This Inner Loop Header: Depth=1
	v_mov_b32_e32 v0, 1
	s_and_saveexec_b64 s[10:11], s[4:5]
	s_cbranch_execz .LBB11_680
; %bb.684:                              ;   in Loop: Header=BB11_683 Depth=1
	global_load_dword v0, v[8:9], off offset:20 glc
	s_waitcnt vmcnt(0)
	buffer_wbinvl1_vol
	v_and_b32_e32 v0, 1, v0
	s_branch .LBB11_680
.LBB11_685:
	s_and_saveexec_b64 s[10:11], s[4:5]
	s_cbranch_execz .LBB11_688
; %bb.686:
	v_mov_b32_e32 v6, 0
	global_load_dwordx2 v[2:3], v6, s[44:45] offset:40
	global_load_dwordx2 v[7:8], v6, s[44:45] offset:24 glc
	global_load_dwordx2 v[4:5], v6, s[44:45]
	v_mov_b32_e32 v1, s9
	s_mov_b64 s[4:5], 0
	s_waitcnt vmcnt(2)
	v_add_co_u32_e32 v9, vcc, 1, v2
	v_addc_co_u32_e32 v10, vcc, 0, v3, vcc
	v_add_co_u32_e32 v0, vcc, s8, v9
	v_addc_co_u32_e32 v1, vcc, v10, v1, vcc
	v_cmp_eq_u64_e32 vcc, 0, v[0:1]
	v_cndmask_b32_e32 v1, v1, v10, vcc
	v_cndmask_b32_e32 v0, v0, v9, vcc
	v_and_b32_e32 v3, v1, v3
	v_and_b32_e32 v2, v0, v2
	v_mul_lo_u32 v3, v3, 24
	v_mul_hi_u32 v9, v2, 24
	v_mul_lo_u32 v10, v2, 24
	s_waitcnt vmcnt(1)
	v_mov_b32_e32 v2, v7
	v_add_u32_e32 v3, v9, v3
	s_waitcnt vmcnt(0)
	v_add_co_u32_e32 v4, vcc, v4, v10
	v_addc_co_u32_e32 v5, vcc, v5, v3, vcc
	global_store_dwordx2 v[4:5], v[7:8], off
	v_mov_b32_e32 v3, v8
	s_waitcnt vmcnt(0)
	global_atomic_cmpswap_x2 v[2:3], v6, v[0:3], s[44:45] offset:24 glc
	s_waitcnt vmcnt(0)
	v_cmp_ne_u64_e32 vcc, v[2:3], v[7:8]
	s_and_b64 exec, exec, vcc
	s_cbranch_execz .LBB11_688
.LBB11_687:                             ; =>This Inner Loop Header: Depth=1
	s_sleep 1
	global_store_dwordx2 v[4:5], v[2:3], off
	s_waitcnt vmcnt(0)
	global_atomic_cmpswap_x2 v[7:8], v6, v[0:3], s[44:45] offset:24 glc
	s_waitcnt vmcnt(0)
	v_cmp_eq_u64_e32 vcc, v[7:8], v[2:3]
	v_mov_b32_e32 v2, v7
	s_or_b64 s[4:5], vcc, s[4:5]
	v_mov_b32_e32 v3, v8
	s_andn2_b64 exec, exec, s[4:5]
	s_cbranch_execnz .LBB11_687
.LBB11_688:
	s_or_b64 exec, exec, s[10:11]
.LBB11_689:
	v_readfirstlane_b32 s4, v42
	s_waitcnt vmcnt(0)
	v_mov_b32_e32 v5, 0
	v_mov_b32_e32 v6, 0
	v_cmp_eq_u32_e64 s[4:5], s4, v42
	s_and_saveexec_b64 s[8:9], s[4:5]
	s_cbranch_execz .LBB11_695
; %bb.690:
	v_mov_b32_e32 v0, 0
	global_load_dwordx2 v[3:4], v0, s[44:45] offset:24 glc
	s_waitcnt vmcnt(0)
	buffer_wbinvl1_vol
	global_load_dwordx2 v[1:2], v0, s[44:45] offset:40
	global_load_dwordx2 v[5:6], v0, s[44:45]
	s_waitcnt vmcnt(1)
	v_and_b32_e32 v1, v1, v3
	v_and_b32_e32 v2, v2, v4
	v_mul_lo_u32 v2, v2, 24
	v_mul_hi_u32 v7, v1, 24
	v_mul_lo_u32 v1, v1, 24
	v_add_u32_e32 v2, v7, v2
	s_waitcnt vmcnt(0)
	v_add_co_u32_e32 v1, vcc, v5, v1
	v_addc_co_u32_e32 v2, vcc, v6, v2, vcc
	global_load_dwordx2 v[1:2], v[1:2], off glc
	s_waitcnt vmcnt(0)
	global_atomic_cmpswap_x2 v[5:6], v0, v[1:4], s[44:45] offset:24 glc
	s_waitcnt vmcnt(0)
	buffer_wbinvl1_vol
	v_cmp_ne_u64_e32 vcc, v[5:6], v[3:4]
	s_and_saveexec_b64 s[10:11], vcc
	s_cbranch_execz .LBB11_694
; %bb.691:
	s_mov_b64 s[12:13], 0
.LBB11_692:                             ; =>This Inner Loop Header: Depth=1
	s_sleep 1
	global_load_dwordx2 v[1:2], v0, s[44:45] offset:40
	global_load_dwordx2 v[7:8], v0, s[44:45]
	v_mov_b32_e32 v3, v5
	v_mov_b32_e32 v4, v6
	s_waitcnt vmcnt(1)
	v_and_b32_e32 v1, v1, v3
	s_waitcnt vmcnt(0)
	v_mad_u64_u32 v[5:6], s[14:15], v1, 24, v[7:8]
	v_and_b32_e32 v2, v2, v4
	v_mov_b32_e32 v1, v6
	v_mad_u64_u32 v[1:2], s[14:15], v2, 24, v[1:2]
	v_mov_b32_e32 v6, v1
	global_load_dwordx2 v[1:2], v[5:6], off glc
	s_waitcnt vmcnt(0)
	global_atomic_cmpswap_x2 v[5:6], v0, v[1:4], s[44:45] offset:24 glc
	s_waitcnt vmcnt(0)
	buffer_wbinvl1_vol
	v_cmp_eq_u64_e32 vcc, v[5:6], v[3:4]
	s_or_b64 s[12:13], vcc, s[12:13]
	s_andn2_b64 exec, exec, s[12:13]
	s_cbranch_execnz .LBB11_692
; %bb.693:
	s_or_b64 exec, exec, s[12:13]
.LBB11_694:
	s_or_b64 exec, exec, s[10:11]
.LBB11_695:
	s_or_b64 exec, exec, s[8:9]
	v_mov_b32_e32 v4, 0
	global_load_dwordx2 v[7:8], v4, s[44:45] offset:40
	global_load_dwordx4 v[0:3], v4, s[44:45]
	v_readfirstlane_b32 s8, v5
	v_readfirstlane_b32 s9, v6
	s_mov_b64 s[10:11], exec
	s_waitcnt vmcnt(1)
	v_readfirstlane_b32 s12, v7
	v_readfirstlane_b32 s13, v8
	s_and_b64 s[12:13], s[8:9], s[12:13]
	s_mul_i32 s14, s13, 24
	s_mul_hi_u32 s15, s12, 24
	s_mul_i32 s16, s12, 24
	s_add_i32 s14, s15, s14
	v_mov_b32_e32 v5, s14
	s_waitcnt vmcnt(0)
	v_add_co_u32_e32 v7, vcc, s16, v0
	v_addc_co_u32_e32 v8, vcc, v1, v5, vcc
	s_and_saveexec_b64 s[14:15], s[4:5]
	s_cbranch_execz .LBB11_697
; %bb.696:
	v_mov_b32_e32 v9, s10
	v_mov_b32_e32 v10, s11
	;; [unrolled: 1-line block ×4, first 2 shown]
	global_store_dwordx4 v[7:8], v[9:12], off offset:8
.LBB11_697:
	s_or_b64 exec, exec, s[14:15]
	s_lshl_b64 s[10:11], s[12:13], 12
	v_mov_b32_e32 v5, s11
	v_add_co_u32_e32 v2, vcc, s10, v2
	v_addc_co_u32_e32 v11, vcc, v3, v5, vcc
	s_mov_b32 s12, 0
	v_mov_b32_e32 v3, 33
	v_mov_b32_e32 v5, v4
	;; [unrolled: 1-line block ×3, first 2 shown]
	v_readfirstlane_b32 s10, v2
	v_readfirstlane_b32 s11, v11
	v_add_co_u32_e32 v9, vcc, v2, v41
	s_mov_b32 s13, s12
	s_mov_b32 s14, s12
	;; [unrolled: 1-line block ×3, first 2 shown]
	s_nop 0
	global_store_dwordx4 v41, v[3:6], s[10:11]
	v_mov_b32_e32 v2, s12
	v_addc_co_u32_e32 v10, vcc, 0, v11, vcc
	v_mov_b32_e32 v3, s13
	v_mov_b32_e32 v4, s14
	;; [unrolled: 1-line block ×3, first 2 shown]
	global_store_dwordx4 v41, v[2:5], s[10:11] offset:16
	global_store_dwordx4 v41, v[2:5], s[10:11] offset:32
	;; [unrolled: 1-line block ×3, first 2 shown]
	s_and_saveexec_b64 s[10:11], s[4:5]
	s_cbranch_execz .LBB11_705
; %bb.698:
	v_mov_b32_e32 v6, 0
	global_load_dwordx2 v[13:14], v6, s[44:45] offset:32 glc
	global_load_dwordx2 v[2:3], v6, s[44:45] offset:40
	v_mov_b32_e32 v11, s8
	v_mov_b32_e32 v12, s9
	s_waitcnt vmcnt(0)
	v_readfirstlane_b32 s12, v2
	v_readfirstlane_b32 s13, v3
	s_and_b64 s[12:13], s[12:13], s[8:9]
	s_mul_i32 s13, s13, 24
	s_mul_hi_u32 s14, s12, 24
	s_mul_i32 s12, s12, 24
	s_add_i32 s13, s14, s13
	v_mov_b32_e32 v2, s13
	v_add_co_u32_e32 v4, vcc, s12, v0
	v_addc_co_u32_e32 v5, vcc, v1, v2, vcc
	global_store_dwordx2 v[4:5], v[13:14], off
	s_waitcnt vmcnt(0)
	global_atomic_cmpswap_x2 v[2:3], v6, v[11:14], s[44:45] offset:32 glc
	s_waitcnt vmcnt(0)
	v_cmp_ne_u64_e32 vcc, v[2:3], v[13:14]
	s_and_saveexec_b64 s[12:13], vcc
	s_cbranch_execz .LBB11_701
; %bb.699:
	s_mov_b64 s[14:15], 0
.LBB11_700:                             ; =>This Inner Loop Header: Depth=1
	s_sleep 1
	global_store_dwordx2 v[4:5], v[2:3], off
	v_mov_b32_e32 v0, s8
	v_mov_b32_e32 v1, s9
	s_waitcnt vmcnt(0)
	global_atomic_cmpswap_x2 v[0:1], v6, v[0:3], s[44:45] offset:32 glc
	s_waitcnt vmcnt(0)
	v_cmp_eq_u64_e32 vcc, v[0:1], v[2:3]
	v_mov_b32_e32 v3, v1
	s_or_b64 s[14:15], vcc, s[14:15]
	v_mov_b32_e32 v2, v0
	s_andn2_b64 exec, exec, s[14:15]
	s_cbranch_execnz .LBB11_700
.LBB11_701:
	s_or_b64 exec, exec, s[12:13]
	v_mov_b32_e32 v3, 0
	global_load_dwordx2 v[0:1], v3, s[44:45] offset:16
	s_mov_b64 s[12:13], exec
	v_mbcnt_lo_u32_b32 v2, s12, 0
	v_mbcnt_hi_u32_b32 v2, s13, v2
	v_cmp_eq_u32_e32 vcc, 0, v2
	s_and_saveexec_b64 s[14:15], vcc
	s_cbranch_execz .LBB11_703
; %bb.702:
	s_bcnt1_i32_b64 s12, s[12:13]
	v_mov_b32_e32 v2, s12
	s_waitcnt vmcnt(0)
	global_atomic_add_x2 v[0:1], v[2:3], off offset:8
.LBB11_703:
	s_or_b64 exec, exec, s[14:15]
	s_waitcnt vmcnt(0)
	global_load_dwordx2 v[2:3], v[0:1], off offset:16
	s_waitcnt vmcnt(0)
	v_cmp_eq_u64_e32 vcc, 0, v[2:3]
	s_cbranch_vccnz .LBB11_705
; %bb.704:
	global_load_dword v0, v[0:1], off offset:24
	v_mov_b32_e32 v1, 0
	s_waitcnt vmcnt(0)
	global_store_dwordx2 v[2:3], v[0:1], off
	v_and_b32_e32 v0, 0xffffff, v0
	v_readfirstlane_b32 m0, v0
	s_sendmsg sendmsg(MSG_INTERRUPT)
.LBB11_705:
	s_or_b64 exec, exec, s[10:11]
	s_branch .LBB11_709
.LBB11_706:                             ;   in Loop: Header=BB11_709 Depth=1
	s_or_b64 exec, exec, s[10:11]
	v_readfirstlane_b32 s10, v0
	s_cmp_eq_u32 s10, 0
	s_cbranch_scc1 .LBB11_708
; %bb.707:                              ;   in Loop: Header=BB11_709 Depth=1
	s_sleep 1
	s_cbranch_execnz .LBB11_709
	s_branch .LBB11_711
.LBB11_708:
	s_branch .LBB11_711
.LBB11_709:                             ; =>This Inner Loop Header: Depth=1
	v_mov_b32_e32 v0, 1
	s_and_saveexec_b64 s[10:11], s[4:5]
	s_cbranch_execz .LBB11_706
; %bb.710:                              ;   in Loop: Header=BB11_709 Depth=1
	global_load_dword v0, v[7:8], off offset:20 glc
	s_waitcnt vmcnt(0)
	buffer_wbinvl1_vol
	v_and_b32_e32 v0, 1, v0
	s_branch .LBB11_706
.LBB11_711:
	global_load_dwordx2 v[0:1], v[9:10], off
	s_and_saveexec_b64 s[10:11], s[4:5]
	s_cbranch_execz .LBB11_714
; %bb.712:
	v_mov_b32_e32 v8, 0
	global_load_dwordx2 v[4:5], v8, s[44:45] offset:40
	global_load_dwordx2 v[9:10], v8, s[44:45] offset:24 glc
	global_load_dwordx2 v[6:7], v8, s[44:45]
	v_mov_b32_e32 v3, s9
	s_mov_b64 s[4:5], 0
	s_waitcnt vmcnt(2)
	v_add_co_u32_e32 v11, vcc, 1, v4
	v_addc_co_u32_e32 v12, vcc, 0, v5, vcc
	v_add_co_u32_e32 v2, vcc, s8, v11
	v_addc_co_u32_e32 v3, vcc, v12, v3, vcc
	v_cmp_eq_u64_e32 vcc, 0, v[2:3]
	v_cndmask_b32_e32 v3, v3, v12, vcc
	v_cndmask_b32_e32 v2, v2, v11, vcc
	v_and_b32_e32 v5, v3, v5
	v_and_b32_e32 v4, v2, v4
	v_mul_lo_u32 v5, v5, 24
	v_mul_hi_u32 v11, v4, 24
	v_mul_lo_u32 v12, v4, 24
	s_waitcnt vmcnt(1)
	v_mov_b32_e32 v4, v9
	v_add_u32_e32 v5, v11, v5
	s_waitcnt vmcnt(0)
	v_add_co_u32_e32 v6, vcc, v6, v12
	v_addc_co_u32_e32 v7, vcc, v7, v5, vcc
	global_store_dwordx2 v[6:7], v[9:10], off
	v_mov_b32_e32 v5, v10
	s_waitcnt vmcnt(0)
	global_atomic_cmpswap_x2 v[4:5], v8, v[2:5], s[44:45] offset:24 glc
	s_waitcnt vmcnt(0)
	v_cmp_ne_u64_e32 vcc, v[4:5], v[9:10]
	s_and_b64 exec, exec, vcc
	s_cbranch_execz .LBB11_714
.LBB11_713:                             ; =>This Inner Loop Header: Depth=1
	s_sleep 1
	global_store_dwordx2 v[6:7], v[4:5], off
	s_waitcnt vmcnt(0)
	global_atomic_cmpswap_x2 v[9:10], v8, v[2:5], s[44:45] offset:24 glc
	s_waitcnt vmcnt(0)
	v_cmp_eq_u64_e32 vcc, v[9:10], v[4:5]
	v_mov_b32_e32 v4, v9
	s_or_b64 s[4:5], vcc, s[4:5]
	v_mov_b32_e32 v5, v10
	s_andn2_b64 exec, exec, s[4:5]
	s_cbranch_execnz .LBB11_713
.LBB11_714:
	s_or_b64 exec, exec, s[10:11]
	s_and_b64 vcc, exec, s[46:47]
	s_cbranch_vccz .LBB11_799
; %bb.715:
	s_waitcnt vmcnt(0)
	v_and_b32_e32 v31, 2, v0
	v_mov_b32_e32 v28, 0
	v_and_b32_e32 v2, -3, v0
	v_mov_b32_e32 v3, v1
	s_mov_b64 s[10:11], 3
	v_mov_b32_e32 v6, 2
	v_mov_b32_e32 v7, 1
	s_getpc_b64 s[8:9]
	s_add_u32 s8, s8, .str.8@rel32@lo+4
	s_addc_u32 s9, s9, .str.8@rel32@hi+12
	s_branch .LBB11_717
.LBB11_716:                             ;   in Loop: Header=BB11_717 Depth=1
	s_or_b64 exec, exec, s[16:17]
	s_sub_u32 s10, s10, s12
	s_subb_u32 s11, s11, s13
	s_add_u32 s8, s8, s12
	s_addc_u32 s9, s9, s13
	s_cmp_lg_u64 s[10:11], 0
	s_cbranch_scc0 .LBB11_798
.LBB11_717:                             ; =>This Loop Header: Depth=1
                                        ;     Child Loop BB11_720 Depth 2
                                        ;     Child Loop BB11_727 Depth 2
	;; [unrolled: 1-line block ×11, first 2 shown]
	v_cmp_lt_u64_e64 s[4:5], s[10:11], 56
	v_cmp_gt_u64_e64 s[14:15], s[10:11], 7
	s_and_b64 s[4:5], s[4:5], exec
	s_cselect_b32 s13, s11, 0
	s_cselect_b32 s12, s10, 56
	s_and_b64 vcc, exec, s[14:15]
	s_cbranch_vccnz .LBB11_722
; %bb.718:                              ;   in Loop: Header=BB11_717 Depth=1
	v_mov_b32_e32 v10, 0
	s_cmp_eq_u64 s[10:11], 0
	v_mov_b32_e32 v11, 0
	s_mov_b64 s[4:5], 0
	s_cbranch_scc1 .LBB11_721
; %bb.719:                              ;   in Loop: Header=BB11_717 Depth=1
	v_mov_b32_e32 v10, 0
	s_lshl_b64 s[14:15], s[12:13], 3
	s_mov_b64 s[16:17], 0
	v_mov_b32_e32 v11, 0
	s_mov_b64 s[18:19], s[8:9]
.LBB11_720:                             ;   Parent Loop BB11_717 Depth=1
                                        ; =>  This Inner Loop Header: Depth=2
	global_load_ubyte v4, v28, s[18:19]
	s_waitcnt vmcnt(0)
	v_and_b32_e32 v27, 0xffff, v4
	v_lshlrev_b64 v[4:5], s16, v[27:28]
	s_add_u32 s16, s16, 8
	s_addc_u32 s17, s17, 0
	s_add_u32 s18, s18, 1
	s_addc_u32 s19, s19, 0
	v_or_b32_e32 v10, v4, v10
	s_cmp_lg_u32 s14, s16
	v_or_b32_e32 v11, v5, v11
	s_cbranch_scc1 .LBB11_720
.LBB11_721:                             ;   in Loop: Header=BB11_717 Depth=1
	s_mov_b32 s18, 0
	s_andn2_b64 vcc, exec, s[4:5]
	s_mov_b64 s[4:5], s[8:9]
	s_cbranch_vccz .LBB11_723
	s_branch .LBB11_724
.LBB11_722:                             ;   in Loop: Header=BB11_717 Depth=1
                                        ; implicit-def: $vgpr10_vgpr11
                                        ; implicit-def: $sgpr18
	s_mov_b64 s[4:5], s[8:9]
.LBB11_723:                             ;   in Loop: Header=BB11_717 Depth=1
	global_load_dwordx2 v[10:11], v28, s[8:9]
	s_add_i32 s18, s12, -8
	s_add_u32 s4, s8, 8
	s_addc_u32 s5, s9, 0
.LBB11_724:                             ;   in Loop: Header=BB11_717 Depth=1
	s_cmp_gt_u32 s18, 7
	s_cbranch_scc1 .LBB11_728
; %bb.725:                              ;   in Loop: Header=BB11_717 Depth=1
	s_cmp_eq_u32 s18, 0
	s_cbranch_scc1 .LBB11_729
; %bb.726:                              ;   in Loop: Header=BB11_717 Depth=1
	v_mov_b32_e32 v12, 0
	s_mov_b64 s[14:15], 0
	v_mov_b32_e32 v13, 0
	s_mov_b64 s[16:17], 0
.LBB11_727:                             ;   Parent Loop BB11_717 Depth=1
                                        ; =>  This Inner Loop Header: Depth=2
	s_add_u32 s20, s4, s16
	s_addc_u32 s21, s5, s17
	global_load_ubyte v4, v28, s[20:21]
	s_add_u32 s16, s16, 1
	s_addc_u32 s17, s17, 0
	s_waitcnt vmcnt(0)
	v_and_b32_e32 v27, 0xffff, v4
	v_lshlrev_b64 v[4:5], s14, v[27:28]
	s_add_u32 s14, s14, 8
	s_addc_u32 s15, s15, 0
	v_or_b32_e32 v12, v4, v12
	s_cmp_lg_u32 s18, s16
	v_or_b32_e32 v13, v5, v13
	s_cbranch_scc1 .LBB11_727
	s_branch .LBB11_730
.LBB11_728:                             ;   in Loop: Header=BB11_717 Depth=1
                                        ; implicit-def: $vgpr12_vgpr13
                                        ; implicit-def: $sgpr19
	s_branch .LBB11_731
.LBB11_729:                             ;   in Loop: Header=BB11_717 Depth=1
	v_mov_b32_e32 v12, 0
	v_mov_b32_e32 v13, 0
.LBB11_730:                             ;   in Loop: Header=BB11_717 Depth=1
	s_mov_b32 s19, 0
	s_cbranch_execnz .LBB11_732
.LBB11_731:                             ;   in Loop: Header=BB11_717 Depth=1
	global_load_dwordx2 v[12:13], v28, s[4:5]
	s_add_i32 s19, s18, -8
	s_add_u32 s4, s4, 8
	s_addc_u32 s5, s5, 0
.LBB11_732:                             ;   in Loop: Header=BB11_717 Depth=1
	s_cmp_gt_u32 s19, 7
	s_cbranch_scc1 .LBB11_736
; %bb.733:                              ;   in Loop: Header=BB11_717 Depth=1
	s_cmp_eq_u32 s19, 0
	s_cbranch_scc1 .LBB11_737
; %bb.734:                              ;   in Loop: Header=BB11_717 Depth=1
	v_mov_b32_e32 v14, 0
	s_mov_b64 s[14:15], 0
	v_mov_b32_e32 v15, 0
	s_mov_b64 s[16:17], 0
.LBB11_735:                             ;   Parent Loop BB11_717 Depth=1
                                        ; =>  This Inner Loop Header: Depth=2
	s_add_u32 s20, s4, s16
	s_addc_u32 s21, s5, s17
	global_load_ubyte v4, v28, s[20:21]
	s_add_u32 s16, s16, 1
	s_addc_u32 s17, s17, 0
	s_waitcnt vmcnt(0)
	v_and_b32_e32 v27, 0xffff, v4
	v_lshlrev_b64 v[4:5], s14, v[27:28]
	s_add_u32 s14, s14, 8
	s_addc_u32 s15, s15, 0
	v_or_b32_e32 v14, v4, v14
	s_cmp_lg_u32 s19, s16
	v_or_b32_e32 v15, v5, v15
	s_cbranch_scc1 .LBB11_735
	s_branch .LBB11_738
.LBB11_736:                             ;   in Loop: Header=BB11_717 Depth=1
                                        ; implicit-def: $sgpr18
	s_branch .LBB11_739
.LBB11_737:                             ;   in Loop: Header=BB11_717 Depth=1
	v_mov_b32_e32 v14, 0
	v_mov_b32_e32 v15, 0
.LBB11_738:                             ;   in Loop: Header=BB11_717 Depth=1
	s_mov_b32 s18, 0
	s_cbranch_execnz .LBB11_740
.LBB11_739:                             ;   in Loop: Header=BB11_717 Depth=1
	global_load_dwordx2 v[14:15], v28, s[4:5]
	s_add_i32 s18, s19, -8
	s_add_u32 s4, s4, 8
	s_addc_u32 s5, s5, 0
.LBB11_740:                             ;   in Loop: Header=BB11_717 Depth=1
	s_cmp_gt_u32 s18, 7
	s_cbranch_scc1 .LBB11_744
; %bb.741:                              ;   in Loop: Header=BB11_717 Depth=1
	s_cmp_eq_u32 s18, 0
	s_cbranch_scc1 .LBB11_745
; %bb.742:                              ;   in Loop: Header=BB11_717 Depth=1
	v_mov_b32_e32 v16, 0
	s_mov_b64 s[14:15], 0
	v_mov_b32_e32 v17, 0
	s_mov_b64 s[16:17], 0
.LBB11_743:                             ;   Parent Loop BB11_717 Depth=1
                                        ; =>  This Inner Loop Header: Depth=2
	s_add_u32 s20, s4, s16
	s_addc_u32 s21, s5, s17
	global_load_ubyte v4, v28, s[20:21]
	s_add_u32 s16, s16, 1
	s_addc_u32 s17, s17, 0
	s_waitcnt vmcnt(0)
	v_and_b32_e32 v27, 0xffff, v4
	v_lshlrev_b64 v[4:5], s14, v[27:28]
	s_add_u32 s14, s14, 8
	s_addc_u32 s15, s15, 0
	v_or_b32_e32 v16, v4, v16
	s_cmp_lg_u32 s18, s16
	v_or_b32_e32 v17, v5, v17
	s_cbranch_scc1 .LBB11_743
	s_branch .LBB11_746
.LBB11_744:                             ;   in Loop: Header=BB11_717 Depth=1
                                        ; implicit-def: $vgpr16_vgpr17
                                        ; implicit-def: $sgpr19
	s_branch .LBB11_747
.LBB11_745:                             ;   in Loop: Header=BB11_717 Depth=1
	v_mov_b32_e32 v16, 0
	v_mov_b32_e32 v17, 0
.LBB11_746:                             ;   in Loop: Header=BB11_717 Depth=1
	s_mov_b32 s19, 0
	s_cbranch_execnz .LBB11_748
.LBB11_747:                             ;   in Loop: Header=BB11_717 Depth=1
	global_load_dwordx2 v[16:17], v28, s[4:5]
	s_add_i32 s19, s18, -8
	s_add_u32 s4, s4, 8
	s_addc_u32 s5, s5, 0
.LBB11_748:                             ;   in Loop: Header=BB11_717 Depth=1
	s_cmp_gt_u32 s19, 7
	s_cbranch_scc1 .LBB11_752
; %bb.749:                              ;   in Loop: Header=BB11_717 Depth=1
	s_cmp_eq_u32 s19, 0
	s_cbranch_scc1 .LBB11_753
; %bb.750:                              ;   in Loop: Header=BB11_717 Depth=1
	v_mov_b32_e32 v18, 0
	s_mov_b64 s[14:15], 0
	v_mov_b32_e32 v19, 0
	s_mov_b64 s[16:17], 0
.LBB11_751:                             ;   Parent Loop BB11_717 Depth=1
                                        ; =>  This Inner Loop Header: Depth=2
	s_add_u32 s20, s4, s16
	s_addc_u32 s21, s5, s17
	global_load_ubyte v4, v28, s[20:21]
	s_add_u32 s16, s16, 1
	s_addc_u32 s17, s17, 0
	s_waitcnt vmcnt(0)
	v_and_b32_e32 v27, 0xffff, v4
	v_lshlrev_b64 v[4:5], s14, v[27:28]
	s_add_u32 s14, s14, 8
	s_addc_u32 s15, s15, 0
	v_or_b32_e32 v18, v4, v18
	s_cmp_lg_u32 s19, s16
	v_or_b32_e32 v19, v5, v19
	s_cbranch_scc1 .LBB11_751
	s_branch .LBB11_754
.LBB11_752:                             ;   in Loop: Header=BB11_717 Depth=1
                                        ; implicit-def: $sgpr18
	s_branch .LBB11_755
.LBB11_753:                             ;   in Loop: Header=BB11_717 Depth=1
	v_mov_b32_e32 v18, 0
	v_mov_b32_e32 v19, 0
.LBB11_754:                             ;   in Loop: Header=BB11_717 Depth=1
	s_mov_b32 s18, 0
	s_cbranch_execnz .LBB11_756
.LBB11_755:                             ;   in Loop: Header=BB11_717 Depth=1
	global_load_dwordx2 v[18:19], v28, s[4:5]
	s_add_i32 s18, s19, -8
	s_add_u32 s4, s4, 8
	s_addc_u32 s5, s5, 0
.LBB11_756:                             ;   in Loop: Header=BB11_717 Depth=1
	s_cmp_gt_u32 s18, 7
	s_cbranch_scc1 .LBB11_760
; %bb.757:                              ;   in Loop: Header=BB11_717 Depth=1
	s_cmp_eq_u32 s18, 0
	s_cbranch_scc1 .LBB11_761
; %bb.758:                              ;   in Loop: Header=BB11_717 Depth=1
	v_mov_b32_e32 v20, 0
	s_mov_b64 s[14:15], 0
	v_mov_b32_e32 v21, 0
	s_mov_b64 s[16:17], 0
.LBB11_759:                             ;   Parent Loop BB11_717 Depth=1
                                        ; =>  This Inner Loop Header: Depth=2
	s_add_u32 s20, s4, s16
	s_addc_u32 s21, s5, s17
	global_load_ubyte v4, v28, s[20:21]
	s_add_u32 s16, s16, 1
	s_addc_u32 s17, s17, 0
	s_waitcnt vmcnt(0)
	v_and_b32_e32 v27, 0xffff, v4
	v_lshlrev_b64 v[4:5], s14, v[27:28]
	s_add_u32 s14, s14, 8
	s_addc_u32 s15, s15, 0
	v_or_b32_e32 v20, v4, v20
	s_cmp_lg_u32 s18, s16
	v_or_b32_e32 v21, v5, v21
	s_cbranch_scc1 .LBB11_759
	s_branch .LBB11_762
.LBB11_760:                             ;   in Loop: Header=BB11_717 Depth=1
                                        ; implicit-def: $vgpr20_vgpr21
                                        ; implicit-def: $sgpr19
	s_branch .LBB11_763
.LBB11_761:                             ;   in Loop: Header=BB11_717 Depth=1
	v_mov_b32_e32 v20, 0
	v_mov_b32_e32 v21, 0
.LBB11_762:                             ;   in Loop: Header=BB11_717 Depth=1
	s_mov_b32 s19, 0
	s_cbranch_execnz .LBB11_764
.LBB11_763:                             ;   in Loop: Header=BB11_717 Depth=1
	global_load_dwordx2 v[20:21], v28, s[4:5]
	s_add_i32 s19, s18, -8
	s_add_u32 s4, s4, 8
	s_addc_u32 s5, s5, 0
.LBB11_764:                             ;   in Loop: Header=BB11_717 Depth=1
	s_cmp_gt_u32 s19, 7
	s_cbranch_scc1 .LBB11_768
; %bb.765:                              ;   in Loop: Header=BB11_717 Depth=1
	s_cmp_eq_u32 s19, 0
	s_cbranch_scc1 .LBB11_769
; %bb.766:                              ;   in Loop: Header=BB11_717 Depth=1
	v_mov_b32_e32 v22, 0
	s_mov_b64 s[14:15], 0
	v_mov_b32_e32 v23, 0
	s_mov_b64 s[16:17], s[4:5]
.LBB11_767:                             ;   Parent Loop BB11_717 Depth=1
                                        ; =>  This Inner Loop Header: Depth=2
	global_load_ubyte v4, v28, s[16:17]
	s_add_i32 s19, s19, -1
	s_waitcnt vmcnt(0)
	v_and_b32_e32 v27, 0xffff, v4
	v_lshlrev_b64 v[4:5], s14, v[27:28]
	s_add_u32 s14, s14, 8
	s_addc_u32 s15, s15, 0
	s_add_u32 s16, s16, 1
	s_addc_u32 s17, s17, 0
	v_or_b32_e32 v22, v4, v22
	s_cmp_lg_u32 s19, 0
	v_or_b32_e32 v23, v5, v23
	s_cbranch_scc1 .LBB11_767
	s_branch .LBB11_770
.LBB11_768:                             ;   in Loop: Header=BB11_717 Depth=1
	s_branch .LBB11_771
.LBB11_769:                             ;   in Loop: Header=BB11_717 Depth=1
	v_mov_b32_e32 v22, 0
	v_mov_b32_e32 v23, 0
.LBB11_770:                             ;   in Loop: Header=BB11_717 Depth=1
	s_cbranch_execnz .LBB11_772
.LBB11_771:                             ;   in Loop: Header=BB11_717 Depth=1
	global_load_dwordx2 v[22:23], v28, s[4:5]
.LBB11_772:                             ;   in Loop: Header=BB11_717 Depth=1
	v_readfirstlane_b32 s4, v42
	s_waitcnt vmcnt(0)
	v_mov_b32_e32 v4, 0
	v_mov_b32_e32 v5, 0
	v_cmp_eq_u32_e64 s[4:5], s4, v42
	s_and_saveexec_b64 s[14:15], s[4:5]
	s_cbranch_execz .LBB11_778
; %bb.773:                              ;   in Loop: Header=BB11_717 Depth=1
	global_load_dwordx2 v[26:27], v28, s[44:45] offset:24 glc
	s_waitcnt vmcnt(0)
	buffer_wbinvl1_vol
	global_load_dwordx2 v[4:5], v28, s[44:45] offset:40
	global_load_dwordx2 v[8:9], v28, s[44:45]
	s_waitcnt vmcnt(1)
	v_and_b32_e32 v4, v4, v26
	v_and_b32_e32 v5, v5, v27
	v_mul_lo_u32 v5, v5, 24
	v_mul_hi_u32 v24, v4, 24
	v_mul_lo_u32 v4, v4, 24
	v_add_u32_e32 v5, v24, v5
	s_waitcnt vmcnt(0)
	v_add_co_u32_e32 v4, vcc, v8, v4
	v_addc_co_u32_e32 v5, vcc, v9, v5, vcc
	global_load_dwordx2 v[24:25], v[4:5], off glc
	s_waitcnt vmcnt(0)
	global_atomic_cmpswap_x2 v[4:5], v28, v[24:27], s[44:45] offset:24 glc
	s_waitcnt vmcnt(0)
	buffer_wbinvl1_vol
	v_cmp_ne_u64_e32 vcc, v[4:5], v[26:27]
	s_and_saveexec_b64 s[16:17], vcc
	s_cbranch_execz .LBB11_777
; %bb.774:                              ;   in Loop: Header=BB11_717 Depth=1
	s_mov_b64 s[18:19], 0
.LBB11_775:                             ;   Parent Loop BB11_717 Depth=1
                                        ; =>  This Inner Loop Header: Depth=2
	s_sleep 1
	global_load_dwordx2 v[8:9], v28, s[44:45] offset:40
	global_load_dwordx2 v[24:25], v28, s[44:45]
	v_mov_b32_e32 v27, v5
	v_mov_b32_e32 v26, v4
	s_waitcnt vmcnt(1)
	v_and_b32_e32 v4, v8, v26
	s_waitcnt vmcnt(0)
	v_mad_u64_u32 v[4:5], s[20:21], v4, 24, v[24:25]
	v_and_b32_e32 v8, v9, v27
	v_mad_u64_u32 v[8:9], s[20:21], v8, 24, v[5:6]
	v_mov_b32_e32 v5, v8
	global_load_dwordx2 v[24:25], v[4:5], off glc
	s_waitcnt vmcnt(0)
	global_atomic_cmpswap_x2 v[4:5], v28, v[24:27], s[44:45] offset:24 glc
	s_waitcnt vmcnt(0)
	buffer_wbinvl1_vol
	v_cmp_eq_u64_e32 vcc, v[4:5], v[26:27]
	s_or_b64 s[18:19], vcc, s[18:19]
	s_andn2_b64 exec, exec, s[18:19]
	s_cbranch_execnz .LBB11_775
; %bb.776:                              ;   in Loop: Header=BB11_717 Depth=1
	s_or_b64 exec, exec, s[18:19]
.LBB11_777:                             ;   in Loop: Header=BB11_717 Depth=1
	s_or_b64 exec, exec, s[16:17]
.LBB11_778:                             ;   in Loop: Header=BB11_717 Depth=1
	s_or_b64 exec, exec, s[14:15]
	global_load_dwordx2 v[8:9], v28, s[44:45] offset:40
	global_load_dwordx4 v[24:27], v28, s[44:45]
	v_readfirstlane_b32 s14, v4
	v_readfirstlane_b32 s15, v5
	s_mov_b64 s[18:19], exec
	s_waitcnt vmcnt(1)
	v_readfirstlane_b32 s16, v8
	v_readfirstlane_b32 s17, v9
	s_and_b64 s[16:17], s[14:15], s[16:17]
	s_mul_i32 s20, s17, 24
	s_mul_hi_u32 s21, s16, 24
	s_mul_i32 s22, s16, 24
	s_add_i32 s20, s21, s20
	v_mov_b32_e32 v4, s20
	s_waitcnt vmcnt(0)
	v_add_co_u32_e32 v29, vcc, s22, v24
	v_addc_co_u32_e32 v30, vcc, v25, v4, vcc
	s_and_saveexec_b64 s[20:21], s[4:5]
	s_cbranch_execz .LBB11_780
; %bb.779:                              ;   in Loop: Header=BB11_717 Depth=1
	v_mov_b32_e32 v4, s18
	v_mov_b32_e32 v5, s19
	global_store_dwordx4 v[29:30], v[4:7], off offset:8
.LBB11_780:                             ;   in Loop: Header=BB11_717 Depth=1
	s_or_b64 exec, exec, s[20:21]
	v_cmp_gt_u64_e64 vcc, s[10:11], 56
	v_or_b32_e32 v4, 0, v3
	v_cndmask_b32_e32 v9, v4, v3, vcc
	v_or_b32_e32 v3, v2, v31
	s_lshl_b32 s18, s12, 2
	v_cndmask_b32_e32 v2, v3, v2, vcc
	s_add_i32 s18, s18, 28
	s_and_b32 s18, s18, 0x1e0
	v_and_b32_e32 v2, 0xffffff1f, v2
	s_lshl_b64 s[16:17], s[16:17], 12
	v_or_b32_e32 v8, s18, v2
	v_mov_b32_e32 v2, s17
	v_add_co_u32_e32 v26, vcc, s16, v26
	v_addc_co_u32_e32 v32, vcc, v27, v2, vcc
	v_readfirstlane_b32 s16, v26
	v_readfirstlane_b32 s17, v32
	s_nop 4
	global_store_dwordx4 v41, v[8:11], s[16:17]
	global_store_dwordx4 v41, v[12:15], s[16:17] offset:16
	global_store_dwordx4 v41, v[16:19], s[16:17] offset:32
	;; [unrolled: 1-line block ×3, first 2 shown]
	s_and_saveexec_b64 s[16:17], s[4:5]
	s_cbranch_execz .LBB11_788
; %bb.781:                              ;   in Loop: Header=BB11_717 Depth=1
	global_load_dwordx2 v[12:13], v28, s[44:45] offset:32 glc
	global_load_dwordx2 v[2:3], v28, s[44:45] offset:40
	v_mov_b32_e32 v10, s14
	v_mov_b32_e32 v11, s15
	s_waitcnt vmcnt(0)
	v_readfirstlane_b32 s18, v2
	v_readfirstlane_b32 s19, v3
	s_and_b64 s[18:19], s[18:19], s[14:15]
	s_mul_i32 s19, s19, 24
	s_mul_hi_u32 s20, s18, 24
	s_mul_i32 s18, s18, 24
	s_add_i32 s19, s20, s19
	v_mov_b32_e32 v2, s19
	v_add_co_u32_e32 v8, vcc, s18, v24
	v_addc_co_u32_e32 v9, vcc, v25, v2, vcc
	global_store_dwordx2 v[8:9], v[12:13], off
	s_waitcnt vmcnt(0)
	global_atomic_cmpswap_x2 v[4:5], v28, v[10:13], s[44:45] offset:32 glc
	s_waitcnt vmcnt(0)
	v_cmp_ne_u64_e32 vcc, v[4:5], v[12:13]
	s_and_saveexec_b64 s[18:19], vcc
	s_cbranch_execz .LBB11_784
; %bb.782:                              ;   in Loop: Header=BB11_717 Depth=1
	s_mov_b64 s[20:21], 0
.LBB11_783:                             ;   Parent Loop BB11_717 Depth=1
                                        ; =>  This Inner Loop Header: Depth=2
	s_sleep 1
	global_store_dwordx2 v[8:9], v[4:5], off
	v_mov_b32_e32 v2, s14
	v_mov_b32_e32 v3, s15
	s_waitcnt vmcnt(0)
	global_atomic_cmpswap_x2 v[2:3], v28, v[2:5], s[44:45] offset:32 glc
	s_waitcnt vmcnt(0)
	v_cmp_eq_u64_e32 vcc, v[2:3], v[4:5]
	v_mov_b32_e32 v5, v3
	s_or_b64 s[20:21], vcc, s[20:21]
	v_mov_b32_e32 v4, v2
	s_andn2_b64 exec, exec, s[20:21]
	s_cbranch_execnz .LBB11_783
.LBB11_784:                             ;   in Loop: Header=BB11_717 Depth=1
	s_or_b64 exec, exec, s[18:19]
	global_load_dwordx2 v[2:3], v28, s[44:45] offset:16
	s_mov_b64 s[20:21], exec
	v_mbcnt_lo_u32_b32 v4, s20, 0
	v_mbcnt_hi_u32_b32 v4, s21, v4
	v_cmp_eq_u32_e32 vcc, 0, v4
	s_and_saveexec_b64 s[18:19], vcc
	s_cbranch_execz .LBB11_786
; %bb.785:                              ;   in Loop: Header=BB11_717 Depth=1
	s_bcnt1_i32_b64 s20, s[20:21]
	v_mov_b32_e32 v27, s20
	s_waitcnt vmcnt(0)
	global_atomic_add_x2 v[2:3], v[27:28], off offset:8
.LBB11_786:                             ;   in Loop: Header=BB11_717 Depth=1
	s_or_b64 exec, exec, s[18:19]
	s_waitcnt vmcnt(0)
	global_load_dwordx2 v[4:5], v[2:3], off offset:16
	s_waitcnt vmcnt(0)
	v_cmp_eq_u64_e32 vcc, 0, v[4:5]
	s_cbranch_vccnz .LBB11_788
; %bb.787:                              ;   in Loop: Header=BB11_717 Depth=1
	global_load_dword v27, v[2:3], off offset:24
	s_waitcnt vmcnt(0)
	v_and_b32_e32 v2, 0xffffff, v27
	v_readfirstlane_b32 m0, v2
	global_store_dwordx2 v[4:5], v[27:28], off
	s_sendmsg sendmsg(MSG_INTERRUPT)
.LBB11_788:                             ;   in Loop: Header=BB11_717 Depth=1
	s_or_b64 exec, exec, s[16:17]
	v_add_co_u32_e32 v2, vcc, v26, v41
	v_addc_co_u32_e32 v3, vcc, 0, v32, vcc
	s_branch .LBB11_792
.LBB11_789:                             ;   in Loop: Header=BB11_792 Depth=2
	s_or_b64 exec, exec, s[16:17]
	v_readfirstlane_b32 s16, v4
	s_cmp_eq_u32 s16, 0
	s_cbranch_scc1 .LBB11_791
; %bb.790:                              ;   in Loop: Header=BB11_792 Depth=2
	s_sleep 1
	s_cbranch_execnz .LBB11_792
	s_branch .LBB11_794
.LBB11_791:                             ;   in Loop: Header=BB11_717 Depth=1
	s_branch .LBB11_794
.LBB11_792:                             ;   Parent Loop BB11_717 Depth=1
                                        ; =>  This Inner Loop Header: Depth=2
	v_mov_b32_e32 v4, 1
	s_and_saveexec_b64 s[16:17], s[4:5]
	s_cbranch_execz .LBB11_789
; %bb.793:                              ;   in Loop: Header=BB11_792 Depth=2
	global_load_dword v4, v[29:30], off offset:20 glc
	s_waitcnt vmcnt(0)
	buffer_wbinvl1_vol
	v_and_b32_e32 v4, 1, v4
	s_branch .LBB11_789
.LBB11_794:                             ;   in Loop: Header=BB11_717 Depth=1
	global_load_dwordx4 v[2:5], v[2:3], off
	s_and_saveexec_b64 s[16:17], s[4:5]
	s_cbranch_execz .LBB11_716
; %bb.795:                              ;   in Loop: Header=BB11_717 Depth=1
	global_load_dwordx2 v[4:5], v28, s[44:45] offset:40
	global_load_dwordx2 v[12:13], v28, s[44:45] offset:24 glc
	global_load_dwordx2 v[14:15], v28, s[44:45]
	v_mov_b32_e32 v9, s15
	s_waitcnt vmcnt(2)
	v_add_co_u32_e32 v10, vcc, 1, v4
	v_addc_co_u32_e32 v11, vcc, 0, v5, vcc
	v_add_co_u32_e32 v8, vcc, s14, v10
	v_addc_co_u32_e32 v9, vcc, v11, v9, vcc
	v_cmp_eq_u64_e32 vcc, 0, v[8:9]
	v_cndmask_b32_e32 v9, v9, v11, vcc
	v_cndmask_b32_e32 v8, v8, v10, vcc
	v_and_b32_e32 v5, v9, v5
	v_and_b32_e32 v4, v8, v4
	v_mul_lo_u32 v5, v5, 24
	v_mul_hi_u32 v11, v4, 24
	v_mul_lo_u32 v4, v4, 24
	s_waitcnt vmcnt(1)
	v_mov_b32_e32 v10, v12
	v_add_u32_e32 v5, v11, v5
	s_waitcnt vmcnt(0)
	v_add_co_u32_e32 v4, vcc, v14, v4
	v_addc_co_u32_e32 v5, vcc, v15, v5, vcc
	global_store_dwordx2 v[4:5], v[12:13], off
	v_mov_b32_e32 v11, v13
	s_waitcnt vmcnt(0)
	global_atomic_cmpswap_x2 v[10:11], v28, v[8:11], s[44:45] offset:24 glc
	s_waitcnt vmcnt(0)
	v_cmp_ne_u64_e32 vcc, v[10:11], v[12:13]
	s_and_b64 exec, exec, vcc
	s_cbranch_execz .LBB11_716
; %bb.796:                              ;   in Loop: Header=BB11_717 Depth=1
	s_mov_b64 s[4:5], 0
.LBB11_797:                             ;   Parent Loop BB11_717 Depth=1
                                        ; =>  This Inner Loop Header: Depth=2
	s_sleep 1
	global_store_dwordx2 v[4:5], v[10:11], off
	s_waitcnt vmcnt(0)
	global_atomic_cmpswap_x2 v[12:13], v28, v[8:11], s[44:45] offset:24 glc
	s_waitcnt vmcnt(0)
	v_cmp_eq_u64_e32 vcc, v[12:13], v[10:11]
	v_mov_b32_e32 v10, v12
	s_or_b64 s[4:5], vcc, s[4:5]
	v_mov_b32_e32 v11, v13
	s_andn2_b64 exec, exec, s[4:5]
	s_cbranch_execnz .LBB11_797
	s_branch .LBB11_716
.LBB11_798:
	s_mov_b64 s[4:5], 0
	s_branch .LBB11_800
.LBB11_799:
	s_mov_b64 s[4:5], -1
                                        ; implicit-def: $vgpr2_vgpr3
.LBB11_800:
	s_and_b64 vcc, exec, s[4:5]
	s_cbranch_vccz .LBB11_827
; %bb.801:
	v_readfirstlane_b32 s4, v42
	v_mov_b32_e32 v8, 0
	v_mov_b32_e32 v9, 0
	v_cmp_eq_u32_e64 s[4:5], s4, v42
	s_and_saveexec_b64 s[8:9], s[4:5]
	s_cbranch_execz .LBB11_807
; %bb.802:
	s_waitcnt vmcnt(0)
	v_mov_b32_e32 v2, 0
	global_load_dwordx2 v[5:6], v2, s[44:45] offset:24 glc
	s_waitcnt vmcnt(0)
	buffer_wbinvl1_vol
	global_load_dwordx2 v[3:4], v2, s[44:45] offset:40
	global_load_dwordx2 v[7:8], v2, s[44:45]
	s_waitcnt vmcnt(1)
	v_and_b32_e32 v3, v3, v5
	v_and_b32_e32 v4, v4, v6
	v_mul_lo_u32 v4, v4, 24
	v_mul_hi_u32 v9, v3, 24
	v_mul_lo_u32 v3, v3, 24
	v_add_u32_e32 v4, v9, v4
	s_waitcnt vmcnt(0)
	v_add_co_u32_e32 v3, vcc, v7, v3
	v_addc_co_u32_e32 v4, vcc, v8, v4, vcc
	global_load_dwordx2 v[3:4], v[3:4], off glc
	s_waitcnt vmcnt(0)
	global_atomic_cmpswap_x2 v[8:9], v2, v[3:6], s[44:45] offset:24 glc
	s_waitcnt vmcnt(0)
	buffer_wbinvl1_vol
	v_cmp_ne_u64_e32 vcc, v[8:9], v[5:6]
	s_and_saveexec_b64 s[10:11], vcc
	s_cbranch_execz .LBB11_806
; %bb.803:
	s_mov_b64 s[12:13], 0
.LBB11_804:                             ; =>This Inner Loop Header: Depth=1
	s_sleep 1
	global_load_dwordx2 v[3:4], v2, s[44:45] offset:40
	global_load_dwordx2 v[10:11], v2, s[44:45]
	v_mov_b32_e32 v5, v8
	v_mov_b32_e32 v6, v9
	s_waitcnt vmcnt(1)
	v_and_b32_e32 v3, v3, v5
	s_waitcnt vmcnt(0)
	v_mad_u64_u32 v[7:8], s[14:15], v3, 24, v[10:11]
	v_and_b32_e32 v4, v4, v6
	v_mov_b32_e32 v3, v8
	v_mad_u64_u32 v[3:4], s[14:15], v4, 24, v[3:4]
	v_mov_b32_e32 v8, v3
	global_load_dwordx2 v[3:4], v[7:8], off glc
	s_waitcnt vmcnt(0)
	global_atomic_cmpswap_x2 v[8:9], v2, v[3:6], s[44:45] offset:24 glc
	s_waitcnt vmcnt(0)
	buffer_wbinvl1_vol
	v_cmp_eq_u64_e32 vcc, v[8:9], v[5:6]
	s_or_b64 s[12:13], vcc, s[12:13]
	s_andn2_b64 exec, exec, s[12:13]
	s_cbranch_execnz .LBB11_804
; %bb.805:
	s_or_b64 exec, exec, s[12:13]
.LBB11_806:
	s_or_b64 exec, exec, s[10:11]
.LBB11_807:
	s_or_b64 exec, exec, s[8:9]
	s_waitcnt vmcnt(0)
	v_mov_b32_e32 v2, 0
	global_load_dwordx2 v[10:11], v2, s[44:45] offset:40
	global_load_dwordx4 v[4:7], v2, s[44:45]
	v_readfirstlane_b32 s8, v8
	v_readfirstlane_b32 s9, v9
	s_mov_b64 s[10:11], exec
	s_waitcnt vmcnt(1)
	v_readfirstlane_b32 s12, v10
	v_readfirstlane_b32 s13, v11
	s_and_b64 s[12:13], s[8:9], s[12:13]
	s_mul_i32 s14, s13, 24
	s_mul_hi_u32 s15, s12, 24
	s_mul_i32 s16, s12, 24
	s_add_i32 s14, s15, s14
	v_mov_b32_e32 v3, s14
	s_waitcnt vmcnt(0)
	v_add_co_u32_e32 v8, vcc, s16, v4
	v_addc_co_u32_e32 v9, vcc, v5, v3, vcc
	s_and_saveexec_b64 s[14:15], s[4:5]
	s_cbranch_execz .LBB11_809
; %bb.808:
	v_mov_b32_e32 v10, s10
	v_mov_b32_e32 v11, s11
	;; [unrolled: 1-line block ×4, first 2 shown]
	global_store_dwordx4 v[8:9], v[10:13], off offset:8
.LBB11_809:
	s_or_b64 exec, exec, s[14:15]
	s_lshl_b64 s[10:11], s[12:13], 12
	v_mov_b32_e32 v3, s11
	v_add_co_u32_e32 v10, vcc, s10, v6
	v_addc_co_u32_e32 v11, vcc, v7, v3, vcc
	s_movk_i32 s10, 0xff1f
	v_and_or_b32 v0, v0, s10, 32
	s_mov_b32 s12, 0
	v_mov_b32_e32 v3, v2
	v_readfirstlane_b32 s10, v10
	v_readfirstlane_b32 s11, v11
	v_add_co_u32_e32 v6, vcc, v10, v41
	s_mov_b32 s13, s12
	s_mov_b32 s14, s12
	;; [unrolled: 1-line block ×3, first 2 shown]
	s_nop 0
	global_store_dwordx4 v41, v[0:3], s[10:11]
	v_addc_co_u32_e32 v7, vcc, 0, v11, vcc
	v_mov_b32_e32 v0, s12
	v_mov_b32_e32 v1, s13
	v_mov_b32_e32 v2, s14
	v_mov_b32_e32 v3, s15
	global_store_dwordx4 v41, v[0:3], s[10:11] offset:16
	global_store_dwordx4 v41, v[0:3], s[10:11] offset:32
	;; [unrolled: 1-line block ×3, first 2 shown]
	s_and_saveexec_b64 s[10:11], s[4:5]
	s_cbranch_execz .LBB11_817
; %bb.810:
	v_mov_b32_e32 v10, 0
	global_load_dwordx2 v[13:14], v10, s[44:45] offset:32 glc
	global_load_dwordx2 v[0:1], v10, s[44:45] offset:40
	v_mov_b32_e32 v11, s8
	v_mov_b32_e32 v12, s9
	s_waitcnt vmcnt(0)
	v_readfirstlane_b32 s12, v0
	v_readfirstlane_b32 s13, v1
	s_and_b64 s[12:13], s[12:13], s[8:9]
	s_mul_i32 s13, s13, 24
	s_mul_hi_u32 s14, s12, 24
	s_mul_i32 s12, s12, 24
	s_add_i32 s13, s14, s13
	v_mov_b32_e32 v0, s13
	v_add_co_u32_e32 v4, vcc, s12, v4
	v_addc_co_u32_e32 v5, vcc, v5, v0, vcc
	global_store_dwordx2 v[4:5], v[13:14], off
	s_waitcnt vmcnt(0)
	global_atomic_cmpswap_x2 v[2:3], v10, v[11:14], s[44:45] offset:32 glc
	s_waitcnt vmcnt(0)
	v_cmp_ne_u64_e32 vcc, v[2:3], v[13:14]
	s_and_saveexec_b64 s[12:13], vcc
	s_cbranch_execz .LBB11_813
; %bb.811:
	s_mov_b64 s[14:15], 0
.LBB11_812:                             ; =>This Inner Loop Header: Depth=1
	s_sleep 1
	global_store_dwordx2 v[4:5], v[2:3], off
	v_mov_b32_e32 v0, s8
	v_mov_b32_e32 v1, s9
	s_waitcnt vmcnt(0)
	global_atomic_cmpswap_x2 v[0:1], v10, v[0:3], s[44:45] offset:32 glc
	s_waitcnt vmcnt(0)
	v_cmp_eq_u64_e32 vcc, v[0:1], v[2:3]
	v_mov_b32_e32 v3, v1
	s_or_b64 s[14:15], vcc, s[14:15]
	v_mov_b32_e32 v2, v0
	s_andn2_b64 exec, exec, s[14:15]
	s_cbranch_execnz .LBB11_812
.LBB11_813:
	s_or_b64 exec, exec, s[12:13]
	v_mov_b32_e32 v3, 0
	global_load_dwordx2 v[0:1], v3, s[44:45] offset:16
	s_mov_b64 s[12:13], exec
	v_mbcnt_lo_u32_b32 v2, s12, 0
	v_mbcnt_hi_u32_b32 v2, s13, v2
	v_cmp_eq_u32_e32 vcc, 0, v2
	s_and_saveexec_b64 s[14:15], vcc
	s_cbranch_execz .LBB11_815
; %bb.814:
	s_bcnt1_i32_b64 s12, s[12:13]
	v_mov_b32_e32 v2, s12
	s_waitcnt vmcnt(0)
	global_atomic_add_x2 v[0:1], v[2:3], off offset:8
.LBB11_815:
	s_or_b64 exec, exec, s[14:15]
	s_waitcnt vmcnt(0)
	global_load_dwordx2 v[2:3], v[0:1], off offset:16
	s_waitcnt vmcnt(0)
	v_cmp_eq_u64_e32 vcc, 0, v[2:3]
	s_cbranch_vccnz .LBB11_817
; %bb.816:
	global_load_dword v0, v[0:1], off offset:24
	v_mov_b32_e32 v1, 0
	s_waitcnt vmcnt(0)
	global_store_dwordx2 v[2:3], v[0:1], off
	v_and_b32_e32 v0, 0xffffff, v0
	v_readfirstlane_b32 m0, v0
	s_sendmsg sendmsg(MSG_INTERRUPT)
.LBB11_817:
	s_or_b64 exec, exec, s[10:11]
	s_branch .LBB11_821
.LBB11_818:                             ;   in Loop: Header=BB11_821 Depth=1
	s_or_b64 exec, exec, s[10:11]
	v_readfirstlane_b32 s10, v0
	s_cmp_eq_u32 s10, 0
	s_cbranch_scc1 .LBB11_820
; %bb.819:                              ;   in Loop: Header=BB11_821 Depth=1
	s_sleep 1
	s_cbranch_execnz .LBB11_821
	s_branch .LBB11_823
.LBB11_820:
	s_branch .LBB11_823
.LBB11_821:                             ; =>This Inner Loop Header: Depth=1
	v_mov_b32_e32 v0, 1
	s_and_saveexec_b64 s[10:11], s[4:5]
	s_cbranch_execz .LBB11_818
; %bb.822:                              ;   in Loop: Header=BB11_821 Depth=1
	global_load_dword v0, v[8:9], off offset:20 glc
	s_waitcnt vmcnt(0)
	buffer_wbinvl1_vol
	v_and_b32_e32 v0, 1, v0
	s_branch .LBB11_818
.LBB11_823:
	global_load_dwordx2 v[2:3], v[6:7], off
	s_and_saveexec_b64 s[10:11], s[4:5]
	s_cbranch_execz .LBB11_826
; %bb.824:
	v_mov_b32_e32 v8, 0
	global_load_dwordx2 v[0:1], v8, s[44:45] offset:40
	global_load_dwordx2 v[9:10], v8, s[44:45] offset:24 glc
	global_load_dwordx2 v[11:12], v8, s[44:45]
	v_mov_b32_e32 v5, s9
	s_mov_b64 s[4:5], 0
	s_waitcnt vmcnt(2)
	v_add_co_u32_e32 v6, vcc, 1, v0
	v_addc_co_u32_e32 v7, vcc, 0, v1, vcc
	v_add_co_u32_e32 v4, vcc, s8, v6
	v_addc_co_u32_e32 v5, vcc, v7, v5, vcc
	v_cmp_eq_u64_e32 vcc, 0, v[4:5]
	v_cndmask_b32_e32 v5, v5, v7, vcc
	v_cndmask_b32_e32 v4, v4, v6, vcc
	v_and_b32_e32 v1, v5, v1
	v_and_b32_e32 v0, v4, v0
	v_mul_lo_u32 v1, v1, 24
	v_mul_hi_u32 v7, v0, 24
	v_mul_lo_u32 v0, v0, 24
	s_waitcnt vmcnt(1)
	v_mov_b32_e32 v6, v9
	v_add_u32_e32 v1, v7, v1
	s_waitcnt vmcnt(0)
	v_add_co_u32_e32 v0, vcc, v11, v0
	v_addc_co_u32_e32 v1, vcc, v12, v1, vcc
	global_store_dwordx2 v[0:1], v[9:10], off
	v_mov_b32_e32 v7, v10
	s_waitcnt vmcnt(0)
	global_atomic_cmpswap_x2 v[6:7], v8, v[4:7], s[44:45] offset:24 glc
	s_waitcnt vmcnt(0)
	v_cmp_ne_u64_e32 vcc, v[6:7], v[9:10]
	s_and_b64 exec, exec, vcc
	s_cbranch_execz .LBB11_826
.LBB11_825:                             ; =>This Inner Loop Header: Depth=1
	s_sleep 1
	global_store_dwordx2 v[0:1], v[6:7], off
	s_waitcnt vmcnt(0)
	global_atomic_cmpswap_x2 v[9:10], v8, v[4:7], s[44:45] offset:24 glc
	s_waitcnt vmcnt(0)
	v_cmp_eq_u64_e32 vcc, v[9:10], v[6:7]
	v_mov_b32_e32 v6, v9
	s_or_b64 s[4:5], vcc, s[4:5]
	v_mov_b32_e32 v7, v10
	s_andn2_b64 exec, exec, s[4:5]
	s_cbranch_execnz .LBB11_825
.LBB11_826:
	s_or_b64 exec, exec, s[10:11]
.LBB11_827:
	v_readfirstlane_b32 s4, v42
	s_waitcnt vmcnt(0)
	v_mov_b32_e32 v0, 0
	v_mov_b32_e32 v1, 0
	v_cmp_eq_u32_e64 s[4:5], s4, v42
	s_and_saveexec_b64 s[8:9], s[4:5]
	s_cbranch_execz .LBB11_833
; %bb.828:
	v_mov_b32_e32 v4, 0
	global_load_dwordx2 v[7:8], v4, s[44:45] offset:24 glc
	s_waitcnt vmcnt(0)
	buffer_wbinvl1_vol
	global_load_dwordx2 v[0:1], v4, s[44:45] offset:40
	global_load_dwordx2 v[5:6], v4, s[44:45]
	s_waitcnt vmcnt(1)
	v_and_b32_e32 v0, v0, v7
	v_and_b32_e32 v1, v1, v8
	v_mul_lo_u32 v1, v1, 24
	v_mul_hi_u32 v9, v0, 24
	v_mul_lo_u32 v0, v0, 24
	v_add_u32_e32 v1, v9, v1
	s_waitcnt vmcnt(0)
	v_add_co_u32_e32 v0, vcc, v5, v0
	v_addc_co_u32_e32 v1, vcc, v6, v1, vcc
	global_load_dwordx2 v[5:6], v[0:1], off glc
	s_waitcnt vmcnt(0)
	global_atomic_cmpswap_x2 v[0:1], v4, v[5:8], s[44:45] offset:24 glc
	s_waitcnt vmcnt(0)
	buffer_wbinvl1_vol
	v_cmp_ne_u64_e32 vcc, v[0:1], v[7:8]
	s_and_saveexec_b64 s[10:11], vcc
	s_cbranch_execz .LBB11_832
; %bb.829:
	s_mov_b64 s[12:13], 0
.LBB11_830:                             ; =>This Inner Loop Header: Depth=1
	s_sleep 1
	global_load_dwordx2 v[5:6], v4, s[44:45] offset:40
	global_load_dwordx2 v[9:10], v4, s[44:45]
	v_mov_b32_e32 v8, v1
	v_mov_b32_e32 v7, v0
	s_waitcnt vmcnt(1)
	v_and_b32_e32 v0, v5, v7
	s_waitcnt vmcnt(0)
	v_mad_u64_u32 v[0:1], s[14:15], v0, 24, v[9:10]
	v_and_b32_e32 v5, v6, v8
	v_mad_u64_u32 v[5:6], s[14:15], v5, 24, v[1:2]
	v_mov_b32_e32 v1, v5
	global_load_dwordx2 v[5:6], v[0:1], off glc
	s_waitcnt vmcnt(0)
	global_atomic_cmpswap_x2 v[0:1], v4, v[5:8], s[44:45] offset:24 glc
	s_waitcnt vmcnt(0)
	buffer_wbinvl1_vol
	v_cmp_eq_u64_e32 vcc, v[0:1], v[7:8]
	s_or_b64 s[12:13], vcc, s[12:13]
	s_andn2_b64 exec, exec, s[12:13]
	s_cbranch_execnz .LBB11_830
; %bb.831:
	s_or_b64 exec, exec, s[12:13]
.LBB11_832:
	s_or_b64 exec, exec, s[10:11]
.LBB11_833:
	s_or_b64 exec, exec, s[8:9]
	v_mov_b32_e32 v5, 0
	global_load_dwordx2 v[10:11], v5, s[44:45] offset:40
	global_load_dwordx4 v[6:9], v5, s[44:45]
	v_readfirstlane_b32 s8, v0
	v_readfirstlane_b32 s9, v1
	s_mov_b64 s[10:11], exec
	s_waitcnt vmcnt(1)
	v_readfirstlane_b32 s12, v10
	v_readfirstlane_b32 s13, v11
	s_and_b64 s[12:13], s[8:9], s[12:13]
	s_mul_i32 s14, s13, 24
	s_mul_hi_u32 s15, s12, 24
	s_mul_i32 s16, s12, 24
	s_add_i32 s14, s15, s14
	v_mov_b32_e32 v0, s14
	s_waitcnt vmcnt(0)
	v_add_co_u32_e32 v10, vcc, s16, v6
	v_addc_co_u32_e32 v11, vcc, v7, v0, vcc
	s_and_saveexec_b64 s[14:15], s[4:5]
	s_cbranch_execz .LBB11_835
; %bb.834:
	v_mov_b32_e32 v13, s11
	v_mov_b32_e32 v12, s10
	;; [unrolled: 1-line block ×4, first 2 shown]
	global_store_dwordx4 v[10:11], v[12:15], off offset:8
.LBB11_835:
	s_or_b64 exec, exec, s[14:15]
	s_lshl_b64 s[10:11], s[12:13], 12
	v_mov_b32_e32 v0, s11
	v_add_co_u32_e32 v1, vcc, s10, v8
	v_addc_co_u32_e32 v0, vcc, v9, v0, vcc
	s_movk_i32 s10, 0xff1d
	v_and_or_b32 v2, v2, s10, 34
	s_mov_b32 s12, 0
	v_mov_b32_e32 v4, 58
	v_readfirstlane_b32 s10, v1
	v_readfirstlane_b32 s11, v0
	s_mov_b32 s13, s12
	s_mov_b32 s14, s12
	;; [unrolled: 1-line block ×3, first 2 shown]
	s_nop 1
	global_store_dwordx4 v41, v[2:5], s[10:11]
	v_mov_b32_e32 v0, s12
	v_mov_b32_e32 v1, s13
	v_mov_b32_e32 v2, s14
	v_mov_b32_e32 v3, s15
	global_store_dwordx4 v41, v[0:3], s[10:11] offset:16
	global_store_dwordx4 v41, v[0:3], s[10:11] offset:32
	;; [unrolled: 1-line block ×3, first 2 shown]
	s_and_saveexec_b64 s[10:11], s[4:5]
	s_cbranch_execz .LBB11_843
; %bb.836:
	v_mov_b32_e32 v8, 0
	global_load_dwordx2 v[14:15], v8, s[44:45] offset:32 glc
	global_load_dwordx2 v[0:1], v8, s[44:45] offset:40
	v_mov_b32_e32 v12, s8
	v_mov_b32_e32 v13, s9
	s_waitcnt vmcnt(0)
	v_readfirstlane_b32 s12, v0
	v_readfirstlane_b32 s13, v1
	s_and_b64 s[12:13], s[12:13], s[8:9]
	s_mul_i32 s13, s13, 24
	s_mul_hi_u32 s14, s12, 24
	s_mul_i32 s12, s12, 24
	s_add_i32 s13, s14, s13
	v_mov_b32_e32 v0, s13
	v_add_co_u32_e32 v4, vcc, s12, v6
	v_addc_co_u32_e32 v5, vcc, v7, v0, vcc
	global_store_dwordx2 v[4:5], v[14:15], off
	s_waitcnt vmcnt(0)
	global_atomic_cmpswap_x2 v[2:3], v8, v[12:15], s[44:45] offset:32 glc
	s_waitcnt vmcnt(0)
	v_cmp_ne_u64_e32 vcc, v[2:3], v[14:15]
	s_and_saveexec_b64 s[12:13], vcc
	s_cbranch_execz .LBB11_839
; %bb.837:
	s_mov_b64 s[14:15], 0
.LBB11_838:                             ; =>This Inner Loop Header: Depth=1
	s_sleep 1
	global_store_dwordx2 v[4:5], v[2:3], off
	v_mov_b32_e32 v0, s8
	v_mov_b32_e32 v1, s9
	s_waitcnt vmcnt(0)
	global_atomic_cmpswap_x2 v[0:1], v8, v[0:3], s[44:45] offset:32 glc
	s_waitcnt vmcnt(0)
	v_cmp_eq_u64_e32 vcc, v[0:1], v[2:3]
	v_mov_b32_e32 v3, v1
	s_or_b64 s[14:15], vcc, s[14:15]
	v_mov_b32_e32 v2, v0
	s_andn2_b64 exec, exec, s[14:15]
	s_cbranch_execnz .LBB11_838
.LBB11_839:
	s_or_b64 exec, exec, s[12:13]
	v_mov_b32_e32 v3, 0
	global_load_dwordx2 v[0:1], v3, s[44:45] offset:16
	s_mov_b64 s[12:13], exec
	v_mbcnt_lo_u32_b32 v2, s12, 0
	v_mbcnt_hi_u32_b32 v2, s13, v2
	v_cmp_eq_u32_e32 vcc, 0, v2
	s_and_saveexec_b64 s[14:15], vcc
	s_cbranch_execz .LBB11_841
; %bb.840:
	s_bcnt1_i32_b64 s12, s[12:13]
	v_mov_b32_e32 v2, s12
	s_waitcnt vmcnt(0)
	global_atomic_add_x2 v[0:1], v[2:3], off offset:8
.LBB11_841:
	s_or_b64 exec, exec, s[14:15]
	s_waitcnt vmcnt(0)
	global_load_dwordx2 v[2:3], v[0:1], off offset:16
	s_waitcnt vmcnt(0)
	v_cmp_eq_u64_e32 vcc, 0, v[2:3]
	s_cbranch_vccnz .LBB11_843
; %bb.842:
	global_load_dword v0, v[0:1], off offset:24
	v_mov_b32_e32 v1, 0
	s_waitcnt vmcnt(0)
	global_store_dwordx2 v[2:3], v[0:1], off
	v_and_b32_e32 v0, 0xffffff, v0
	v_readfirstlane_b32 m0, v0
	s_sendmsg sendmsg(MSG_INTERRUPT)
.LBB11_843:
	s_or_b64 exec, exec, s[10:11]
	s_branch .LBB11_847
.LBB11_844:                             ;   in Loop: Header=BB11_847 Depth=1
	s_or_b64 exec, exec, s[10:11]
	v_readfirstlane_b32 s10, v0
	s_cmp_eq_u32 s10, 0
	s_cbranch_scc1 .LBB11_846
; %bb.845:                              ;   in Loop: Header=BB11_847 Depth=1
	s_sleep 1
	s_cbranch_execnz .LBB11_847
	s_branch .LBB11_849
.LBB11_846:
	s_branch .LBB11_849
.LBB11_847:                             ; =>This Inner Loop Header: Depth=1
	v_mov_b32_e32 v0, 1
	s_and_saveexec_b64 s[10:11], s[4:5]
	s_cbranch_execz .LBB11_844
; %bb.848:                              ;   in Loop: Header=BB11_847 Depth=1
	global_load_dword v0, v[10:11], off offset:20 glc
	s_waitcnt vmcnt(0)
	buffer_wbinvl1_vol
	v_and_b32_e32 v0, 1, v0
	s_branch .LBB11_844
.LBB11_849:
	s_and_saveexec_b64 s[10:11], s[4:5]
	s_cbranch_execz .LBB11_852
; %bb.850:
	v_mov_b32_e32 v6, 0
	global_load_dwordx2 v[2:3], v6, s[44:45] offset:40
	global_load_dwordx2 v[7:8], v6, s[44:45] offset:24 glc
	global_load_dwordx2 v[4:5], v6, s[44:45]
	v_mov_b32_e32 v1, s9
	s_mov_b64 s[4:5], 0
	s_waitcnt vmcnt(2)
	v_add_co_u32_e32 v9, vcc, 1, v2
	v_addc_co_u32_e32 v10, vcc, 0, v3, vcc
	v_add_co_u32_e32 v0, vcc, s8, v9
	v_addc_co_u32_e32 v1, vcc, v10, v1, vcc
	v_cmp_eq_u64_e32 vcc, 0, v[0:1]
	v_cndmask_b32_e32 v1, v1, v10, vcc
	v_cndmask_b32_e32 v0, v0, v9, vcc
	v_and_b32_e32 v3, v1, v3
	v_and_b32_e32 v2, v0, v2
	v_mul_lo_u32 v3, v3, 24
	v_mul_hi_u32 v9, v2, 24
	v_mul_lo_u32 v10, v2, 24
	s_waitcnt vmcnt(1)
	v_mov_b32_e32 v2, v7
	v_add_u32_e32 v3, v9, v3
	s_waitcnt vmcnt(0)
	v_add_co_u32_e32 v4, vcc, v4, v10
	v_addc_co_u32_e32 v5, vcc, v5, v3, vcc
	global_store_dwordx2 v[4:5], v[7:8], off
	v_mov_b32_e32 v3, v8
	s_waitcnt vmcnt(0)
	global_atomic_cmpswap_x2 v[2:3], v6, v[0:3], s[44:45] offset:24 glc
	s_waitcnt vmcnt(0)
	v_cmp_ne_u64_e32 vcc, v[2:3], v[7:8]
	s_and_b64 exec, exec, vcc
	s_cbranch_execz .LBB11_852
.LBB11_851:                             ; =>This Inner Loop Header: Depth=1
	s_sleep 1
	global_store_dwordx2 v[4:5], v[2:3], off
	s_waitcnt vmcnt(0)
	global_atomic_cmpswap_x2 v[7:8], v6, v[0:3], s[44:45] offset:24 glc
	s_waitcnt vmcnt(0)
	v_cmp_eq_u64_e32 vcc, v[7:8], v[2:3]
	v_mov_b32_e32 v2, v7
	s_or_b64 s[4:5], vcc, s[4:5]
	v_mov_b32_e32 v3, v8
	s_andn2_b64 exec, exec, s[4:5]
	s_cbranch_execnz .LBB11_851
.LBB11_852:
	s_or_b64 exec, exec, s[10:11]
	v_readfirstlane_b32 s4, v42
	v_mov_b32_e32 v5, 0
	v_mov_b32_e32 v6, 0
	v_cmp_eq_u32_e64 s[4:5], s4, v42
	s_and_saveexec_b64 s[8:9], s[4:5]
	s_cbranch_execz .LBB11_858
; %bb.853:
	v_mov_b32_e32 v0, 0
	global_load_dwordx2 v[3:4], v0, s[44:45] offset:24 glc
	s_waitcnt vmcnt(0)
	buffer_wbinvl1_vol
	global_load_dwordx2 v[1:2], v0, s[44:45] offset:40
	global_load_dwordx2 v[5:6], v0, s[44:45]
	s_waitcnt vmcnt(1)
	v_and_b32_e32 v1, v1, v3
	v_and_b32_e32 v2, v2, v4
	v_mul_lo_u32 v2, v2, 24
	v_mul_hi_u32 v7, v1, 24
	v_mul_lo_u32 v1, v1, 24
	v_add_u32_e32 v2, v7, v2
	s_waitcnt vmcnt(0)
	v_add_co_u32_e32 v1, vcc, v5, v1
	v_addc_co_u32_e32 v2, vcc, v6, v2, vcc
	global_load_dwordx2 v[1:2], v[1:2], off glc
	s_waitcnt vmcnt(0)
	global_atomic_cmpswap_x2 v[5:6], v0, v[1:4], s[44:45] offset:24 glc
	s_waitcnt vmcnt(0)
	buffer_wbinvl1_vol
	v_cmp_ne_u64_e32 vcc, v[5:6], v[3:4]
	s_and_saveexec_b64 s[10:11], vcc
	s_cbranch_execz .LBB11_857
; %bb.854:
	s_mov_b64 s[12:13], 0
.LBB11_855:                             ; =>This Inner Loop Header: Depth=1
	s_sleep 1
	global_load_dwordx2 v[1:2], v0, s[44:45] offset:40
	global_load_dwordx2 v[7:8], v0, s[44:45]
	v_mov_b32_e32 v3, v5
	v_mov_b32_e32 v4, v6
	s_waitcnt vmcnt(1)
	v_and_b32_e32 v1, v1, v3
	s_waitcnt vmcnt(0)
	v_mad_u64_u32 v[5:6], s[14:15], v1, 24, v[7:8]
	v_and_b32_e32 v2, v2, v4
	v_mov_b32_e32 v1, v6
	v_mad_u64_u32 v[1:2], s[14:15], v2, 24, v[1:2]
	v_mov_b32_e32 v6, v1
	global_load_dwordx2 v[1:2], v[5:6], off glc
	s_waitcnt vmcnt(0)
	global_atomic_cmpswap_x2 v[5:6], v0, v[1:4], s[44:45] offset:24 glc
	s_waitcnt vmcnt(0)
	buffer_wbinvl1_vol
	v_cmp_eq_u64_e32 vcc, v[5:6], v[3:4]
	s_or_b64 s[12:13], vcc, s[12:13]
	s_andn2_b64 exec, exec, s[12:13]
	s_cbranch_execnz .LBB11_855
; %bb.856:
	s_or_b64 exec, exec, s[12:13]
.LBB11_857:
	s_or_b64 exec, exec, s[10:11]
.LBB11_858:
	s_or_b64 exec, exec, s[8:9]
	v_mov_b32_e32 v4, 0
	global_load_dwordx2 v[7:8], v4, s[44:45] offset:40
	global_load_dwordx4 v[0:3], v4, s[44:45]
	v_readfirstlane_b32 s8, v5
	v_readfirstlane_b32 s9, v6
	s_mov_b64 s[10:11], exec
	s_waitcnt vmcnt(1)
	v_readfirstlane_b32 s12, v7
	v_readfirstlane_b32 s13, v8
	s_and_b64 s[12:13], s[8:9], s[12:13]
	s_mul_i32 s14, s13, 24
	s_mul_hi_u32 s15, s12, 24
	s_mul_i32 s16, s12, 24
	s_add_i32 s14, s15, s14
	v_mov_b32_e32 v5, s14
	s_waitcnt vmcnt(0)
	v_add_co_u32_e32 v7, vcc, s16, v0
	v_addc_co_u32_e32 v8, vcc, v1, v5, vcc
	s_and_saveexec_b64 s[14:15], s[4:5]
	s_cbranch_execz .LBB11_860
; %bb.859:
	v_mov_b32_e32 v9, s10
	v_mov_b32_e32 v10, s11
	;; [unrolled: 1-line block ×4, first 2 shown]
	global_store_dwordx4 v[7:8], v[9:12], off offset:8
.LBB11_860:
	s_or_b64 exec, exec, s[14:15]
	s_lshl_b64 s[10:11], s[12:13], 12
	v_mov_b32_e32 v5, s11
	v_add_co_u32_e32 v2, vcc, s10, v2
	v_addc_co_u32_e32 v11, vcc, v3, v5, vcc
	s_mov_b32 s12, 0
	v_mov_b32_e32 v3, 33
	v_mov_b32_e32 v5, v4
	v_mov_b32_e32 v6, v4
	v_readfirstlane_b32 s10, v2
	v_readfirstlane_b32 s11, v11
	v_add_co_u32_e32 v9, vcc, v2, v41
	s_mov_b32 s13, s12
	s_mov_b32 s14, s12
	;; [unrolled: 1-line block ×3, first 2 shown]
	s_nop 0
	global_store_dwordx4 v41, v[3:6], s[10:11]
	v_mov_b32_e32 v2, s12
	v_addc_co_u32_e32 v10, vcc, 0, v11, vcc
	v_mov_b32_e32 v3, s13
	v_mov_b32_e32 v4, s14
	;; [unrolled: 1-line block ×3, first 2 shown]
	global_store_dwordx4 v41, v[2:5], s[10:11] offset:16
	global_store_dwordx4 v41, v[2:5], s[10:11] offset:32
	;; [unrolled: 1-line block ×3, first 2 shown]
	s_and_saveexec_b64 s[10:11], s[4:5]
	s_cbranch_execz .LBB11_868
; %bb.861:
	v_mov_b32_e32 v6, 0
	global_load_dwordx2 v[13:14], v6, s[44:45] offset:32 glc
	global_load_dwordx2 v[2:3], v6, s[44:45] offset:40
	v_mov_b32_e32 v11, s8
	v_mov_b32_e32 v12, s9
	s_waitcnt vmcnt(0)
	v_readfirstlane_b32 s12, v2
	v_readfirstlane_b32 s13, v3
	s_and_b64 s[12:13], s[12:13], s[8:9]
	s_mul_i32 s13, s13, 24
	s_mul_hi_u32 s14, s12, 24
	s_mul_i32 s12, s12, 24
	s_add_i32 s13, s14, s13
	v_mov_b32_e32 v2, s13
	v_add_co_u32_e32 v4, vcc, s12, v0
	v_addc_co_u32_e32 v5, vcc, v1, v2, vcc
	global_store_dwordx2 v[4:5], v[13:14], off
	s_waitcnt vmcnt(0)
	global_atomic_cmpswap_x2 v[2:3], v6, v[11:14], s[44:45] offset:32 glc
	s_waitcnt vmcnt(0)
	v_cmp_ne_u64_e32 vcc, v[2:3], v[13:14]
	s_and_saveexec_b64 s[12:13], vcc
	s_cbranch_execz .LBB11_864
; %bb.862:
	s_mov_b64 s[14:15], 0
.LBB11_863:                             ; =>This Inner Loop Header: Depth=1
	s_sleep 1
	global_store_dwordx2 v[4:5], v[2:3], off
	v_mov_b32_e32 v0, s8
	v_mov_b32_e32 v1, s9
	s_waitcnt vmcnt(0)
	global_atomic_cmpswap_x2 v[0:1], v6, v[0:3], s[44:45] offset:32 glc
	s_waitcnt vmcnt(0)
	v_cmp_eq_u64_e32 vcc, v[0:1], v[2:3]
	v_mov_b32_e32 v3, v1
	s_or_b64 s[14:15], vcc, s[14:15]
	v_mov_b32_e32 v2, v0
	s_andn2_b64 exec, exec, s[14:15]
	s_cbranch_execnz .LBB11_863
.LBB11_864:
	s_or_b64 exec, exec, s[12:13]
	v_mov_b32_e32 v3, 0
	global_load_dwordx2 v[0:1], v3, s[44:45] offset:16
	s_mov_b64 s[12:13], exec
	v_mbcnt_lo_u32_b32 v2, s12, 0
	v_mbcnt_hi_u32_b32 v2, s13, v2
	v_cmp_eq_u32_e32 vcc, 0, v2
	s_and_saveexec_b64 s[14:15], vcc
	s_cbranch_execz .LBB11_866
; %bb.865:
	s_bcnt1_i32_b64 s12, s[12:13]
	v_mov_b32_e32 v2, s12
	s_waitcnt vmcnt(0)
	global_atomic_add_x2 v[0:1], v[2:3], off offset:8
.LBB11_866:
	s_or_b64 exec, exec, s[14:15]
	s_waitcnt vmcnt(0)
	global_load_dwordx2 v[2:3], v[0:1], off offset:16
	s_waitcnt vmcnt(0)
	v_cmp_eq_u64_e32 vcc, 0, v[2:3]
	s_cbranch_vccnz .LBB11_868
; %bb.867:
	global_load_dword v0, v[0:1], off offset:24
	v_mov_b32_e32 v1, 0
	s_waitcnt vmcnt(0)
	global_store_dwordx2 v[2:3], v[0:1], off
	v_and_b32_e32 v0, 0xffffff, v0
	v_readfirstlane_b32 m0, v0
	s_sendmsg sendmsg(MSG_INTERRUPT)
.LBB11_868:
	s_or_b64 exec, exec, s[10:11]
	s_branch .LBB11_872
.LBB11_869:                             ;   in Loop: Header=BB11_872 Depth=1
	s_or_b64 exec, exec, s[10:11]
	v_readfirstlane_b32 s10, v0
	s_cmp_eq_u32 s10, 0
	s_cbranch_scc1 .LBB11_871
; %bb.870:                              ;   in Loop: Header=BB11_872 Depth=1
	s_sleep 1
	s_cbranch_execnz .LBB11_872
	s_branch .LBB11_874
.LBB11_871:
	s_branch .LBB11_874
.LBB11_872:                             ; =>This Inner Loop Header: Depth=1
	v_mov_b32_e32 v0, 1
	s_and_saveexec_b64 s[10:11], s[4:5]
	s_cbranch_execz .LBB11_869
; %bb.873:                              ;   in Loop: Header=BB11_872 Depth=1
	global_load_dword v0, v[7:8], off offset:20 glc
	s_waitcnt vmcnt(0)
	buffer_wbinvl1_vol
	v_and_b32_e32 v0, 1, v0
	s_branch .LBB11_869
.LBB11_874:
	global_load_dwordx2 v[0:1], v[9:10], off
	s_and_saveexec_b64 s[10:11], s[4:5]
	s_cbranch_execz .LBB11_877
; %bb.875:
	v_mov_b32_e32 v8, 0
	global_load_dwordx2 v[4:5], v8, s[44:45] offset:40
	global_load_dwordx2 v[9:10], v8, s[44:45] offset:24 glc
	global_load_dwordx2 v[6:7], v8, s[44:45]
	v_mov_b32_e32 v3, s9
	s_mov_b64 s[4:5], 0
	s_waitcnt vmcnt(2)
	v_add_co_u32_e32 v11, vcc, 1, v4
	v_addc_co_u32_e32 v12, vcc, 0, v5, vcc
	v_add_co_u32_e32 v2, vcc, s8, v11
	v_addc_co_u32_e32 v3, vcc, v12, v3, vcc
	v_cmp_eq_u64_e32 vcc, 0, v[2:3]
	v_cndmask_b32_e32 v3, v3, v12, vcc
	v_cndmask_b32_e32 v2, v2, v11, vcc
	v_and_b32_e32 v5, v3, v5
	v_and_b32_e32 v4, v2, v4
	v_mul_lo_u32 v5, v5, 24
	v_mul_hi_u32 v11, v4, 24
	v_mul_lo_u32 v12, v4, 24
	s_waitcnt vmcnt(1)
	v_mov_b32_e32 v4, v9
	v_add_u32_e32 v5, v11, v5
	s_waitcnt vmcnt(0)
	v_add_co_u32_e32 v6, vcc, v6, v12
	v_addc_co_u32_e32 v7, vcc, v7, v5, vcc
	global_store_dwordx2 v[6:7], v[9:10], off
	v_mov_b32_e32 v5, v10
	s_waitcnt vmcnt(0)
	global_atomic_cmpswap_x2 v[4:5], v8, v[2:5], s[44:45] offset:24 glc
	s_waitcnt vmcnt(0)
	v_cmp_ne_u64_e32 vcc, v[4:5], v[9:10]
	s_and_b64 exec, exec, vcc
	s_cbranch_execz .LBB11_877
.LBB11_876:                             ; =>This Inner Loop Header: Depth=1
	s_sleep 1
	global_store_dwordx2 v[6:7], v[4:5], off
	s_waitcnt vmcnt(0)
	global_atomic_cmpswap_x2 v[9:10], v8, v[2:5], s[44:45] offset:24 glc
	s_waitcnt vmcnt(0)
	v_cmp_eq_u64_e32 vcc, v[9:10], v[4:5]
	v_mov_b32_e32 v4, v9
	s_or_b64 s[4:5], vcc, s[4:5]
	v_mov_b32_e32 v5, v10
	s_andn2_b64 exec, exec, s[4:5]
	s_cbranch_execnz .LBB11_876
.LBB11_877:
	s_or_b64 exec, exec, s[10:11]
	s_getpc_b64 s[8:9]
	s_add_u32 s8, s8, .str.9@rel32@lo+4
	s_addc_u32 s9, s9, .str.9@rel32@hi+12
	s_cmp_lg_u64 s[8:9], 0
	s_cbranch_scc0 .LBB11_962
; %bb.878:
	s_waitcnt vmcnt(0)
	v_and_b32_e32 v31, 2, v0
	v_mov_b32_e32 v28, 0
	v_and_b32_e32 v2, -3, v0
	v_mov_b32_e32 v3, v1
	s_mov_b64 s[10:11], 4
	v_mov_b32_e32 v6, 2
	v_mov_b32_e32 v7, 1
	s_branch .LBB11_880
.LBB11_879:                             ;   in Loop: Header=BB11_880 Depth=1
	s_or_b64 exec, exec, s[16:17]
	s_sub_u32 s10, s10, s12
	s_subb_u32 s11, s11, s13
	s_add_u32 s8, s8, s12
	s_addc_u32 s9, s9, s13
	s_cmp_lg_u64 s[10:11], 0
	s_cbranch_scc0 .LBB11_961
.LBB11_880:                             ; =>This Loop Header: Depth=1
                                        ;     Child Loop BB11_883 Depth 2
                                        ;     Child Loop BB11_890 Depth 2
	;; [unrolled: 1-line block ×11, first 2 shown]
	v_cmp_lt_u64_e64 s[4:5], s[10:11], 56
	v_cmp_gt_u64_e64 s[14:15], s[10:11], 7
	s_and_b64 s[4:5], s[4:5], exec
	s_cselect_b32 s13, s11, 0
	s_cselect_b32 s12, s10, 56
	s_and_b64 vcc, exec, s[14:15]
	s_cbranch_vccnz .LBB11_885
; %bb.881:                              ;   in Loop: Header=BB11_880 Depth=1
	v_mov_b32_e32 v10, 0
	s_cmp_eq_u64 s[10:11], 0
	v_mov_b32_e32 v11, 0
	s_mov_b64 s[4:5], 0
	s_cbranch_scc1 .LBB11_884
; %bb.882:                              ;   in Loop: Header=BB11_880 Depth=1
	v_mov_b32_e32 v10, 0
	s_lshl_b64 s[14:15], s[12:13], 3
	s_mov_b64 s[16:17], 0
	v_mov_b32_e32 v11, 0
	s_mov_b64 s[18:19], s[8:9]
.LBB11_883:                             ;   Parent Loop BB11_880 Depth=1
                                        ; =>  This Inner Loop Header: Depth=2
	global_load_ubyte v4, v28, s[18:19]
	s_waitcnt vmcnt(0)
	v_and_b32_e32 v27, 0xffff, v4
	v_lshlrev_b64 v[4:5], s16, v[27:28]
	s_add_u32 s16, s16, 8
	s_addc_u32 s17, s17, 0
	s_add_u32 s18, s18, 1
	s_addc_u32 s19, s19, 0
	v_or_b32_e32 v10, v4, v10
	s_cmp_lg_u32 s14, s16
	v_or_b32_e32 v11, v5, v11
	s_cbranch_scc1 .LBB11_883
.LBB11_884:                             ;   in Loop: Header=BB11_880 Depth=1
	s_mov_b32 s18, 0
	s_andn2_b64 vcc, exec, s[4:5]
	s_mov_b64 s[4:5], s[8:9]
	s_cbranch_vccz .LBB11_886
	s_branch .LBB11_887
.LBB11_885:                             ;   in Loop: Header=BB11_880 Depth=1
                                        ; implicit-def: $vgpr10_vgpr11
                                        ; implicit-def: $sgpr18
	s_mov_b64 s[4:5], s[8:9]
.LBB11_886:                             ;   in Loop: Header=BB11_880 Depth=1
	global_load_dwordx2 v[10:11], v28, s[8:9]
	s_add_i32 s18, s12, -8
	s_add_u32 s4, s8, 8
	s_addc_u32 s5, s9, 0
.LBB11_887:                             ;   in Loop: Header=BB11_880 Depth=1
	s_cmp_gt_u32 s18, 7
	s_cbranch_scc1 .LBB11_891
; %bb.888:                              ;   in Loop: Header=BB11_880 Depth=1
	s_cmp_eq_u32 s18, 0
	s_cbranch_scc1 .LBB11_892
; %bb.889:                              ;   in Loop: Header=BB11_880 Depth=1
	v_mov_b32_e32 v12, 0
	s_mov_b64 s[14:15], 0
	v_mov_b32_e32 v13, 0
	s_mov_b64 s[16:17], 0
.LBB11_890:                             ;   Parent Loop BB11_880 Depth=1
                                        ; =>  This Inner Loop Header: Depth=2
	s_add_u32 s20, s4, s16
	s_addc_u32 s21, s5, s17
	global_load_ubyte v4, v28, s[20:21]
	s_add_u32 s16, s16, 1
	s_addc_u32 s17, s17, 0
	s_waitcnt vmcnt(0)
	v_and_b32_e32 v27, 0xffff, v4
	v_lshlrev_b64 v[4:5], s14, v[27:28]
	s_add_u32 s14, s14, 8
	s_addc_u32 s15, s15, 0
	v_or_b32_e32 v12, v4, v12
	s_cmp_lg_u32 s18, s16
	v_or_b32_e32 v13, v5, v13
	s_cbranch_scc1 .LBB11_890
	s_branch .LBB11_893
.LBB11_891:                             ;   in Loop: Header=BB11_880 Depth=1
                                        ; implicit-def: $vgpr12_vgpr13
                                        ; implicit-def: $sgpr19
	s_branch .LBB11_894
.LBB11_892:                             ;   in Loop: Header=BB11_880 Depth=1
	v_mov_b32_e32 v12, 0
	v_mov_b32_e32 v13, 0
.LBB11_893:                             ;   in Loop: Header=BB11_880 Depth=1
	s_mov_b32 s19, 0
	s_cbranch_execnz .LBB11_895
.LBB11_894:                             ;   in Loop: Header=BB11_880 Depth=1
	global_load_dwordx2 v[12:13], v28, s[4:5]
	s_add_i32 s19, s18, -8
	s_add_u32 s4, s4, 8
	s_addc_u32 s5, s5, 0
.LBB11_895:                             ;   in Loop: Header=BB11_880 Depth=1
	s_cmp_gt_u32 s19, 7
	s_cbranch_scc1 .LBB11_899
; %bb.896:                              ;   in Loop: Header=BB11_880 Depth=1
	s_cmp_eq_u32 s19, 0
	s_cbranch_scc1 .LBB11_900
; %bb.897:                              ;   in Loop: Header=BB11_880 Depth=1
	v_mov_b32_e32 v14, 0
	s_mov_b64 s[14:15], 0
	v_mov_b32_e32 v15, 0
	s_mov_b64 s[16:17], 0
.LBB11_898:                             ;   Parent Loop BB11_880 Depth=1
                                        ; =>  This Inner Loop Header: Depth=2
	s_add_u32 s20, s4, s16
	s_addc_u32 s21, s5, s17
	global_load_ubyte v4, v28, s[20:21]
	s_add_u32 s16, s16, 1
	s_addc_u32 s17, s17, 0
	s_waitcnt vmcnt(0)
	v_and_b32_e32 v27, 0xffff, v4
	v_lshlrev_b64 v[4:5], s14, v[27:28]
	s_add_u32 s14, s14, 8
	s_addc_u32 s15, s15, 0
	v_or_b32_e32 v14, v4, v14
	s_cmp_lg_u32 s19, s16
	v_or_b32_e32 v15, v5, v15
	s_cbranch_scc1 .LBB11_898
	s_branch .LBB11_901
.LBB11_899:                             ;   in Loop: Header=BB11_880 Depth=1
                                        ; implicit-def: $sgpr18
	s_branch .LBB11_902
.LBB11_900:                             ;   in Loop: Header=BB11_880 Depth=1
	v_mov_b32_e32 v14, 0
	v_mov_b32_e32 v15, 0
.LBB11_901:                             ;   in Loop: Header=BB11_880 Depth=1
	s_mov_b32 s18, 0
	s_cbranch_execnz .LBB11_903
.LBB11_902:                             ;   in Loop: Header=BB11_880 Depth=1
	global_load_dwordx2 v[14:15], v28, s[4:5]
	s_add_i32 s18, s19, -8
	s_add_u32 s4, s4, 8
	s_addc_u32 s5, s5, 0
.LBB11_903:                             ;   in Loop: Header=BB11_880 Depth=1
	s_cmp_gt_u32 s18, 7
	s_cbranch_scc1 .LBB11_907
; %bb.904:                              ;   in Loop: Header=BB11_880 Depth=1
	s_cmp_eq_u32 s18, 0
	s_cbranch_scc1 .LBB11_908
; %bb.905:                              ;   in Loop: Header=BB11_880 Depth=1
	v_mov_b32_e32 v16, 0
	s_mov_b64 s[14:15], 0
	v_mov_b32_e32 v17, 0
	s_mov_b64 s[16:17], 0
.LBB11_906:                             ;   Parent Loop BB11_880 Depth=1
                                        ; =>  This Inner Loop Header: Depth=2
	s_add_u32 s20, s4, s16
	s_addc_u32 s21, s5, s17
	global_load_ubyte v4, v28, s[20:21]
	s_add_u32 s16, s16, 1
	s_addc_u32 s17, s17, 0
	s_waitcnt vmcnt(0)
	v_and_b32_e32 v27, 0xffff, v4
	v_lshlrev_b64 v[4:5], s14, v[27:28]
	s_add_u32 s14, s14, 8
	s_addc_u32 s15, s15, 0
	v_or_b32_e32 v16, v4, v16
	s_cmp_lg_u32 s18, s16
	v_or_b32_e32 v17, v5, v17
	s_cbranch_scc1 .LBB11_906
	s_branch .LBB11_909
.LBB11_907:                             ;   in Loop: Header=BB11_880 Depth=1
                                        ; implicit-def: $vgpr16_vgpr17
                                        ; implicit-def: $sgpr19
	s_branch .LBB11_910
.LBB11_908:                             ;   in Loop: Header=BB11_880 Depth=1
	v_mov_b32_e32 v16, 0
	v_mov_b32_e32 v17, 0
.LBB11_909:                             ;   in Loop: Header=BB11_880 Depth=1
	s_mov_b32 s19, 0
	s_cbranch_execnz .LBB11_911
.LBB11_910:                             ;   in Loop: Header=BB11_880 Depth=1
	global_load_dwordx2 v[16:17], v28, s[4:5]
	s_add_i32 s19, s18, -8
	s_add_u32 s4, s4, 8
	s_addc_u32 s5, s5, 0
.LBB11_911:                             ;   in Loop: Header=BB11_880 Depth=1
	s_cmp_gt_u32 s19, 7
	s_cbranch_scc1 .LBB11_915
; %bb.912:                              ;   in Loop: Header=BB11_880 Depth=1
	s_cmp_eq_u32 s19, 0
	s_cbranch_scc1 .LBB11_916
; %bb.913:                              ;   in Loop: Header=BB11_880 Depth=1
	v_mov_b32_e32 v18, 0
	s_mov_b64 s[14:15], 0
	v_mov_b32_e32 v19, 0
	s_mov_b64 s[16:17], 0
.LBB11_914:                             ;   Parent Loop BB11_880 Depth=1
                                        ; =>  This Inner Loop Header: Depth=2
	s_add_u32 s20, s4, s16
	s_addc_u32 s21, s5, s17
	global_load_ubyte v4, v28, s[20:21]
	s_add_u32 s16, s16, 1
	s_addc_u32 s17, s17, 0
	s_waitcnt vmcnt(0)
	v_and_b32_e32 v27, 0xffff, v4
	v_lshlrev_b64 v[4:5], s14, v[27:28]
	s_add_u32 s14, s14, 8
	s_addc_u32 s15, s15, 0
	v_or_b32_e32 v18, v4, v18
	s_cmp_lg_u32 s19, s16
	v_or_b32_e32 v19, v5, v19
	s_cbranch_scc1 .LBB11_914
	s_branch .LBB11_917
.LBB11_915:                             ;   in Loop: Header=BB11_880 Depth=1
                                        ; implicit-def: $sgpr18
	s_branch .LBB11_918
.LBB11_916:                             ;   in Loop: Header=BB11_880 Depth=1
	v_mov_b32_e32 v18, 0
	v_mov_b32_e32 v19, 0
.LBB11_917:                             ;   in Loop: Header=BB11_880 Depth=1
	s_mov_b32 s18, 0
	s_cbranch_execnz .LBB11_919
.LBB11_918:                             ;   in Loop: Header=BB11_880 Depth=1
	global_load_dwordx2 v[18:19], v28, s[4:5]
	s_add_i32 s18, s19, -8
	s_add_u32 s4, s4, 8
	s_addc_u32 s5, s5, 0
.LBB11_919:                             ;   in Loop: Header=BB11_880 Depth=1
	s_cmp_gt_u32 s18, 7
	s_cbranch_scc1 .LBB11_923
; %bb.920:                              ;   in Loop: Header=BB11_880 Depth=1
	s_cmp_eq_u32 s18, 0
	s_cbranch_scc1 .LBB11_924
; %bb.921:                              ;   in Loop: Header=BB11_880 Depth=1
	v_mov_b32_e32 v20, 0
	s_mov_b64 s[14:15], 0
	v_mov_b32_e32 v21, 0
	s_mov_b64 s[16:17], 0
.LBB11_922:                             ;   Parent Loop BB11_880 Depth=1
                                        ; =>  This Inner Loop Header: Depth=2
	s_add_u32 s20, s4, s16
	s_addc_u32 s21, s5, s17
	global_load_ubyte v4, v28, s[20:21]
	s_add_u32 s16, s16, 1
	s_addc_u32 s17, s17, 0
	s_waitcnt vmcnt(0)
	v_and_b32_e32 v27, 0xffff, v4
	v_lshlrev_b64 v[4:5], s14, v[27:28]
	s_add_u32 s14, s14, 8
	s_addc_u32 s15, s15, 0
	v_or_b32_e32 v20, v4, v20
	s_cmp_lg_u32 s18, s16
	v_or_b32_e32 v21, v5, v21
	s_cbranch_scc1 .LBB11_922
	s_branch .LBB11_925
.LBB11_923:                             ;   in Loop: Header=BB11_880 Depth=1
                                        ; implicit-def: $vgpr20_vgpr21
                                        ; implicit-def: $sgpr19
	s_branch .LBB11_926
.LBB11_924:                             ;   in Loop: Header=BB11_880 Depth=1
	v_mov_b32_e32 v20, 0
	v_mov_b32_e32 v21, 0
.LBB11_925:                             ;   in Loop: Header=BB11_880 Depth=1
	s_mov_b32 s19, 0
	s_cbranch_execnz .LBB11_927
.LBB11_926:                             ;   in Loop: Header=BB11_880 Depth=1
	global_load_dwordx2 v[20:21], v28, s[4:5]
	s_add_i32 s19, s18, -8
	s_add_u32 s4, s4, 8
	s_addc_u32 s5, s5, 0
.LBB11_927:                             ;   in Loop: Header=BB11_880 Depth=1
	s_cmp_gt_u32 s19, 7
	s_cbranch_scc1 .LBB11_931
; %bb.928:                              ;   in Loop: Header=BB11_880 Depth=1
	s_cmp_eq_u32 s19, 0
	s_cbranch_scc1 .LBB11_932
; %bb.929:                              ;   in Loop: Header=BB11_880 Depth=1
	v_mov_b32_e32 v22, 0
	s_mov_b64 s[14:15], 0
	v_mov_b32_e32 v23, 0
	s_mov_b64 s[16:17], s[4:5]
.LBB11_930:                             ;   Parent Loop BB11_880 Depth=1
                                        ; =>  This Inner Loop Header: Depth=2
	global_load_ubyte v4, v28, s[16:17]
	s_add_i32 s19, s19, -1
	s_waitcnt vmcnt(0)
	v_and_b32_e32 v27, 0xffff, v4
	v_lshlrev_b64 v[4:5], s14, v[27:28]
	s_add_u32 s14, s14, 8
	s_addc_u32 s15, s15, 0
	s_add_u32 s16, s16, 1
	s_addc_u32 s17, s17, 0
	v_or_b32_e32 v22, v4, v22
	s_cmp_lg_u32 s19, 0
	v_or_b32_e32 v23, v5, v23
	s_cbranch_scc1 .LBB11_930
	s_branch .LBB11_933
.LBB11_931:                             ;   in Loop: Header=BB11_880 Depth=1
	s_branch .LBB11_934
.LBB11_932:                             ;   in Loop: Header=BB11_880 Depth=1
	v_mov_b32_e32 v22, 0
	v_mov_b32_e32 v23, 0
.LBB11_933:                             ;   in Loop: Header=BB11_880 Depth=1
	s_cbranch_execnz .LBB11_935
.LBB11_934:                             ;   in Loop: Header=BB11_880 Depth=1
	global_load_dwordx2 v[22:23], v28, s[4:5]
.LBB11_935:                             ;   in Loop: Header=BB11_880 Depth=1
	v_readfirstlane_b32 s4, v42
	s_waitcnt vmcnt(0)
	v_mov_b32_e32 v4, 0
	v_mov_b32_e32 v5, 0
	v_cmp_eq_u32_e64 s[4:5], s4, v42
	s_and_saveexec_b64 s[14:15], s[4:5]
	s_cbranch_execz .LBB11_941
; %bb.936:                              ;   in Loop: Header=BB11_880 Depth=1
	global_load_dwordx2 v[26:27], v28, s[44:45] offset:24 glc
	s_waitcnt vmcnt(0)
	buffer_wbinvl1_vol
	global_load_dwordx2 v[4:5], v28, s[44:45] offset:40
	global_load_dwordx2 v[8:9], v28, s[44:45]
	s_waitcnt vmcnt(1)
	v_and_b32_e32 v4, v4, v26
	v_and_b32_e32 v5, v5, v27
	v_mul_lo_u32 v5, v5, 24
	v_mul_hi_u32 v24, v4, 24
	v_mul_lo_u32 v4, v4, 24
	v_add_u32_e32 v5, v24, v5
	s_waitcnt vmcnt(0)
	v_add_co_u32_e32 v4, vcc, v8, v4
	v_addc_co_u32_e32 v5, vcc, v9, v5, vcc
	global_load_dwordx2 v[24:25], v[4:5], off glc
	s_waitcnt vmcnt(0)
	global_atomic_cmpswap_x2 v[4:5], v28, v[24:27], s[44:45] offset:24 glc
	s_waitcnt vmcnt(0)
	buffer_wbinvl1_vol
	v_cmp_ne_u64_e32 vcc, v[4:5], v[26:27]
	s_and_saveexec_b64 s[16:17], vcc
	s_cbranch_execz .LBB11_940
; %bb.937:                              ;   in Loop: Header=BB11_880 Depth=1
	s_mov_b64 s[18:19], 0
.LBB11_938:                             ;   Parent Loop BB11_880 Depth=1
                                        ; =>  This Inner Loop Header: Depth=2
	s_sleep 1
	global_load_dwordx2 v[8:9], v28, s[44:45] offset:40
	global_load_dwordx2 v[24:25], v28, s[44:45]
	v_mov_b32_e32 v27, v5
	v_mov_b32_e32 v26, v4
	s_waitcnt vmcnt(1)
	v_and_b32_e32 v4, v8, v26
	s_waitcnt vmcnt(0)
	v_mad_u64_u32 v[4:5], s[20:21], v4, 24, v[24:25]
	v_and_b32_e32 v8, v9, v27
	v_mad_u64_u32 v[8:9], s[20:21], v8, 24, v[5:6]
	v_mov_b32_e32 v5, v8
	global_load_dwordx2 v[24:25], v[4:5], off glc
	s_waitcnt vmcnt(0)
	global_atomic_cmpswap_x2 v[4:5], v28, v[24:27], s[44:45] offset:24 glc
	s_waitcnt vmcnt(0)
	buffer_wbinvl1_vol
	v_cmp_eq_u64_e32 vcc, v[4:5], v[26:27]
	s_or_b64 s[18:19], vcc, s[18:19]
	s_andn2_b64 exec, exec, s[18:19]
	s_cbranch_execnz .LBB11_938
; %bb.939:                              ;   in Loop: Header=BB11_880 Depth=1
	s_or_b64 exec, exec, s[18:19]
.LBB11_940:                             ;   in Loop: Header=BB11_880 Depth=1
	s_or_b64 exec, exec, s[16:17]
.LBB11_941:                             ;   in Loop: Header=BB11_880 Depth=1
	s_or_b64 exec, exec, s[14:15]
	global_load_dwordx2 v[8:9], v28, s[44:45] offset:40
	global_load_dwordx4 v[24:27], v28, s[44:45]
	v_readfirstlane_b32 s14, v4
	v_readfirstlane_b32 s15, v5
	s_mov_b64 s[18:19], exec
	s_waitcnt vmcnt(1)
	v_readfirstlane_b32 s16, v8
	v_readfirstlane_b32 s17, v9
	s_and_b64 s[16:17], s[14:15], s[16:17]
	s_mul_i32 s20, s17, 24
	s_mul_hi_u32 s21, s16, 24
	s_mul_i32 s22, s16, 24
	s_add_i32 s20, s21, s20
	v_mov_b32_e32 v4, s20
	s_waitcnt vmcnt(0)
	v_add_co_u32_e32 v29, vcc, s22, v24
	v_addc_co_u32_e32 v30, vcc, v25, v4, vcc
	s_and_saveexec_b64 s[20:21], s[4:5]
	s_cbranch_execz .LBB11_943
; %bb.942:                              ;   in Loop: Header=BB11_880 Depth=1
	v_mov_b32_e32 v4, s18
	v_mov_b32_e32 v5, s19
	global_store_dwordx4 v[29:30], v[4:7], off offset:8
.LBB11_943:                             ;   in Loop: Header=BB11_880 Depth=1
	s_or_b64 exec, exec, s[20:21]
	v_cmp_gt_u64_e64 vcc, s[10:11], 56
	v_or_b32_e32 v4, 0, v3
	v_cndmask_b32_e32 v9, v4, v3, vcc
	v_or_b32_e32 v3, v2, v31
	s_lshl_b32 s18, s12, 2
	v_cndmask_b32_e32 v2, v3, v2, vcc
	s_add_i32 s18, s18, 28
	s_and_b32 s18, s18, 0x1e0
	v_and_b32_e32 v2, 0xffffff1f, v2
	s_lshl_b64 s[16:17], s[16:17], 12
	v_or_b32_e32 v8, s18, v2
	v_mov_b32_e32 v2, s17
	v_add_co_u32_e32 v26, vcc, s16, v26
	v_addc_co_u32_e32 v32, vcc, v27, v2, vcc
	v_readfirstlane_b32 s16, v26
	v_readfirstlane_b32 s17, v32
	s_nop 4
	global_store_dwordx4 v41, v[8:11], s[16:17]
	global_store_dwordx4 v41, v[12:15], s[16:17] offset:16
	global_store_dwordx4 v41, v[16:19], s[16:17] offset:32
	;; [unrolled: 1-line block ×3, first 2 shown]
	s_and_saveexec_b64 s[16:17], s[4:5]
	s_cbranch_execz .LBB11_951
; %bb.944:                              ;   in Loop: Header=BB11_880 Depth=1
	global_load_dwordx2 v[12:13], v28, s[44:45] offset:32 glc
	global_load_dwordx2 v[2:3], v28, s[44:45] offset:40
	v_mov_b32_e32 v10, s14
	v_mov_b32_e32 v11, s15
	s_waitcnt vmcnt(0)
	v_readfirstlane_b32 s18, v2
	v_readfirstlane_b32 s19, v3
	s_and_b64 s[18:19], s[18:19], s[14:15]
	s_mul_i32 s19, s19, 24
	s_mul_hi_u32 s20, s18, 24
	s_mul_i32 s18, s18, 24
	s_add_i32 s19, s20, s19
	v_mov_b32_e32 v2, s19
	v_add_co_u32_e32 v8, vcc, s18, v24
	v_addc_co_u32_e32 v9, vcc, v25, v2, vcc
	global_store_dwordx2 v[8:9], v[12:13], off
	s_waitcnt vmcnt(0)
	global_atomic_cmpswap_x2 v[4:5], v28, v[10:13], s[44:45] offset:32 glc
	s_waitcnt vmcnt(0)
	v_cmp_ne_u64_e32 vcc, v[4:5], v[12:13]
	s_and_saveexec_b64 s[18:19], vcc
	s_cbranch_execz .LBB11_947
; %bb.945:                              ;   in Loop: Header=BB11_880 Depth=1
	s_mov_b64 s[20:21], 0
.LBB11_946:                             ;   Parent Loop BB11_880 Depth=1
                                        ; =>  This Inner Loop Header: Depth=2
	s_sleep 1
	global_store_dwordx2 v[8:9], v[4:5], off
	v_mov_b32_e32 v2, s14
	v_mov_b32_e32 v3, s15
	s_waitcnt vmcnt(0)
	global_atomic_cmpswap_x2 v[2:3], v28, v[2:5], s[44:45] offset:32 glc
	s_waitcnt vmcnt(0)
	v_cmp_eq_u64_e32 vcc, v[2:3], v[4:5]
	v_mov_b32_e32 v5, v3
	s_or_b64 s[20:21], vcc, s[20:21]
	v_mov_b32_e32 v4, v2
	s_andn2_b64 exec, exec, s[20:21]
	s_cbranch_execnz .LBB11_946
.LBB11_947:                             ;   in Loop: Header=BB11_880 Depth=1
	s_or_b64 exec, exec, s[18:19]
	global_load_dwordx2 v[2:3], v28, s[44:45] offset:16
	s_mov_b64 s[20:21], exec
	v_mbcnt_lo_u32_b32 v4, s20, 0
	v_mbcnt_hi_u32_b32 v4, s21, v4
	v_cmp_eq_u32_e32 vcc, 0, v4
	s_and_saveexec_b64 s[18:19], vcc
	s_cbranch_execz .LBB11_949
; %bb.948:                              ;   in Loop: Header=BB11_880 Depth=1
	s_bcnt1_i32_b64 s20, s[20:21]
	v_mov_b32_e32 v27, s20
	s_waitcnt vmcnt(0)
	global_atomic_add_x2 v[2:3], v[27:28], off offset:8
.LBB11_949:                             ;   in Loop: Header=BB11_880 Depth=1
	s_or_b64 exec, exec, s[18:19]
	s_waitcnt vmcnt(0)
	global_load_dwordx2 v[4:5], v[2:3], off offset:16
	s_waitcnt vmcnt(0)
	v_cmp_eq_u64_e32 vcc, 0, v[4:5]
	s_cbranch_vccnz .LBB11_951
; %bb.950:                              ;   in Loop: Header=BB11_880 Depth=1
	global_load_dword v27, v[2:3], off offset:24
	s_waitcnt vmcnt(0)
	v_and_b32_e32 v2, 0xffffff, v27
	v_readfirstlane_b32 m0, v2
	global_store_dwordx2 v[4:5], v[27:28], off
	s_sendmsg sendmsg(MSG_INTERRUPT)
.LBB11_951:                             ;   in Loop: Header=BB11_880 Depth=1
	s_or_b64 exec, exec, s[16:17]
	v_add_co_u32_e32 v2, vcc, v26, v41
	v_addc_co_u32_e32 v3, vcc, 0, v32, vcc
	s_branch .LBB11_955
.LBB11_952:                             ;   in Loop: Header=BB11_955 Depth=2
	s_or_b64 exec, exec, s[16:17]
	v_readfirstlane_b32 s16, v4
	s_cmp_eq_u32 s16, 0
	s_cbranch_scc1 .LBB11_954
; %bb.953:                              ;   in Loop: Header=BB11_955 Depth=2
	s_sleep 1
	s_cbranch_execnz .LBB11_955
	s_branch .LBB11_957
.LBB11_954:                             ;   in Loop: Header=BB11_880 Depth=1
	s_branch .LBB11_957
.LBB11_955:                             ;   Parent Loop BB11_880 Depth=1
                                        ; =>  This Inner Loop Header: Depth=2
	v_mov_b32_e32 v4, 1
	s_and_saveexec_b64 s[16:17], s[4:5]
	s_cbranch_execz .LBB11_952
; %bb.956:                              ;   in Loop: Header=BB11_955 Depth=2
	global_load_dword v4, v[29:30], off offset:20 glc
	s_waitcnt vmcnt(0)
	buffer_wbinvl1_vol
	v_and_b32_e32 v4, 1, v4
	s_branch .LBB11_952
.LBB11_957:                             ;   in Loop: Header=BB11_880 Depth=1
	global_load_dwordx4 v[2:5], v[2:3], off
	s_and_saveexec_b64 s[16:17], s[4:5]
	s_cbranch_execz .LBB11_879
; %bb.958:                              ;   in Loop: Header=BB11_880 Depth=1
	global_load_dwordx2 v[4:5], v28, s[44:45] offset:40
	global_load_dwordx2 v[12:13], v28, s[44:45] offset:24 glc
	global_load_dwordx2 v[14:15], v28, s[44:45]
	v_mov_b32_e32 v9, s15
	s_waitcnt vmcnt(2)
	v_add_co_u32_e32 v10, vcc, 1, v4
	v_addc_co_u32_e32 v11, vcc, 0, v5, vcc
	v_add_co_u32_e32 v8, vcc, s14, v10
	v_addc_co_u32_e32 v9, vcc, v11, v9, vcc
	v_cmp_eq_u64_e32 vcc, 0, v[8:9]
	v_cndmask_b32_e32 v9, v9, v11, vcc
	v_cndmask_b32_e32 v8, v8, v10, vcc
	v_and_b32_e32 v5, v9, v5
	v_and_b32_e32 v4, v8, v4
	v_mul_lo_u32 v5, v5, 24
	v_mul_hi_u32 v11, v4, 24
	v_mul_lo_u32 v4, v4, 24
	s_waitcnt vmcnt(1)
	v_mov_b32_e32 v10, v12
	v_add_u32_e32 v5, v11, v5
	s_waitcnt vmcnt(0)
	v_add_co_u32_e32 v4, vcc, v14, v4
	v_addc_co_u32_e32 v5, vcc, v15, v5, vcc
	global_store_dwordx2 v[4:5], v[12:13], off
	v_mov_b32_e32 v11, v13
	s_waitcnt vmcnt(0)
	global_atomic_cmpswap_x2 v[10:11], v28, v[8:11], s[44:45] offset:24 glc
	s_waitcnt vmcnt(0)
	v_cmp_ne_u64_e32 vcc, v[10:11], v[12:13]
	s_and_b64 exec, exec, vcc
	s_cbranch_execz .LBB11_879
; %bb.959:                              ;   in Loop: Header=BB11_880 Depth=1
	s_mov_b64 s[4:5], 0
.LBB11_960:                             ;   Parent Loop BB11_880 Depth=1
                                        ; =>  This Inner Loop Header: Depth=2
	s_sleep 1
	global_store_dwordx2 v[4:5], v[10:11], off
	s_waitcnt vmcnt(0)
	global_atomic_cmpswap_x2 v[12:13], v28, v[8:11], s[44:45] offset:24 glc
	s_waitcnt vmcnt(0)
	v_cmp_eq_u64_e32 vcc, v[12:13], v[10:11]
	v_mov_b32_e32 v10, v12
	s_or_b64 s[4:5], vcc, s[4:5]
	v_mov_b32_e32 v11, v13
	s_andn2_b64 exec, exec, s[4:5]
	s_cbranch_execnz .LBB11_960
	s_branch .LBB11_879
.LBB11_961:
	s_mov_b64 s[4:5], 0
	s_branch .LBB11_963
.LBB11_962:
	s_mov_b64 s[4:5], -1
                                        ; implicit-def: $vgpr2_vgpr3
.LBB11_963:
	s_and_b64 vcc, exec, s[4:5]
	s_cbranch_vccz .LBB11_990
; %bb.964:
	v_readfirstlane_b32 s4, v42
	v_mov_b32_e32 v8, 0
	v_mov_b32_e32 v9, 0
	v_cmp_eq_u32_e64 s[4:5], s4, v42
	s_and_saveexec_b64 s[8:9], s[4:5]
	s_cbranch_execz .LBB11_970
; %bb.965:
	s_waitcnt vmcnt(0)
	v_mov_b32_e32 v2, 0
	global_load_dwordx2 v[5:6], v2, s[44:45] offset:24 glc
	s_waitcnt vmcnt(0)
	buffer_wbinvl1_vol
	global_load_dwordx2 v[3:4], v2, s[44:45] offset:40
	global_load_dwordx2 v[7:8], v2, s[44:45]
	s_waitcnt vmcnt(1)
	v_and_b32_e32 v3, v3, v5
	v_and_b32_e32 v4, v4, v6
	v_mul_lo_u32 v4, v4, 24
	v_mul_hi_u32 v9, v3, 24
	v_mul_lo_u32 v3, v3, 24
	v_add_u32_e32 v4, v9, v4
	s_waitcnt vmcnt(0)
	v_add_co_u32_e32 v3, vcc, v7, v3
	v_addc_co_u32_e32 v4, vcc, v8, v4, vcc
	global_load_dwordx2 v[3:4], v[3:4], off glc
	s_waitcnt vmcnt(0)
	global_atomic_cmpswap_x2 v[8:9], v2, v[3:6], s[44:45] offset:24 glc
	s_waitcnt vmcnt(0)
	buffer_wbinvl1_vol
	v_cmp_ne_u64_e32 vcc, v[8:9], v[5:6]
	s_and_saveexec_b64 s[10:11], vcc
	s_cbranch_execz .LBB11_969
; %bb.966:
	s_mov_b64 s[12:13], 0
.LBB11_967:                             ; =>This Inner Loop Header: Depth=1
	s_sleep 1
	global_load_dwordx2 v[3:4], v2, s[44:45] offset:40
	global_load_dwordx2 v[10:11], v2, s[44:45]
	v_mov_b32_e32 v5, v8
	v_mov_b32_e32 v6, v9
	s_waitcnt vmcnt(1)
	v_and_b32_e32 v3, v3, v5
	s_waitcnt vmcnt(0)
	v_mad_u64_u32 v[7:8], s[14:15], v3, 24, v[10:11]
	v_and_b32_e32 v4, v4, v6
	v_mov_b32_e32 v3, v8
	v_mad_u64_u32 v[3:4], s[14:15], v4, 24, v[3:4]
	v_mov_b32_e32 v8, v3
	global_load_dwordx2 v[3:4], v[7:8], off glc
	s_waitcnt vmcnt(0)
	global_atomic_cmpswap_x2 v[8:9], v2, v[3:6], s[44:45] offset:24 glc
	s_waitcnt vmcnt(0)
	buffer_wbinvl1_vol
	v_cmp_eq_u64_e32 vcc, v[8:9], v[5:6]
	s_or_b64 s[12:13], vcc, s[12:13]
	s_andn2_b64 exec, exec, s[12:13]
	s_cbranch_execnz .LBB11_967
; %bb.968:
	s_or_b64 exec, exec, s[12:13]
.LBB11_969:
	s_or_b64 exec, exec, s[10:11]
.LBB11_970:
	s_or_b64 exec, exec, s[8:9]
	s_waitcnt vmcnt(0)
	v_mov_b32_e32 v2, 0
	global_load_dwordx2 v[10:11], v2, s[44:45] offset:40
	global_load_dwordx4 v[4:7], v2, s[44:45]
	v_readfirstlane_b32 s8, v8
	v_readfirstlane_b32 s9, v9
	s_mov_b64 s[10:11], exec
	s_waitcnt vmcnt(1)
	v_readfirstlane_b32 s12, v10
	v_readfirstlane_b32 s13, v11
	s_and_b64 s[12:13], s[8:9], s[12:13]
	s_mul_i32 s14, s13, 24
	s_mul_hi_u32 s15, s12, 24
	s_mul_i32 s16, s12, 24
	s_add_i32 s14, s15, s14
	v_mov_b32_e32 v3, s14
	s_waitcnt vmcnt(0)
	v_add_co_u32_e32 v8, vcc, s16, v4
	v_addc_co_u32_e32 v9, vcc, v5, v3, vcc
	s_and_saveexec_b64 s[14:15], s[4:5]
	s_cbranch_execz .LBB11_972
; %bb.971:
	v_mov_b32_e32 v10, s10
	v_mov_b32_e32 v11, s11
	;; [unrolled: 1-line block ×4, first 2 shown]
	global_store_dwordx4 v[8:9], v[10:13], off offset:8
.LBB11_972:
	s_or_b64 exec, exec, s[14:15]
	s_lshl_b64 s[10:11], s[12:13], 12
	v_mov_b32_e32 v3, s11
	v_add_co_u32_e32 v10, vcc, s10, v6
	v_addc_co_u32_e32 v11, vcc, v7, v3, vcc
	s_movk_i32 s10, 0xff1f
	v_and_or_b32 v0, v0, s10, 32
	s_mov_b32 s12, 0
	v_mov_b32_e32 v3, v2
	v_readfirstlane_b32 s10, v10
	v_readfirstlane_b32 s11, v11
	v_add_co_u32_e32 v6, vcc, v10, v41
	s_mov_b32 s13, s12
	s_mov_b32 s14, s12
	;; [unrolled: 1-line block ×3, first 2 shown]
	s_nop 0
	global_store_dwordx4 v41, v[0:3], s[10:11]
	v_addc_co_u32_e32 v7, vcc, 0, v11, vcc
	v_mov_b32_e32 v0, s12
	v_mov_b32_e32 v1, s13
	;; [unrolled: 1-line block ×4, first 2 shown]
	global_store_dwordx4 v41, v[0:3], s[10:11] offset:16
	global_store_dwordx4 v41, v[0:3], s[10:11] offset:32
	;; [unrolled: 1-line block ×3, first 2 shown]
	s_and_saveexec_b64 s[10:11], s[4:5]
	s_cbranch_execz .LBB11_980
; %bb.973:
	v_mov_b32_e32 v10, 0
	global_load_dwordx2 v[13:14], v10, s[44:45] offset:32 glc
	global_load_dwordx2 v[0:1], v10, s[44:45] offset:40
	v_mov_b32_e32 v11, s8
	v_mov_b32_e32 v12, s9
	s_waitcnt vmcnt(0)
	v_readfirstlane_b32 s12, v0
	v_readfirstlane_b32 s13, v1
	s_and_b64 s[12:13], s[12:13], s[8:9]
	s_mul_i32 s13, s13, 24
	s_mul_hi_u32 s14, s12, 24
	s_mul_i32 s12, s12, 24
	s_add_i32 s13, s14, s13
	v_mov_b32_e32 v0, s13
	v_add_co_u32_e32 v4, vcc, s12, v4
	v_addc_co_u32_e32 v5, vcc, v5, v0, vcc
	global_store_dwordx2 v[4:5], v[13:14], off
	s_waitcnt vmcnt(0)
	global_atomic_cmpswap_x2 v[2:3], v10, v[11:14], s[44:45] offset:32 glc
	s_waitcnt vmcnt(0)
	v_cmp_ne_u64_e32 vcc, v[2:3], v[13:14]
	s_and_saveexec_b64 s[12:13], vcc
	s_cbranch_execz .LBB11_976
; %bb.974:
	s_mov_b64 s[14:15], 0
.LBB11_975:                             ; =>This Inner Loop Header: Depth=1
	s_sleep 1
	global_store_dwordx2 v[4:5], v[2:3], off
	v_mov_b32_e32 v0, s8
	v_mov_b32_e32 v1, s9
	s_waitcnt vmcnt(0)
	global_atomic_cmpswap_x2 v[0:1], v10, v[0:3], s[44:45] offset:32 glc
	s_waitcnt vmcnt(0)
	v_cmp_eq_u64_e32 vcc, v[0:1], v[2:3]
	v_mov_b32_e32 v3, v1
	s_or_b64 s[14:15], vcc, s[14:15]
	v_mov_b32_e32 v2, v0
	s_andn2_b64 exec, exec, s[14:15]
	s_cbranch_execnz .LBB11_975
.LBB11_976:
	s_or_b64 exec, exec, s[12:13]
	v_mov_b32_e32 v3, 0
	global_load_dwordx2 v[0:1], v3, s[44:45] offset:16
	s_mov_b64 s[12:13], exec
	v_mbcnt_lo_u32_b32 v2, s12, 0
	v_mbcnt_hi_u32_b32 v2, s13, v2
	v_cmp_eq_u32_e32 vcc, 0, v2
	s_and_saveexec_b64 s[14:15], vcc
	s_cbranch_execz .LBB11_978
; %bb.977:
	s_bcnt1_i32_b64 s12, s[12:13]
	v_mov_b32_e32 v2, s12
	s_waitcnt vmcnt(0)
	global_atomic_add_x2 v[0:1], v[2:3], off offset:8
.LBB11_978:
	s_or_b64 exec, exec, s[14:15]
	s_waitcnt vmcnt(0)
	global_load_dwordx2 v[2:3], v[0:1], off offset:16
	s_waitcnt vmcnt(0)
	v_cmp_eq_u64_e32 vcc, 0, v[2:3]
	s_cbranch_vccnz .LBB11_980
; %bb.979:
	global_load_dword v0, v[0:1], off offset:24
	v_mov_b32_e32 v1, 0
	s_waitcnt vmcnt(0)
	global_store_dwordx2 v[2:3], v[0:1], off
	v_and_b32_e32 v0, 0xffffff, v0
	v_readfirstlane_b32 m0, v0
	s_sendmsg sendmsg(MSG_INTERRUPT)
.LBB11_980:
	s_or_b64 exec, exec, s[10:11]
	s_branch .LBB11_984
.LBB11_981:                             ;   in Loop: Header=BB11_984 Depth=1
	s_or_b64 exec, exec, s[10:11]
	v_readfirstlane_b32 s10, v0
	s_cmp_eq_u32 s10, 0
	s_cbranch_scc1 .LBB11_983
; %bb.982:                              ;   in Loop: Header=BB11_984 Depth=1
	s_sleep 1
	s_cbranch_execnz .LBB11_984
	s_branch .LBB11_986
.LBB11_983:
	s_branch .LBB11_986
.LBB11_984:                             ; =>This Inner Loop Header: Depth=1
	v_mov_b32_e32 v0, 1
	s_and_saveexec_b64 s[10:11], s[4:5]
	s_cbranch_execz .LBB11_981
; %bb.985:                              ;   in Loop: Header=BB11_984 Depth=1
	global_load_dword v0, v[8:9], off offset:20 glc
	s_waitcnt vmcnt(0)
	buffer_wbinvl1_vol
	v_and_b32_e32 v0, 1, v0
	s_branch .LBB11_981
.LBB11_986:
	global_load_dwordx2 v[2:3], v[6:7], off
	s_and_saveexec_b64 s[10:11], s[4:5]
	s_cbranch_execz .LBB11_989
; %bb.987:
	v_mov_b32_e32 v8, 0
	global_load_dwordx2 v[0:1], v8, s[44:45] offset:40
	global_load_dwordx2 v[9:10], v8, s[44:45] offset:24 glc
	global_load_dwordx2 v[11:12], v8, s[44:45]
	v_mov_b32_e32 v5, s9
	s_mov_b64 s[4:5], 0
	s_waitcnt vmcnt(2)
	v_add_co_u32_e32 v6, vcc, 1, v0
	v_addc_co_u32_e32 v7, vcc, 0, v1, vcc
	v_add_co_u32_e32 v4, vcc, s8, v6
	v_addc_co_u32_e32 v5, vcc, v7, v5, vcc
	v_cmp_eq_u64_e32 vcc, 0, v[4:5]
	v_cndmask_b32_e32 v5, v5, v7, vcc
	v_cndmask_b32_e32 v4, v4, v6, vcc
	v_and_b32_e32 v1, v5, v1
	v_and_b32_e32 v0, v4, v0
	v_mul_lo_u32 v1, v1, 24
	v_mul_hi_u32 v7, v0, 24
	v_mul_lo_u32 v0, v0, 24
	s_waitcnt vmcnt(1)
	v_mov_b32_e32 v6, v9
	v_add_u32_e32 v1, v7, v1
	s_waitcnt vmcnt(0)
	v_add_co_u32_e32 v0, vcc, v11, v0
	v_addc_co_u32_e32 v1, vcc, v12, v1, vcc
	global_store_dwordx2 v[0:1], v[9:10], off
	v_mov_b32_e32 v7, v10
	s_waitcnt vmcnt(0)
	global_atomic_cmpswap_x2 v[6:7], v8, v[4:7], s[44:45] offset:24 glc
	s_waitcnt vmcnt(0)
	v_cmp_ne_u64_e32 vcc, v[6:7], v[9:10]
	s_and_b64 exec, exec, vcc
	s_cbranch_execz .LBB11_989
.LBB11_988:                             ; =>This Inner Loop Header: Depth=1
	s_sleep 1
	global_store_dwordx2 v[0:1], v[6:7], off
	s_waitcnt vmcnt(0)
	global_atomic_cmpswap_x2 v[9:10], v8, v[4:7], s[44:45] offset:24 glc
	s_waitcnt vmcnt(0)
	v_cmp_eq_u64_e32 vcc, v[9:10], v[6:7]
	v_mov_b32_e32 v6, v9
	s_or_b64 s[4:5], vcc, s[4:5]
	v_mov_b32_e32 v7, v10
	s_andn2_b64 exec, exec, s[4:5]
	s_cbranch_execnz .LBB11_988
.LBB11_989:
	s_or_b64 exec, exec, s[10:11]
.LBB11_990:
	v_readfirstlane_b32 s4, v42
	s_waitcnt vmcnt(0)
	v_mov_b32_e32 v0, 0
	v_mov_b32_e32 v1, 0
	v_cmp_eq_u32_e64 s[4:5], s4, v42
	s_and_saveexec_b64 s[8:9], s[4:5]
	s_cbranch_execz .LBB11_996
; %bb.991:
	v_mov_b32_e32 v4, 0
	global_load_dwordx2 v[7:8], v4, s[44:45] offset:24 glc
	s_waitcnt vmcnt(0)
	buffer_wbinvl1_vol
	global_load_dwordx2 v[0:1], v4, s[44:45] offset:40
	global_load_dwordx2 v[5:6], v4, s[44:45]
	s_waitcnt vmcnt(1)
	v_and_b32_e32 v0, v0, v7
	v_and_b32_e32 v1, v1, v8
	v_mul_lo_u32 v1, v1, 24
	v_mul_hi_u32 v9, v0, 24
	v_mul_lo_u32 v0, v0, 24
	v_add_u32_e32 v1, v9, v1
	s_waitcnt vmcnt(0)
	v_add_co_u32_e32 v0, vcc, v5, v0
	v_addc_co_u32_e32 v1, vcc, v6, v1, vcc
	global_load_dwordx2 v[5:6], v[0:1], off glc
	s_waitcnt vmcnt(0)
	global_atomic_cmpswap_x2 v[0:1], v4, v[5:8], s[44:45] offset:24 glc
	s_waitcnt vmcnt(0)
	buffer_wbinvl1_vol
	v_cmp_ne_u64_e32 vcc, v[0:1], v[7:8]
	s_and_saveexec_b64 s[10:11], vcc
	s_cbranch_execz .LBB11_995
; %bb.992:
	s_mov_b64 s[12:13], 0
.LBB11_993:                             ; =>This Inner Loop Header: Depth=1
	s_sleep 1
	global_load_dwordx2 v[5:6], v4, s[44:45] offset:40
	global_load_dwordx2 v[9:10], v4, s[44:45]
	v_mov_b32_e32 v8, v1
	v_mov_b32_e32 v7, v0
	s_waitcnt vmcnt(1)
	v_and_b32_e32 v0, v5, v7
	s_waitcnt vmcnt(0)
	v_mad_u64_u32 v[0:1], s[14:15], v0, 24, v[9:10]
	v_and_b32_e32 v5, v6, v8
	v_mad_u64_u32 v[5:6], s[14:15], v5, 24, v[1:2]
	v_mov_b32_e32 v1, v5
	global_load_dwordx2 v[5:6], v[0:1], off glc
	s_waitcnt vmcnt(0)
	global_atomic_cmpswap_x2 v[0:1], v4, v[5:8], s[44:45] offset:24 glc
	s_waitcnt vmcnt(0)
	buffer_wbinvl1_vol
	v_cmp_eq_u64_e32 vcc, v[0:1], v[7:8]
	s_or_b64 s[12:13], vcc, s[12:13]
	s_andn2_b64 exec, exec, s[12:13]
	s_cbranch_execnz .LBB11_993
; %bb.994:
	s_or_b64 exec, exec, s[12:13]
.LBB11_995:
	s_or_b64 exec, exec, s[10:11]
.LBB11_996:
	s_or_b64 exec, exec, s[8:9]
	v_mov_b32_e32 v5, 0
	global_load_dwordx2 v[10:11], v5, s[44:45] offset:40
	global_load_dwordx4 v[6:9], v5, s[44:45]
	v_readfirstlane_b32 s8, v0
	v_readfirstlane_b32 s9, v1
	s_mov_b64 s[10:11], exec
	s_waitcnt vmcnt(1)
	v_readfirstlane_b32 s12, v10
	v_readfirstlane_b32 s13, v11
	s_and_b64 s[12:13], s[8:9], s[12:13]
	s_mul_i32 s14, s13, 24
	s_mul_hi_u32 s15, s12, 24
	s_mul_i32 s16, s12, 24
	s_add_i32 s14, s15, s14
	v_mov_b32_e32 v0, s14
	s_waitcnt vmcnt(0)
	v_add_co_u32_e32 v10, vcc, s16, v6
	v_addc_co_u32_e32 v11, vcc, v7, v0, vcc
	s_and_saveexec_b64 s[14:15], s[4:5]
	s_cbranch_execz .LBB11_998
; %bb.997:
	v_mov_b32_e32 v13, s11
	v_mov_b32_e32 v12, s10
	;; [unrolled: 1-line block ×4, first 2 shown]
	global_store_dwordx4 v[10:11], v[12:15], off offset:8
.LBB11_998:
	s_or_b64 exec, exec, s[14:15]
	s_lshl_b64 s[10:11], s[12:13], 12
	v_mov_b32_e32 v0, s11
	v_add_co_u32_e32 v1, vcc, s10, v8
	v_addc_co_u32_e32 v0, vcc, v9, v0, vcc
	s_movk_i32 s10, 0xff1d
	v_and_or_b32 v2, v2, s10, 34
	s_mov_b32 s12, 0
	v_mov_b32_e32 v4, 0x390
	v_readfirstlane_b32 s10, v1
	v_readfirstlane_b32 s11, v0
	s_mov_b32 s13, s12
	s_mov_b32 s14, s12
	;; [unrolled: 1-line block ×3, first 2 shown]
	s_nop 1
	global_store_dwordx4 v41, v[2:5], s[10:11]
	v_mov_b32_e32 v0, s12
	v_mov_b32_e32 v1, s13
	;; [unrolled: 1-line block ×4, first 2 shown]
	global_store_dwordx4 v41, v[0:3], s[10:11] offset:16
	global_store_dwordx4 v41, v[0:3], s[10:11] offset:32
	global_store_dwordx4 v41, v[0:3], s[10:11] offset:48
	s_and_saveexec_b64 s[10:11], s[4:5]
	s_cbranch_execz .LBB11_1006
; %bb.999:
	v_mov_b32_e32 v8, 0
	global_load_dwordx2 v[14:15], v8, s[44:45] offset:32 glc
	global_load_dwordx2 v[0:1], v8, s[44:45] offset:40
	v_mov_b32_e32 v12, s8
	v_mov_b32_e32 v13, s9
	s_waitcnt vmcnt(0)
	v_readfirstlane_b32 s12, v0
	v_readfirstlane_b32 s13, v1
	s_and_b64 s[12:13], s[12:13], s[8:9]
	s_mul_i32 s13, s13, 24
	s_mul_hi_u32 s14, s12, 24
	s_mul_i32 s12, s12, 24
	s_add_i32 s13, s14, s13
	v_mov_b32_e32 v0, s13
	v_add_co_u32_e32 v4, vcc, s12, v6
	v_addc_co_u32_e32 v5, vcc, v7, v0, vcc
	global_store_dwordx2 v[4:5], v[14:15], off
	s_waitcnt vmcnt(0)
	global_atomic_cmpswap_x2 v[2:3], v8, v[12:15], s[44:45] offset:32 glc
	s_waitcnt vmcnt(0)
	v_cmp_ne_u64_e32 vcc, v[2:3], v[14:15]
	s_and_saveexec_b64 s[12:13], vcc
	s_cbranch_execz .LBB11_1002
; %bb.1000:
	s_mov_b64 s[14:15], 0
.LBB11_1001:                            ; =>This Inner Loop Header: Depth=1
	s_sleep 1
	global_store_dwordx2 v[4:5], v[2:3], off
	v_mov_b32_e32 v0, s8
	v_mov_b32_e32 v1, s9
	s_waitcnt vmcnt(0)
	global_atomic_cmpswap_x2 v[0:1], v8, v[0:3], s[44:45] offset:32 glc
	s_waitcnt vmcnt(0)
	v_cmp_eq_u64_e32 vcc, v[0:1], v[2:3]
	v_mov_b32_e32 v3, v1
	s_or_b64 s[14:15], vcc, s[14:15]
	v_mov_b32_e32 v2, v0
	s_andn2_b64 exec, exec, s[14:15]
	s_cbranch_execnz .LBB11_1001
.LBB11_1002:
	s_or_b64 exec, exec, s[12:13]
	v_mov_b32_e32 v3, 0
	global_load_dwordx2 v[0:1], v3, s[44:45] offset:16
	s_mov_b64 s[12:13], exec
	v_mbcnt_lo_u32_b32 v2, s12, 0
	v_mbcnt_hi_u32_b32 v2, s13, v2
	v_cmp_eq_u32_e32 vcc, 0, v2
	s_and_saveexec_b64 s[14:15], vcc
	s_cbranch_execz .LBB11_1004
; %bb.1003:
	s_bcnt1_i32_b64 s12, s[12:13]
	v_mov_b32_e32 v2, s12
	s_waitcnt vmcnt(0)
	global_atomic_add_x2 v[0:1], v[2:3], off offset:8
.LBB11_1004:
	s_or_b64 exec, exec, s[14:15]
	s_waitcnt vmcnt(0)
	global_load_dwordx2 v[2:3], v[0:1], off offset:16
	s_waitcnt vmcnt(0)
	v_cmp_eq_u64_e32 vcc, 0, v[2:3]
	s_cbranch_vccnz .LBB11_1006
; %bb.1005:
	global_load_dword v0, v[0:1], off offset:24
	v_mov_b32_e32 v1, 0
	s_waitcnt vmcnt(0)
	global_store_dwordx2 v[2:3], v[0:1], off
	v_and_b32_e32 v0, 0xffffff, v0
	v_readfirstlane_b32 m0, v0
	s_sendmsg sendmsg(MSG_INTERRUPT)
.LBB11_1006:
	s_or_b64 exec, exec, s[10:11]
	s_branch .LBB11_1010
.LBB11_1007:                            ;   in Loop: Header=BB11_1010 Depth=1
	s_or_b64 exec, exec, s[10:11]
	v_readfirstlane_b32 s10, v0
	s_cmp_eq_u32 s10, 0
	s_cbranch_scc1 .LBB11_1009
; %bb.1008:                             ;   in Loop: Header=BB11_1010 Depth=1
	s_sleep 1
	s_cbranch_execnz .LBB11_1010
	s_branch .LBB11_1012
.LBB11_1009:
	s_branch .LBB11_1012
.LBB11_1010:                            ; =>This Inner Loop Header: Depth=1
	v_mov_b32_e32 v0, 1
	s_and_saveexec_b64 s[10:11], s[4:5]
	s_cbranch_execz .LBB11_1007
; %bb.1011:                             ;   in Loop: Header=BB11_1010 Depth=1
	global_load_dword v0, v[10:11], off offset:20 glc
	s_waitcnt vmcnt(0)
	buffer_wbinvl1_vol
	v_and_b32_e32 v0, 1, v0
	s_branch .LBB11_1007
.LBB11_1012:
	s_and_saveexec_b64 s[10:11], s[4:5]
	s_cbranch_execz .LBB11_1015
; %bb.1013:
	v_mov_b32_e32 v6, 0
	global_load_dwordx2 v[2:3], v6, s[44:45] offset:40
	global_load_dwordx2 v[7:8], v6, s[44:45] offset:24 glc
	global_load_dwordx2 v[4:5], v6, s[44:45]
	v_mov_b32_e32 v1, s9
	s_mov_b64 s[4:5], 0
	s_waitcnt vmcnt(2)
	v_add_co_u32_e32 v9, vcc, 1, v2
	v_addc_co_u32_e32 v10, vcc, 0, v3, vcc
	v_add_co_u32_e32 v0, vcc, s8, v9
	v_addc_co_u32_e32 v1, vcc, v10, v1, vcc
	v_cmp_eq_u64_e32 vcc, 0, v[0:1]
	v_cndmask_b32_e32 v1, v1, v10, vcc
	v_cndmask_b32_e32 v0, v0, v9, vcc
	v_and_b32_e32 v3, v1, v3
	v_and_b32_e32 v2, v0, v2
	v_mul_lo_u32 v3, v3, 24
	v_mul_hi_u32 v9, v2, 24
	v_mul_lo_u32 v10, v2, 24
	s_waitcnt vmcnt(1)
	v_mov_b32_e32 v2, v7
	v_add_u32_e32 v3, v9, v3
	s_waitcnt vmcnt(0)
	v_add_co_u32_e32 v4, vcc, v4, v10
	v_addc_co_u32_e32 v5, vcc, v5, v3, vcc
	global_store_dwordx2 v[4:5], v[7:8], off
	v_mov_b32_e32 v3, v8
	s_waitcnt vmcnt(0)
	global_atomic_cmpswap_x2 v[2:3], v6, v[0:3], s[44:45] offset:24 glc
	s_waitcnt vmcnt(0)
	v_cmp_ne_u64_e32 vcc, v[2:3], v[7:8]
	s_and_b64 exec, exec, vcc
	s_cbranch_execz .LBB11_1015
.LBB11_1014:                            ; =>This Inner Loop Header: Depth=1
	s_sleep 1
	global_store_dwordx2 v[4:5], v[2:3], off
	s_waitcnt vmcnt(0)
	global_atomic_cmpswap_x2 v[7:8], v6, v[0:3], s[44:45] offset:24 glc
	s_waitcnt vmcnt(0)
	v_cmp_eq_u64_e32 vcc, v[7:8], v[2:3]
	v_mov_b32_e32 v2, v7
	s_or_b64 s[4:5], vcc, s[4:5]
	v_mov_b32_e32 v3, v8
	s_andn2_b64 exec, exec, s[4:5]
	s_cbranch_execnz .LBB11_1014
.LBB11_1015:
	s_or_b64 exec, exec, s[10:11]
	v_readfirstlane_b32 s4, v42
	v_mov_b32_e32 v5, 0
	v_mov_b32_e32 v6, 0
	v_cmp_eq_u32_e64 s[4:5], s4, v42
	s_and_saveexec_b64 s[8:9], s[4:5]
	s_cbranch_execz .LBB11_1021
; %bb.1016:
	v_mov_b32_e32 v0, 0
	global_load_dwordx2 v[3:4], v0, s[44:45] offset:24 glc
	s_waitcnt vmcnt(0)
	buffer_wbinvl1_vol
	global_load_dwordx2 v[1:2], v0, s[44:45] offset:40
	global_load_dwordx2 v[5:6], v0, s[44:45]
	s_waitcnt vmcnt(1)
	v_and_b32_e32 v1, v1, v3
	v_and_b32_e32 v2, v2, v4
	v_mul_lo_u32 v2, v2, 24
	v_mul_hi_u32 v7, v1, 24
	v_mul_lo_u32 v1, v1, 24
	v_add_u32_e32 v2, v7, v2
	s_waitcnt vmcnt(0)
	v_add_co_u32_e32 v1, vcc, v5, v1
	v_addc_co_u32_e32 v2, vcc, v6, v2, vcc
	global_load_dwordx2 v[1:2], v[1:2], off glc
	s_waitcnt vmcnt(0)
	global_atomic_cmpswap_x2 v[5:6], v0, v[1:4], s[44:45] offset:24 glc
	s_waitcnt vmcnt(0)
	buffer_wbinvl1_vol
	v_cmp_ne_u64_e32 vcc, v[5:6], v[3:4]
	s_and_saveexec_b64 s[10:11], vcc
	s_cbranch_execz .LBB11_1020
; %bb.1017:
	s_mov_b64 s[12:13], 0
.LBB11_1018:                            ; =>This Inner Loop Header: Depth=1
	s_sleep 1
	global_load_dwordx2 v[1:2], v0, s[44:45] offset:40
	global_load_dwordx2 v[7:8], v0, s[44:45]
	v_mov_b32_e32 v3, v5
	v_mov_b32_e32 v4, v6
	s_waitcnt vmcnt(1)
	v_and_b32_e32 v1, v1, v3
	s_waitcnt vmcnt(0)
	v_mad_u64_u32 v[5:6], s[14:15], v1, 24, v[7:8]
	v_and_b32_e32 v2, v2, v4
	v_mov_b32_e32 v1, v6
	v_mad_u64_u32 v[1:2], s[14:15], v2, 24, v[1:2]
	v_mov_b32_e32 v6, v1
	global_load_dwordx2 v[1:2], v[5:6], off glc
	s_waitcnt vmcnt(0)
	global_atomic_cmpswap_x2 v[5:6], v0, v[1:4], s[44:45] offset:24 glc
	s_waitcnt vmcnt(0)
	buffer_wbinvl1_vol
	v_cmp_eq_u64_e32 vcc, v[5:6], v[3:4]
	s_or_b64 s[12:13], vcc, s[12:13]
	s_andn2_b64 exec, exec, s[12:13]
	s_cbranch_execnz .LBB11_1018
; %bb.1019:
	s_or_b64 exec, exec, s[12:13]
.LBB11_1020:
	s_or_b64 exec, exec, s[10:11]
.LBB11_1021:
	s_or_b64 exec, exec, s[8:9]
	v_mov_b32_e32 v4, 0
	global_load_dwordx2 v[7:8], v4, s[44:45] offset:40
	global_load_dwordx4 v[0:3], v4, s[44:45]
	v_readfirstlane_b32 s8, v5
	v_readfirstlane_b32 s9, v6
	s_mov_b64 s[10:11], exec
	s_waitcnt vmcnt(1)
	v_readfirstlane_b32 s12, v7
	v_readfirstlane_b32 s13, v8
	s_and_b64 s[12:13], s[8:9], s[12:13]
	s_mul_i32 s14, s13, 24
	s_mul_hi_u32 s15, s12, 24
	s_mul_i32 s16, s12, 24
	s_add_i32 s14, s15, s14
	v_mov_b32_e32 v5, s14
	s_waitcnt vmcnt(0)
	v_add_co_u32_e32 v7, vcc, s16, v0
	v_addc_co_u32_e32 v8, vcc, v1, v5, vcc
	s_and_saveexec_b64 s[14:15], s[4:5]
	s_cbranch_execz .LBB11_1023
; %bb.1022:
	v_mov_b32_e32 v9, s10
	v_mov_b32_e32 v10, s11
	;; [unrolled: 1-line block ×4, first 2 shown]
	global_store_dwordx4 v[7:8], v[9:12], off offset:8
.LBB11_1023:
	s_or_b64 exec, exec, s[14:15]
	s_lshl_b64 s[10:11], s[12:13], 12
	v_mov_b32_e32 v5, s11
	v_add_co_u32_e32 v2, vcc, s10, v2
	v_addc_co_u32_e32 v11, vcc, v3, v5, vcc
	s_mov_b32 s12, 0
	v_mov_b32_e32 v3, 33
	v_mov_b32_e32 v5, v4
	;; [unrolled: 1-line block ×3, first 2 shown]
	v_readfirstlane_b32 s10, v2
	v_readfirstlane_b32 s11, v11
	v_add_co_u32_e32 v9, vcc, v2, v41
	s_mov_b32 s13, s12
	s_mov_b32 s14, s12
	;; [unrolled: 1-line block ×3, first 2 shown]
	s_nop 0
	global_store_dwordx4 v41, v[3:6], s[10:11]
	v_mov_b32_e32 v2, s12
	v_addc_co_u32_e32 v10, vcc, 0, v11, vcc
	v_mov_b32_e32 v3, s13
	v_mov_b32_e32 v4, s14
	;; [unrolled: 1-line block ×3, first 2 shown]
	global_store_dwordx4 v41, v[2:5], s[10:11] offset:16
	global_store_dwordx4 v41, v[2:5], s[10:11] offset:32
	;; [unrolled: 1-line block ×3, first 2 shown]
	s_and_saveexec_b64 s[10:11], s[4:5]
	s_cbranch_execz .LBB11_1031
; %bb.1024:
	v_mov_b32_e32 v6, 0
	global_load_dwordx2 v[13:14], v6, s[44:45] offset:32 glc
	global_load_dwordx2 v[2:3], v6, s[44:45] offset:40
	v_mov_b32_e32 v11, s8
	v_mov_b32_e32 v12, s9
	s_waitcnt vmcnt(0)
	v_readfirstlane_b32 s12, v2
	v_readfirstlane_b32 s13, v3
	s_and_b64 s[12:13], s[12:13], s[8:9]
	s_mul_i32 s13, s13, 24
	s_mul_hi_u32 s14, s12, 24
	s_mul_i32 s12, s12, 24
	s_add_i32 s13, s14, s13
	v_mov_b32_e32 v2, s13
	v_add_co_u32_e32 v4, vcc, s12, v0
	v_addc_co_u32_e32 v5, vcc, v1, v2, vcc
	global_store_dwordx2 v[4:5], v[13:14], off
	s_waitcnt vmcnt(0)
	global_atomic_cmpswap_x2 v[2:3], v6, v[11:14], s[44:45] offset:32 glc
	s_waitcnt vmcnt(0)
	v_cmp_ne_u64_e32 vcc, v[2:3], v[13:14]
	s_and_saveexec_b64 s[12:13], vcc
	s_cbranch_execz .LBB11_1027
; %bb.1025:
	s_mov_b64 s[14:15], 0
.LBB11_1026:                            ; =>This Inner Loop Header: Depth=1
	s_sleep 1
	global_store_dwordx2 v[4:5], v[2:3], off
	v_mov_b32_e32 v0, s8
	v_mov_b32_e32 v1, s9
	s_waitcnt vmcnt(0)
	global_atomic_cmpswap_x2 v[0:1], v6, v[0:3], s[44:45] offset:32 glc
	s_waitcnt vmcnt(0)
	v_cmp_eq_u64_e32 vcc, v[0:1], v[2:3]
	v_mov_b32_e32 v3, v1
	s_or_b64 s[14:15], vcc, s[14:15]
	v_mov_b32_e32 v2, v0
	s_andn2_b64 exec, exec, s[14:15]
	s_cbranch_execnz .LBB11_1026
.LBB11_1027:
	s_or_b64 exec, exec, s[12:13]
	v_mov_b32_e32 v3, 0
	global_load_dwordx2 v[0:1], v3, s[44:45] offset:16
	s_mov_b64 s[12:13], exec
	v_mbcnt_lo_u32_b32 v2, s12, 0
	v_mbcnt_hi_u32_b32 v2, s13, v2
	v_cmp_eq_u32_e32 vcc, 0, v2
	s_and_saveexec_b64 s[14:15], vcc
	s_cbranch_execz .LBB11_1029
; %bb.1028:
	s_bcnt1_i32_b64 s12, s[12:13]
	v_mov_b32_e32 v2, s12
	s_waitcnt vmcnt(0)
	global_atomic_add_x2 v[0:1], v[2:3], off offset:8
.LBB11_1029:
	s_or_b64 exec, exec, s[14:15]
	s_waitcnt vmcnt(0)
	global_load_dwordx2 v[2:3], v[0:1], off offset:16
	s_waitcnt vmcnt(0)
	v_cmp_eq_u64_e32 vcc, 0, v[2:3]
	s_cbranch_vccnz .LBB11_1031
; %bb.1030:
	global_load_dword v0, v[0:1], off offset:24
	v_mov_b32_e32 v1, 0
	s_waitcnt vmcnt(0)
	global_store_dwordx2 v[2:3], v[0:1], off
	v_and_b32_e32 v0, 0xffffff, v0
	v_readfirstlane_b32 m0, v0
	s_sendmsg sendmsg(MSG_INTERRUPT)
.LBB11_1031:
	s_or_b64 exec, exec, s[10:11]
	s_branch .LBB11_1035
.LBB11_1032:                            ;   in Loop: Header=BB11_1035 Depth=1
	s_or_b64 exec, exec, s[10:11]
	v_readfirstlane_b32 s10, v0
	s_cmp_eq_u32 s10, 0
	s_cbranch_scc1 .LBB11_1034
; %bb.1033:                             ;   in Loop: Header=BB11_1035 Depth=1
	s_sleep 1
	s_cbranch_execnz .LBB11_1035
	s_branch .LBB11_1037
.LBB11_1034:
	s_branch .LBB11_1037
.LBB11_1035:                            ; =>This Inner Loop Header: Depth=1
	v_mov_b32_e32 v0, 1
	s_and_saveexec_b64 s[10:11], s[4:5]
	s_cbranch_execz .LBB11_1032
; %bb.1036:                             ;   in Loop: Header=BB11_1035 Depth=1
	global_load_dword v0, v[7:8], off offset:20 glc
	s_waitcnt vmcnt(0)
	buffer_wbinvl1_vol
	v_and_b32_e32 v0, 1, v0
	s_branch .LBB11_1032
.LBB11_1037:
	global_load_dwordx2 v[0:1], v[9:10], off
	s_and_saveexec_b64 s[10:11], s[4:5]
	s_cbranch_execz .LBB11_1040
; %bb.1038:
	v_mov_b32_e32 v8, 0
	global_load_dwordx2 v[4:5], v8, s[44:45] offset:40
	global_load_dwordx2 v[9:10], v8, s[44:45] offset:24 glc
	global_load_dwordx2 v[6:7], v8, s[44:45]
	v_mov_b32_e32 v3, s9
	s_mov_b64 s[4:5], 0
	s_waitcnt vmcnt(2)
	v_add_co_u32_e32 v11, vcc, 1, v4
	v_addc_co_u32_e32 v12, vcc, 0, v5, vcc
	v_add_co_u32_e32 v2, vcc, s8, v11
	v_addc_co_u32_e32 v3, vcc, v12, v3, vcc
	v_cmp_eq_u64_e32 vcc, 0, v[2:3]
	v_cndmask_b32_e32 v3, v3, v12, vcc
	v_cndmask_b32_e32 v2, v2, v11, vcc
	v_and_b32_e32 v5, v3, v5
	v_and_b32_e32 v4, v2, v4
	v_mul_lo_u32 v5, v5, 24
	v_mul_hi_u32 v11, v4, 24
	v_mul_lo_u32 v12, v4, 24
	s_waitcnt vmcnt(1)
	v_mov_b32_e32 v4, v9
	v_add_u32_e32 v5, v11, v5
	s_waitcnt vmcnt(0)
	v_add_co_u32_e32 v6, vcc, v6, v12
	v_addc_co_u32_e32 v7, vcc, v7, v5, vcc
	global_store_dwordx2 v[6:7], v[9:10], off
	v_mov_b32_e32 v5, v10
	s_waitcnt vmcnt(0)
	global_atomic_cmpswap_x2 v[4:5], v8, v[2:5], s[44:45] offset:24 glc
	s_waitcnt vmcnt(0)
	v_cmp_ne_u64_e32 vcc, v[4:5], v[9:10]
	s_and_b64 exec, exec, vcc
	s_cbranch_execz .LBB11_1040
.LBB11_1039:                            ; =>This Inner Loop Header: Depth=1
	s_sleep 1
	global_store_dwordx2 v[6:7], v[4:5], off
	s_waitcnt vmcnt(0)
	global_atomic_cmpswap_x2 v[9:10], v8, v[2:5], s[44:45] offset:24 glc
	s_waitcnt vmcnt(0)
	v_cmp_eq_u64_e32 vcc, v[9:10], v[4:5]
	v_mov_b32_e32 v4, v9
	s_or_b64 s[4:5], vcc, s[4:5]
	v_mov_b32_e32 v5, v10
	s_andn2_b64 exec, exec, s[4:5]
	s_cbranch_execnz .LBB11_1039
.LBB11_1040:
	s_or_b64 exec, exec, s[10:11]
	s_and_b64 vcc, exec, s[46:47]
	s_cbranch_vccz .LBB11_1125
; %bb.1041:
	s_waitcnt vmcnt(0)
	v_and_b32_e32 v31, 2, v0
	v_mov_b32_e32 v28, 0
	v_and_b32_e32 v2, -3, v0
	v_mov_b32_e32 v3, v1
	s_mov_b64 s[10:11], 3
	v_mov_b32_e32 v6, 2
	v_mov_b32_e32 v7, 1
	s_getpc_b64 s[8:9]
	s_add_u32 s8, s8, .str.8@rel32@lo+4
	s_addc_u32 s9, s9, .str.8@rel32@hi+12
	s_branch .LBB11_1043
.LBB11_1042:                            ;   in Loop: Header=BB11_1043 Depth=1
	s_or_b64 exec, exec, s[16:17]
	s_sub_u32 s10, s10, s12
	s_subb_u32 s11, s11, s13
	s_add_u32 s8, s8, s12
	s_addc_u32 s9, s9, s13
	s_cmp_lg_u64 s[10:11], 0
	s_cbranch_scc0 .LBB11_1124
.LBB11_1043:                            ; =>This Loop Header: Depth=1
                                        ;     Child Loop BB11_1046 Depth 2
                                        ;     Child Loop BB11_1053 Depth 2
	;; [unrolled: 1-line block ×11, first 2 shown]
	v_cmp_lt_u64_e64 s[4:5], s[10:11], 56
	v_cmp_gt_u64_e64 s[14:15], s[10:11], 7
	s_and_b64 s[4:5], s[4:5], exec
	s_cselect_b32 s13, s11, 0
	s_cselect_b32 s12, s10, 56
	s_and_b64 vcc, exec, s[14:15]
	s_cbranch_vccnz .LBB11_1048
; %bb.1044:                             ;   in Loop: Header=BB11_1043 Depth=1
	v_mov_b32_e32 v10, 0
	s_cmp_eq_u64 s[10:11], 0
	v_mov_b32_e32 v11, 0
	s_mov_b64 s[4:5], 0
	s_cbranch_scc1 .LBB11_1047
; %bb.1045:                             ;   in Loop: Header=BB11_1043 Depth=1
	v_mov_b32_e32 v10, 0
	s_lshl_b64 s[14:15], s[12:13], 3
	s_mov_b64 s[16:17], 0
	v_mov_b32_e32 v11, 0
	s_mov_b64 s[18:19], s[8:9]
.LBB11_1046:                            ;   Parent Loop BB11_1043 Depth=1
                                        ; =>  This Inner Loop Header: Depth=2
	global_load_ubyte v4, v28, s[18:19]
	s_waitcnt vmcnt(0)
	v_and_b32_e32 v27, 0xffff, v4
	v_lshlrev_b64 v[4:5], s16, v[27:28]
	s_add_u32 s16, s16, 8
	s_addc_u32 s17, s17, 0
	s_add_u32 s18, s18, 1
	s_addc_u32 s19, s19, 0
	v_or_b32_e32 v10, v4, v10
	s_cmp_lg_u32 s14, s16
	v_or_b32_e32 v11, v5, v11
	s_cbranch_scc1 .LBB11_1046
.LBB11_1047:                            ;   in Loop: Header=BB11_1043 Depth=1
	s_mov_b32 s18, 0
	s_andn2_b64 vcc, exec, s[4:5]
	s_mov_b64 s[4:5], s[8:9]
	s_cbranch_vccz .LBB11_1049
	s_branch .LBB11_1050
.LBB11_1048:                            ;   in Loop: Header=BB11_1043 Depth=1
                                        ; implicit-def: $vgpr10_vgpr11
                                        ; implicit-def: $sgpr18
	s_mov_b64 s[4:5], s[8:9]
.LBB11_1049:                            ;   in Loop: Header=BB11_1043 Depth=1
	global_load_dwordx2 v[10:11], v28, s[8:9]
	s_add_i32 s18, s12, -8
	s_add_u32 s4, s8, 8
	s_addc_u32 s5, s9, 0
.LBB11_1050:                            ;   in Loop: Header=BB11_1043 Depth=1
	s_cmp_gt_u32 s18, 7
	s_cbranch_scc1 .LBB11_1054
; %bb.1051:                             ;   in Loop: Header=BB11_1043 Depth=1
	s_cmp_eq_u32 s18, 0
	s_cbranch_scc1 .LBB11_1055
; %bb.1052:                             ;   in Loop: Header=BB11_1043 Depth=1
	v_mov_b32_e32 v12, 0
	s_mov_b64 s[14:15], 0
	v_mov_b32_e32 v13, 0
	s_mov_b64 s[16:17], 0
.LBB11_1053:                            ;   Parent Loop BB11_1043 Depth=1
                                        ; =>  This Inner Loop Header: Depth=2
	s_add_u32 s20, s4, s16
	s_addc_u32 s21, s5, s17
	global_load_ubyte v4, v28, s[20:21]
	s_add_u32 s16, s16, 1
	s_addc_u32 s17, s17, 0
	s_waitcnt vmcnt(0)
	v_and_b32_e32 v27, 0xffff, v4
	v_lshlrev_b64 v[4:5], s14, v[27:28]
	s_add_u32 s14, s14, 8
	s_addc_u32 s15, s15, 0
	v_or_b32_e32 v12, v4, v12
	s_cmp_lg_u32 s18, s16
	v_or_b32_e32 v13, v5, v13
	s_cbranch_scc1 .LBB11_1053
	s_branch .LBB11_1056
.LBB11_1054:                            ;   in Loop: Header=BB11_1043 Depth=1
                                        ; implicit-def: $vgpr12_vgpr13
                                        ; implicit-def: $sgpr19
	s_branch .LBB11_1057
.LBB11_1055:                            ;   in Loop: Header=BB11_1043 Depth=1
	v_mov_b32_e32 v12, 0
	v_mov_b32_e32 v13, 0
.LBB11_1056:                            ;   in Loop: Header=BB11_1043 Depth=1
	s_mov_b32 s19, 0
	s_cbranch_execnz .LBB11_1058
.LBB11_1057:                            ;   in Loop: Header=BB11_1043 Depth=1
	global_load_dwordx2 v[12:13], v28, s[4:5]
	s_add_i32 s19, s18, -8
	s_add_u32 s4, s4, 8
	s_addc_u32 s5, s5, 0
.LBB11_1058:                            ;   in Loop: Header=BB11_1043 Depth=1
	s_cmp_gt_u32 s19, 7
	s_cbranch_scc1 .LBB11_1062
; %bb.1059:                             ;   in Loop: Header=BB11_1043 Depth=1
	s_cmp_eq_u32 s19, 0
	s_cbranch_scc1 .LBB11_1063
; %bb.1060:                             ;   in Loop: Header=BB11_1043 Depth=1
	v_mov_b32_e32 v14, 0
	s_mov_b64 s[14:15], 0
	v_mov_b32_e32 v15, 0
	s_mov_b64 s[16:17], 0
.LBB11_1061:                            ;   Parent Loop BB11_1043 Depth=1
                                        ; =>  This Inner Loop Header: Depth=2
	s_add_u32 s20, s4, s16
	s_addc_u32 s21, s5, s17
	global_load_ubyte v4, v28, s[20:21]
	s_add_u32 s16, s16, 1
	s_addc_u32 s17, s17, 0
	s_waitcnt vmcnt(0)
	v_and_b32_e32 v27, 0xffff, v4
	v_lshlrev_b64 v[4:5], s14, v[27:28]
	s_add_u32 s14, s14, 8
	s_addc_u32 s15, s15, 0
	v_or_b32_e32 v14, v4, v14
	s_cmp_lg_u32 s19, s16
	v_or_b32_e32 v15, v5, v15
	s_cbranch_scc1 .LBB11_1061
	s_branch .LBB11_1064
.LBB11_1062:                            ;   in Loop: Header=BB11_1043 Depth=1
                                        ; implicit-def: $sgpr18
	s_branch .LBB11_1065
.LBB11_1063:                            ;   in Loop: Header=BB11_1043 Depth=1
	v_mov_b32_e32 v14, 0
	v_mov_b32_e32 v15, 0
.LBB11_1064:                            ;   in Loop: Header=BB11_1043 Depth=1
	s_mov_b32 s18, 0
	s_cbranch_execnz .LBB11_1066
.LBB11_1065:                            ;   in Loop: Header=BB11_1043 Depth=1
	global_load_dwordx2 v[14:15], v28, s[4:5]
	s_add_i32 s18, s19, -8
	s_add_u32 s4, s4, 8
	s_addc_u32 s5, s5, 0
.LBB11_1066:                            ;   in Loop: Header=BB11_1043 Depth=1
	s_cmp_gt_u32 s18, 7
	s_cbranch_scc1 .LBB11_1070
; %bb.1067:                             ;   in Loop: Header=BB11_1043 Depth=1
	s_cmp_eq_u32 s18, 0
	s_cbranch_scc1 .LBB11_1071
; %bb.1068:                             ;   in Loop: Header=BB11_1043 Depth=1
	v_mov_b32_e32 v16, 0
	s_mov_b64 s[14:15], 0
	v_mov_b32_e32 v17, 0
	s_mov_b64 s[16:17], 0
.LBB11_1069:                            ;   Parent Loop BB11_1043 Depth=1
                                        ; =>  This Inner Loop Header: Depth=2
	s_add_u32 s20, s4, s16
	s_addc_u32 s21, s5, s17
	global_load_ubyte v4, v28, s[20:21]
	s_add_u32 s16, s16, 1
	s_addc_u32 s17, s17, 0
	s_waitcnt vmcnt(0)
	v_and_b32_e32 v27, 0xffff, v4
	v_lshlrev_b64 v[4:5], s14, v[27:28]
	s_add_u32 s14, s14, 8
	s_addc_u32 s15, s15, 0
	v_or_b32_e32 v16, v4, v16
	s_cmp_lg_u32 s18, s16
	v_or_b32_e32 v17, v5, v17
	s_cbranch_scc1 .LBB11_1069
	s_branch .LBB11_1072
.LBB11_1070:                            ;   in Loop: Header=BB11_1043 Depth=1
                                        ; implicit-def: $vgpr16_vgpr17
                                        ; implicit-def: $sgpr19
	s_branch .LBB11_1073
.LBB11_1071:                            ;   in Loop: Header=BB11_1043 Depth=1
	v_mov_b32_e32 v16, 0
	v_mov_b32_e32 v17, 0
.LBB11_1072:                            ;   in Loop: Header=BB11_1043 Depth=1
	s_mov_b32 s19, 0
	s_cbranch_execnz .LBB11_1074
.LBB11_1073:                            ;   in Loop: Header=BB11_1043 Depth=1
	global_load_dwordx2 v[16:17], v28, s[4:5]
	s_add_i32 s19, s18, -8
	s_add_u32 s4, s4, 8
	s_addc_u32 s5, s5, 0
.LBB11_1074:                            ;   in Loop: Header=BB11_1043 Depth=1
	s_cmp_gt_u32 s19, 7
	s_cbranch_scc1 .LBB11_1078
; %bb.1075:                             ;   in Loop: Header=BB11_1043 Depth=1
	s_cmp_eq_u32 s19, 0
	s_cbranch_scc1 .LBB11_1079
; %bb.1076:                             ;   in Loop: Header=BB11_1043 Depth=1
	v_mov_b32_e32 v18, 0
	s_mov_b64 s[14:15], 0
	v_mov_b32_e32 v19, 0
	s_mov_b64 s[16:17], 0
.LBB11_1077:                            ;   Parent Loop BB11_1043 Depth=1
                                        ; =>  This Inner Loop Header: Depth=2
	s_add_u32 s20, s4, s16
	s_addc_u32 s21, s5, s17
	global_load_ubyte v4, v28, s[20:21]
	s_add_u32 s16, s16, 1
	s_addc_u32 s17, s17, 0
	s_waitcnt vmcnt(0)
	v_and_b32_e32 v27, 0xffff, v4
	v_lshlrev_b64 v[4:5], s14, v[27:28]
	s_add_u32 s14, s14, 8
	s_addc_u32 s15, s15, 0
	v_or_b32_e32 v18, v4, v18
	s_cmp_lg_u32 s19, s16
	v_or_b32_e32 v19, v5, v19
	s_cbranch_scc1 .LBB11_1077
	s_branch .LBB11_1080
.LBB11_1078:                            ;   in Loop: Header=BB11_1043 Depth=1
                                        ; implicit-def: $sgpr18
	s_branch .LBB11_1081
.LBB11_1079:                            ;   in Loop: Header=BB11_1043 Depth=1
	v_mov_b32_e32 v18, 0
	v_mov_b32_e32 v19, 0
.LBB11_1080:                            ;   in Loop: Header=BB11_1043 Depth=1
	s_mov_b32 s18, 0
	s_cbranch_execnz .LBB11_1082
.LBB11_1081:                            ;   in Loop: Header=BB11_1043 Depth=1
	global_load_dwordx2 v[18:19], v28, s[4:5]
	s_add_i32 s18, s19, -8
	s_add_u32 s4, s4, 8
	s_addc_u32 s5, s5, 0
.LBB11_1082:                            ;   in Loop: Header=BB11_1043 Depth=1
	s_cmp_gt_u32 s18, 7
	s_cbranch_scc1 .LBB11_1086
; %bb.1083:                             ;   in Loop: Header=BB11_1043 Depth=1
	s_cmp_eq_u32 s18, 0
	s_cbranch_scc1 .LBB11_1087
; %bb.1084:                             ;   in Loop: Header=BB11_1043 Depth=1
	v_mov_b32_e32 v20, 0
	s_mov_b64 s[14:15], 0
	v_mov_b32_e32 v21, 0
	s_mov_b64 s[16:17], 0
.LBB11_1085:                            ;   Parent Loop BB11_1043 Depth=1
                                        ; =>  This Inner Loop Header: Depth=2
	s_add_u32 s20, s4, s16
	s_addc_u32 s21, s5, s17
	global_load_ubyte v4, v28, s[20:21]
	s_add_u32 s16, s16, 1
	s_addc_u32 s17, s17, 0
	s_waitcnt vmcnt(0)
	v_and_b32_e32 v27, 0xffff, v4
	v_lshlrev_b64 v[4:5], s14, v[27:28]
	s_add_u32 s14, s14, 8
	s_addc_u32 s15, s15, 0
	v_or_b32_e32 v20, v4, v20
	s_cmp_lg_u32 s18, s16
	v_or_b32_e32 v21, v5, v21
	s_cbranch_scc1 .LBB11_1085
	s_branch .LBB11_1088
.LBB11_1086:                            ;   in Loop: Header=BB11_1043 Depth=1
                                        ; implicit-def: $vgpr20_vgpr21
                                        ; implicit-def: $sgpr19
	s_branch .LBB11_1089
.LBB11_1087:                            ;   in Loop: Header=BB11_1043 Depth=1
	v_mov_b32_e32 v20, 0
	v_mov_b32_e32 v21, 0
.LBB11_1088:                            ;   in Loop: Header=BB11_1043 Depth=1
	s_mov_b32 s19, 0
	s_cbranch_execnz .LBB11_1090
.LBB11_1089:                            ;   in Loop: Header=BB11_1043 Depth=1
	global_load_dwordx2 v[20:21], v28, s[4:5]
	s_add_i32 s19, s18, -8
	s_add_u32 s4, s4, 8
	s_addc_u32 s5, s5, 0
.LBB11_1090:                            ;   in Loop: Header=BB11_1043 Depth=1
	s_cmp_gt_u32 s19, 7
	s_cbranch_scc1 .LBB11_1094
; %bb.1091:                             ;   in Loop: Header=BB11_1043 Depth=1
	s_cmp_eq_u32 s19, 0
	s_cbranch_scc1 .LBB11_1095
; %bb.1092:                             ;   in Loop: Header=BB11_1043 Depth=1
	v_mov_b32_e32 v22, 0
	s_mov_b64 s[14:15], 0
	v_mov_b32_e32 v23, 0
	s_mov_b64 s[16:17], s[4:5]
.LBB11_1093:                            ;   Parent Loop BB11_1043 Depth=1
                                        ; =>  This Inner Loop Header: Depth=2
	global_load_ubyte v4, v28, s[16:17]
	s_add_i32 s19, s19, -1
	s_waitcnt vmcnt(0)
	v_and_b32_e32 v27, 0xffff, v4
	v_lshlrev_b64 v[4:5], s14, v[27:28]
	s_add_u32 s14, s14, 8
	s_addc_u32 s15, s15, 0
	s_add_u32 s16, s16, 1
	s_addc_u32 s17, s17, 0
	v_or_b32_e32 v22, v4, v22
	s_cmp_lg_u32 s19, 0
	v_or_b32_e32 v23, v5, v23
	s_cbranch_scc1 .LBB11_1093
	s_branch .LBB11_1096
.LBB11_1094:                            ;   in Loop: Header=BB11_1043 Depth=1
	s_branch .LBB11_1097
.LBB11_1095:                            ;   in Loop: Header=BB11_1043 Depth=1
	v_mov_b32_e32 v22, 0
	v_mov_b32_e32 v23, 0
.LBB11_1096:                            ;   in Loop: Header=BB11_1043 Depth=1
	s_cbranch_execnz .LBB11_1098
.LBB11_1097:                            ;   in Loop: Header=BB11_1043 Depth=1
	global_load_dwordx2 v[22:23], v28, s[4:5]
.LBB11_1098:                            ;   in Loop: Header=BB11_1043 Depth=1
	v_readfirstlane_b32 s4, v42
	s_waitcnt vmcnt(0)
	v_mov_b32_e32 v4, 0
	v_mov_b32_e32 v5, 0
	v_cmp_eq_u32_e64 s[4:5], s4, v42
	s_and_saveexec_b64 s[14:15], s[4:5]
	s_cbranch_execz .LBB11_1104
; %bb.1099:                             ;   in Loop: Header=BB11_1043 Depth=1
	global_load_dwordx2 v[26:27], v28, s[44:45] offset:24 glc
	s_waitcnt vmcnt(0)
	buffer_wbinvl1_vol
	global_load_dwordx2 v[4:5], v28, s[44:45] offset:40
	global_load_dwordx2 v[8:9], v28, s[44:45]
	s_waitcnt vmcnt(1)
	v_and_b32_e32 v4, v4, v26
	v_and_b32_e32 v5, v5, v27
	v_mul_lo_u32 v5, v5, 24
	v_mul_hi_u32 v24, v4, 24
	v_mul_lo_u32 v4, v4, 24
	v_add_u32_e32 v5, v24, v5
	s_waitcnt vmcnt(0)
	v_add_co_u32_e32 v4, vcc, v8, v4
	v_addc_co_u32_e32 v5, vcc, v9, v5, vcc
	global_load_dwordx2 v[24:25], v[4:5], off glc
	s_waitcnt vmcnt(0)
	global_atomic_cmpswap_x2 v[4:5], v28, v[24:27], s[44:45] offset:24 glc
	s_waitcnt vmcnt(0)
	buffer_wbinvl1_vol
	v_cmp_ne_u64_e32 vcc, v[4:5], v[26:27]
	s_and_saveexec_b64 s[16:17], vcc
	s_cbranch_execz .LBB11_1103
; %bb.1100:                             ;   in Loop: Header=BB11_1043 Depth=1
	s_mov_b64 s[18:19], 0
.LBB11_1101:                            ;   Parent Loop BB11_1043 Depth=1
                                        ; =>  This Inner Loop Header: Depth=2
	s_sleep 1
	global_load_dwordx2 v[8:9], v28, s[44:45] offset:40
	global_load_dwordx2 v[24:25], v28, s[44:45]
	v_mov_b32_e32 v27, v5
	v_mov_b32_e32 v26, v4
	s_waitcnt vmcnt(1)
	v_and_b32_e32 v4, v8, v26
	s_waitcnt vmcnt(0)
	v_mad_u64_u32 v[4:5], s[20:21], v4, 24, v[24:25]
	v_and_b32_e32 v8, v9, v27
	v_mad_u64_u32 v[8:9], s[20:21], v8, 24, v[5:6]
	v_mov_b32_e32 v5, v8
	global_load_dwordx2 v[24:25], v[4:5], off glc
	s_waitcnt vmcnt(0)
	global_atomic_cmpswap_x2 v[4:5], v28, v[24:27], s[44:45] offset:24 glc
	s_waitcnt vmcnt(0)
	buffer_wbinvl1_vol
	v_cmp_eq_u64_e32 vcc, v[4:5], v[26:27]
	s_or_b64 s[18:19], vcc, s[18:19]
	s_andn2_b64 exec, exec, s[18:19]
	s_cbranch_execnz .LBB11_1101
; %bb.1102:                             ;   in Loop: Header=BB11_1043 Depth=1
	s_or_b64 exec, exec, s[18:19]
.LBB11_1103:                            ;   in Loop: Header=BB11_1043 Depth=1
	s_or_b64 exec, exec, s[16:17]
.LBB11_1104:                            ;   in Loop: Header=BB11_1043 Depth=1
	s_or_b64 exec, exec, s[14:15]
	global_load_dwordx2 v[8:9], v28, s[44:45] offset:40
	global_load_dwordx4 v[24:27], v28, s[44:45]
	v_readfirstlane_b32 s14, v4
	v_readfirstlane_b32 s15, v5
	s_mov_b64 s[18:19], exec
	s_waitcnt vmcnt(1)
	v_readfirstlane_b32 s16, v8
	v_readfirstlane_b32 s17, v9
	s_and_b64 s[16:17], s[14:15], s[16:17]
	s_mul_i32 s20, s17, 24
	s_mul_hi_u32 s21, s16, 24
	s_mul_i32 s22, s16, 24
	s_add_i32 s20, s21, s20
	v_mov_b32_e32 v4, s20
	s_waitcnt vmcnt(0)
	v_add_co_u32_e32 v29, vcc, s22, v24
	v_addc_co_u32_e32 v30, vcc, v25, v4, vcc
	s_and_saveexec_b64 s[20:21], s[4:5]
	s_cbranch_execz .LBB11_1106
; %bb.1105:                             ;   in Loop: Header=BB11_1043 Depth=1
	v_mov_b32_e32 v4, s18
	v_mov_b32_e32 v5, s19
	global_store_dwordx4 v[29:30], v[4:7], off offset:8
.LBB11_1106:                            ;   in Loop: Header=BB11_1043 Depth=1
	s_or_b64 exec, exec, s[20:21]
	v_cmp_gt_u64_e64 vcc, s[10:11], 56
	v_or_b32_e32 v4, 0, v3
	v_cndmask_b32_e32 v9, v4, v3, vcc
	v_or_b32_e32 v3, v2, v31
	s_lshl_b32 s18, s12, 2
	v_cndmask_b32_e32 v2, v3, v2, vcc
	s_add_i32 s18, s18, 28
	s_and_b32 s18, s18, 0x1e0
	v_and_b32_e32 v2, 0xffffff1f, v2
	s_lshl_b64 s[16:17], s[16:17], 12
	v_or_b32_e32 v8, s18, v2
	v_mov_b32_e32 v2, s17
	v_add_co_u32_e32 v26, vcc, s16, v26
	v_addc_co_u32_e32 v32, vcc, v27, v2, vcc
	v_readfirstlane_b32 s16, v26
	v_readfirstlane_b32 s17, v32
	s_nop 4
	global_store_dwordx4 v41, v[8:11], s[16:17]
	global_store_dwordx4 v41, v[12:15], s[16:17] offset:16
	global_store_dwordx4 v41, v[16:19], s[16:17] offset:32
	;; [unrolled: 1-line block ×3, first 2 shown]
	s_and_saveexec_b64 s[16:17], s[4:5]
	s_cbranch_execz .LBB11_1114
; %bb.1107:                             ;   in Loop: Header=BB11_1043 Depth=1
	global_load_dwordx2 v[12:13], v28, s[44:45] offset:32 glc
	global_load_dwordx2 v[2:3], v28, s[44:45] offset:40
	v_mov_b32_e32 v10, s14
	v_mov_b32_e32 v11, s15
	s_waitcnt vmcnt(0)
	v_readfirstlane_b32 s18, v2
	v_readfirstlane_b32 s19, v3
	s_and_b64 s[18:19], s[18:19], s[14:15]
	s_mul_i32 s19, s19, 24
	s_mul_hi_u32 s20, s18, 24
	s_mul_i32 s18, s18, 24
	s_add_i32 s19, s20, s19
	v_mov_b32_e32 v2, s19
	v_add_co_u32_e32 v8, vcc, s18, v24
	v_addc_co_u32_e32 v9, vcc, v25, v2, vcc
	global_store_dwordx2 v[8:9], v[12:13], off
	s_waitcnt vmcnt(0)
	global_atomic_cmpswap_x2 v[4:5], v28, v[10:13], s[44:45] offset:32 glc
	s_waitcnt vmcnt(0)
	v_cmp_ne_u64_e32 vcc, v[4:5], v[12:13]
	s_and_saveexec_b64 s[18:19], vcc
	s_cbranch_execz .LBB11_1110
; %bb.1108:                             ;   in Loop: Header=BB11_1043 Depth=1
	s_mov_b64 s[20:21], 0
.LBB11_1109:                            ;   Parent Loop BB11_1043 Depth=1
                                        ; =>  This Inner Loop Header: Depth=2
	s_sleep 1
	global_store_dwordx2 v[8:9], v[4:5], off
	v_mov_b32_e32 v2, s14
	v_mov_b32_e32 v3, s15
	s_waitcnt vmcnt(0)
	global_atomic_cmpswap_x2 v[2:3], v28, v[2:5], s[44:45] offset:32 glc
	s_waitcnt vmcnt(0)
	v_cmp_eq_u64_e32 vcc, v[2:3], v[4:5]
	v_mov_b32_e32 v5, v3
	s_or_b64 s[20:21], vcc, s[20:21]
	v_mov_b32_e32 v4, v2
	s_andn2_b64 exec, exec, s[20:21]
	s_cbranch_execnz .LBB11_1109
.LBB11_1110:                            ;   in Loop: Header=BB11_1043 Depth=1
	s_or_b64 exec, exec, s[18:19]
	global_load_dwordx2 v[2:3], v28, s[44:45] offset:16
	s_mov_b64 s[20:21], exec
	v_mbcnt_lo_u32_b32 v4, s20, 0
	v_mbcnt_hi_u32_b32 v4, s21, v4
	v_cmp_eq_u32_e32 vcc, 0, v4
	s_and_saveexec_b64 s[18:19], vcc
	s_cbranch_execz .LBB11_1112
; %bb.1111:                             ;   in Loop: Header=BB11_1043 Depth=1
	s_bcnt1_i32_b64 s20, s[20:21]
	v_mov_b32_e32 v27, s20
	s_waitcnt vmcnt(0)
	global_atomic_add_x2 v[2:3], v[27:28], off offset:8
.LBB11_1112:                            ;   in Loop: Header=BB11_1043 Depth=1
	s_or_b64 exec, exec, s[18:19]
	s_waitcnt vmcnt(0)
	global_load_dwordx2 v[4:5], v[2:3], off offset:16
	s_waitcnt vmcnt(0)
	v_cmp_eq_u64_e32 vcc, 0, v[4:5]
	s_cbranch_vccnz .LBB11_1114
; %bb.1113:                             ;   in Loop: Header=BB11_1043 Depth=1
	global_load_dword v27, v[2:3], off offset:24
	s_waitcnt vmcnt(0)
	v_and_b32_e32 v2, 0xffffff, v27
	v_readfirstlane_b32 m0, v2
	global_store_dwordx2 v[4:5], v[27:28], off
	s_sendmsg sendmsg(MSG_INTERRUPT)
.LBB11_1114:                            ;   in Loop: Header=BB11_1043 Depth=1
	s_or_b64 exec, exec, s[16:17]
	v_add_co_u32_e32 v2, vcc, v26, v41
	v_addc_co_u32_e32 v3, vcc, 0, v32, vcc
	s_branch .LBB11_1118
.LBB11_1115:                            ;   in Loop: Header=BB11_1118 Depth=2
	s_or_b64 exec, exec, s[16:17]
	v_readfirstlane_b32 s16, v4
	s_cmp_eq_u32 s16, 0
	s_cbranch_scc1 .LBB11_1117
; %bb.1116:                             ;   in Loop: Header=BB11_1118 Depth=2
	s_sleep 1
	s_cbranch_execnz .LBB11_1118
	s_branch .LBB11_1120
.LBB11_1117:                            ;   in Loop: Header=BB11_1043 Depth=1
	s_branch .LBB11_1120
.LBB11_1118:                            ;   Parent Loop BB11_1043 Depth=1
                                        ; =>  This Inner Loop Header: Depth=2
	v_mov_b32_e32 v4, 1
	s_and_saveexec_b64 s[16:17], s[4:5]
	s_cbranch_execz .LBB11_1115
; %bb.1119:                             ;   in Loop: Header=BB11_1118 Depth=2
	global_load_dword v4, v[29:30], off offset:20 glc
	s_waitcnt vmcnt(0)
	buffer_wbinvl1_vol
	v_and_b32_e32 v4, 1, v4
	s_branch .LBB11_1115
.LBB11_1120:                            ;   in Loop: Header=BB11_1043 Depth=1
	global_load_dwordx4 v[2:5], v[2:3], off
	s_and_saveexec_b64 s[16:17], s[4:5]
	s_cbranch_execz .LBB11_1042
; %bb.1121:                             ;   in Loop: Header=BB11_1043 Depth=1
	global_load_dwordx2 v[4:5], v28, s[44:45] offset:40
	global_load_dwordx2 v[12:13], v28, s[44:45] offset:24 glc
	global_load_dwordx2 v[14:15], v28, s[44:45]
	v_mov_b32_e32 v9, s15
	s_waitcnt vmcnt(2)
	v_add_co_u32_e32 v10, vcc, 1, v4
	v_addc_co_u32_e32 v11, vcc, 0, v5, vcc
	v_add_co_u32_e32 v8, vcc, s14, v10
	v_addc_co_u32_e32 v9, vcc, v11, v9, vcc
	v_cmp_eq_u64_e32 vcc, 0, v[8:9]
	v_cndmask_b32_e32 v9, v9, v11, vcc
	v_cndmask_b32_e32 v8, v8, v10, vcc
	v_and_b32_e32 v5, v9, v5
	v_and_b32_e32 v4, v8, v4
	v_mul_lo_u32 v5, v5, 24
	v_mul_hi_u32 v11, v4, 24
	v_mul_lo_u32 v4, v4, 24
	s_waitcnt vmcnt(1)
	v_mov_b32_e32 v10, v12
	v_add_u32_e32 v5, v11, v5
	s_waitcnt vmcnt(0)
	v_add_co_u32_e32 v4, vcc, v14, v4
	v_addc_co_u32_e32 v5, vcc, v15, v5, vcc
	global_store_dwordx2 v[4:5], v[12:13], off
	v_mov_b32_e32 v11, v13
	s_waitcnt vmcnt(0)
	global_atomic_cmpswap_x2 v[10:11], v28, v[8:11], s[44:45] offset:24 glc
	s_waitcnt vmcnt(0)
	v_cmp_ne_u64_e32 vcc, v[10:11], v[12:13]
	s_and_b64 exec, exec, vcc
	s_cbranch_execz .LBB11_1042
; %bb.1122:                             ;   in Loop: Header=BB11_1043 Depth=1
	s_mov_b64 s[4:5], 0
.LBB11_1123:                            ;   Parent Loop BB11_1043 Depth=1
                                        ; =>  This Inner Loop Header: Depth=2
	s_sleep 1
	global_store_dwordx2 v[4:5], v[10:11], off
	s_waitcnt vmcnt(0)
	global_atomic_cmpswap_x2 v[12:13], v28, v[8:11], s[44:45] offset:24 glc
	s_waitcnt vmcnt(0)
	v_cmp_eq_u64_e32 vcc, v[12:13], v[10:11]
	v_mov_b32_e32 v10, v12
	s_or_b64 s[4:5], vcc, s[4:5]
	v_mov_b32_e32 v11, v13
	s_andn2_b64 exec, exec, s[4:5]
	s_cbranch_execnz .LBB11_1123
	s_branch .LBB11_1042
.LBB11_1124:
	s_mov_b64 s[4:5], 0
	s_branch .LBB11_1126
.LBB11_1125:
	s_mov_b64 s[4:5], -1
                                        ; implicit-def: $vgpr2_vgpr3
.LBB11_1126:
	s_and_b64 vcc, exec, s[4:5]
	s_cbranch_vccz .LBB11_1153
; %bb.1127:
	v_readfirstlane_b32 s4, v42
	v_mov_b32_e32 v8, 0
	v_mov_b32_e32 v9, 0
	v_cmp_eq_u32_e64 s[4:5], s4, v42
	s_and_saveexec_b64 s[8:9], s[4:5]
	s_cbranch_execz .LBB11_1133
; %bb.1128:
	s_waitcnt vmcnt(0)
	v_mov_b32_e32 v2, 0
	global_load_dwordx2 v[5:6], v2, s[44:45] offset:24 glc
	s_waitcnt vmcnt(0)
	buffer_wbinvl1_vol
	global_load_dwordx2 v[3:4], v2, s[44:45] offset:40
	global_load_dwordx2 v[7:8], v2, s[44:45]
	s_waitcnt vmcnt(1)
	v_and_b32_e32 v3, v3, v5
	v_and_b32_e32 v4, v4, v6
	v_mul_lo_u32 v4, v4, 24
	v_mul_hi_u32 v9, v3, 24
	v_mul_lo_u32 v3, v3, 24
	v_add_u32_e32 v4, v9, v4
	s_waitcnt vmcnt(0)
	v_add_co_u32_e32 v3, vcc, v7, v3
	v_addc_co_u32_e32 v4, vcc, v8, v4, vcc
	global_load_dwordx2 v[3:4], v[3:4], off glc
	s_waitcnt vmcnt(0)
	global_atomic_cmpswap_x2 v[8:9], v2, v[3:6], s[44:45] offset:24 glc
	s_waitcnt vmcnt(0)
	buffer_wbinvl1_vol
	v_cmp_ne_u64_e32 vcc, v[8:9], v[5:6]
	s_and_saveexec_b64 s[10:11], vcc
	s_cbranch_execz .LBB11_1132
; %bb.1129:
	s_mov_b64 s[12:13], 0
.LBB11_1130:                            ; =>This Inner Loop Header: Depth=1
	s_sleep 1
	global_load_dwordx2 v[3:4], v2, s[44:45] offset:40
	global_load_dwordx2 v[10:11], v2, s[44:45]
	v_mov_b32_e32 v5, v8
	v_mov_b32_e32 v6, v9
	s_waitcnt vmcnt(1)
	v_and_b32_e32 v3, v3, v5
	s_waitcnt vmcnt(0)
	v_mad_u64_u32 v[7:8], s[14:15], v3, 24, v[10:11]
	v_and_b32_e32 v4, v4, v6
	v_mov_b32_e32 v3, v8
	v_mad_u64_u32 v[3:4], s[14:15], v4, 24, v[3:4]
	v_mov_b32_e32 v8, v3
	global_load_dwordx2 v[3:4], v[7:8], off glc
	s_waitcnt vmcnt(0)
	global_atomic_cmpswap_x2 v[8:9], v2, v[3:6], s[44:45] offset:24 glc
	s_waitcnt vmcnt(0)
	buffer_wbinvl1_vol
	v_cmp_eq_u64_e32 vcc, v[8:9], v[5:6]
	s_or_b64 s[12:13], vcc, s[12:13]
	s_andn2_b64 exec, exec, s[12:13]
	s_cbranch_execnz .LBB11_1130
; %bb.1131:
	s_or_b64 exec, exec, s[12:13]
.LBB11_1132:
	s_or_b64 exec, exec, s[10:11]
.LBB11_1133:
	s_or_b64 exec, exec, s[8:9]
	s_waitcnt vmcnt(0)
	v_mov_b32_e32 v2, 0
	global_load_dwordx2 v[10:11], v2, s[44:45] offset:40
	global_load_dwordx4 v[4:7], v2, s[44:45]
	v_readfirstlane_b32 s8, v8
	v_readfirstlane_b32 s9, v9
	s_mov_b64 s[10:11], exec
	s_waitcnt vmcnt(1)
	v_readfirstlane_b32 s12, v10
	v_readfirstlane_b32 s13, v11
	s_and_b64 s[12:13], s[8:9], s[12:13]
	s_mul_i32 s14, s13, 24
	s_mul_hi_u32 s15, s12, 24
	s_mul_i32 s16, s12, 24
	s_add_i32 s14, s15, s14
	v_mov_b32_e32 v3, s14
	s_waitcnt vmcnt(0)
	v_add_co_u32_e32 v8, vcc, s16, v4
	v_addc_co_u32_e32 v9, vcc, v5, v3, vcc
	s_and_saveexec_b64 s[14:15], s[4:5]
	s_cbranch_execz .LBB11_1135
; %bb.1134:
	v_mov_b32_e32 v10, s10
	v_mov_b32_e32 v11, s11
	;; [unrolled: 1-line block ×4, first 2 shown]
	global_store_dwordx4 v[8:9], v[10:13], off offset:8
.LBB11_1135:
	s_or_b64 exec, exec, s[14:15]
	s_lshl_b64 s[10:11], s[12:13], 12
	v_mov_b32_e32 v3, s11
	v_add_co_u32_e32 v10, vcc, s10, v6
	v_addc_co_u32_e32 v11, vcc, v7, v3, vcc
	s_movk_i32 s10, 0xff1f
	v_and_or_b32 v0, v0, s10, 32
	s_mov_b32 s12, 0
	v_mov_b32_e32 v3, v2
	v_readfirstlane_b32 s10, v10
	v_readfirstlane_b32 s11, v11
	v_add_co_u32_e32 v6, vcc, v10, v41
	s_mov_b32 s13, s12
	s_mov_b32 s14, s12
	;; [unrolled: 1-line block ×3, first 2 shown]
	s_nop 0
	global_store_dwordx4 v41, v[0:3], s[10:11]
	v_addc_co_u32_e32 v7, vcc, 0, v11, vcc
	v_mov_b32_e32 v0, s12
	v_mov_b32_e32 v1, s13
	;; [unrolled: 1-line block ×4, first 2 shown]
	global_store_dwordx4 v41, v[0:3], s[10:11] offset:16
	global_store_dwordx4 v41, v[0:3], s[10:11] offset:32
	global_store_dwordx4 v41, v[0:3], s[10:11] offset:48
	s_and_saveexec_b64 s[10:11], s[4:5]
	s_cbranch_execz .LBB11_1143
; %bb.1136:
	v_mov_b32_e32 v10, 0
	global_load_dwordx2 v[13:14], v10, s[44:45] offset:32 glc
	global_load_dwordx2 v[0:1], v10, s[44:45] offset:40
	v_mov_b32_e32 v11, s8
	v_mov_b32_e32 v12, s9
	s_waitcnt vmcnt(0)
	v_readfirstlane_b32 s12, v0
	v_readfirstlane_b32 s13, v1
	s_and_b64 s[12:13], s[12:13], s[8:9]
	s_mul_i32 s13, s13, 24
	s_mul_hi_u32 s14, s12, 24
	s_mul_i32 s12, s12, 24
	s_add_i32 s13, s14, s13
	v_mov_b32_e32 v0, s13
	v_add_co_u32_e32 v4, vcc, s12, v4
	v_addc_co_u32_e32 v5, vcc, v5, v0, vcc
	global_store_dwordx2 v[4:5], v[13:14], off
	s_waitcnt vmcnt(0)
	global_atomic_cmpswap_x2 v[2:3], v10, v[11:14], s[44:45] offset:32 glc
	s_waitcnt vmcnt(0)
	v_cmp_ne_u64_e32 vcc, v[2:3], v[13:14]
	s_and_saveexec_b64 s[12:13], vcc
	s_cbranch_execz .LBB11_1139
; %bb.1137:
	s_mov_b64 s[14:15], 0
.LBB11_1138:                            ; =>This Inner Loop Header: Depth=1
	s_sleep 1
	global_store_dwordx2 v[4:5], v[2:3], off
	v_mov_b32_e32 v0, s8
	v_mov_b32_e32 v1, s9
	s_waitcnt vmcnt(0)
	global_atomic_cmpswap_x2 v[0:1], v10, v[0:3], s[44:45] offset:32 glc
	s_waitcnt vmcnt(0)
	v_cmp_eq_u64_e32 vcc, v[0:1], v[2:3]
	v_mov_b32_e32 v3, v1
	s_or_b64 s[14:15], vcc, s[14:15]
	v_mov_b32_e32 v2, v0
	s_andn2_b64 exec, exec, s[14:15]
	s_cbranch_execnz .LBB11_1138
.LBB11_1139:
	s_or_b64 exec, exec, s[12:13]
	v_mov_b32_e32 v3, 0
	global_load_dwordx2 v[0:1], v3, s[44:45] offset:16
	s_mov_b64 s[12:13], exec
	v_mbcnt_lo_u32_b32 v2, s12, 0
	v_mbcnt_hi_u32_b32 v2, s13, v2
	v_cmp_eq_u32_e32 vcc, 0, v2
	s_and_saveexec_b64 s[14:15], vcc
	s_cbranch_execz .LBB11_1141
; %bb.1140:
	s_bcnt1_i32_b64 s12, s[12:13]
	v_mov_b32_e32 v2, s12
	s_waitcnt vmcnt(0)
	global_atomic_add_x2 v[0:1], v[2:3], off offset:8
.LBB11_1141:
	s_or_b64 exec, exec, s[14:15]
	s_waitcnt vmcnt(0)
	global_load_dwordx2 v[2:3], v[0:1], off offset:16
	s_waitcnt vmcnt(0)
	v_cmp_eq_u64_e32 vcc, 0, v[2:3]
	s_cbranch_vccnz .LBB11_1143
; %bb.1142:
	global_load_dword v0, v[0:1], off offset:24
	v_mov_b32_e32 v1, 0
	s_waitcnt vmcnt(0)
	global_store_dwordx2 v[2:3], v[0:1], off
	v_and_b32_e32 v0, 0xffffff, v0
	v_readfirstlane_b32 m0, v0
	s_sendmsg sendmsg(MSG_INTERRUPT)
.LBB11_1143:
	s_or_b64 exec, exec, s[10:11]
	s_branch .LBB11_1147
.LBB11_1144:                            ;   in Loop: Header=BB11_1147 Depth=1
	s_or_b64 exec, exec, s[10:11]
	v_readfirstlane_b32 s10, v0
	s_cmp_eq_u32 s10, 0
	s_cbranch_scc1 .LBB11_1146
; %bb.1145:                             ;   in Loop: Header=BB11_1147 Depth=1
	s_sleep 1
	s_cbranch_execnz .LBB11_1147
	s_branch .LBB11_1149
.LBB11_1146:
	s_branch .LBB11_1149
.LBB11_1147:                            ; =>This Inner Loop Header: Depth=1
	v_mov_b32_e32 v0, 1
	s_and_saveexec_b64 s[10:11], s[4:5]
	s_cbranch_execz .LBB11_1144
; %bb.1148:                             ;   in Loop: Header=BB11_1147 Depth=1
	global_load_dword v0, v[8:9], off offset:20 glc
	s_waitcnt vmcnt(0)
	buffer_wbinvl1_vol
	v_and_b32_e32 v0, 1, v0
	s_branch .LBB11_1144
.LBB11_1149:
	global_load_dwordx2 v[2:3], v[6:7], off
	s_and_saveexec_b64 s[10:11], s[4:5]
	s_cbranch_execz .LBB11_1152
; %bb.1150:
	v_mov_b32_e32 v8, 0
	global_load_dwordx2 v[0:1], v8, s[44:45] offset:40
	global_load_dwordx2 v[9:10], v8, s[44:45] offset:24 glc
	global_load_dwordx2 v[11:12], v8, s[44:45]
	v_mov_b32_e32 v5, s9
	s_mov_b64 s[4:5], 0
	s_waitcnt vmcnt(2)
	v_add_co_u32_e32 v6, vcc, 1, v0
	v_addc_co_u32_e32 v7, vcc, 0, v1, vcc
	v_add_co_u32_e32 v4, vcc, s8, v6
	v_addc_co_u32_e32 v5, vcc, v7, v5, vcc
	v_cmp_eq_u64_e32 vcc, 0, v[4:5]
	v_cndmask_b32_e32 v5, v5, v7, vcc
	v_cndmask_b32_e32 v4, v4, v6, vcc
	v_and_b32_e32 v1, v5, v1
	v_and_b32_e32 v0, v4, v0
	v_mul_lo_u32 v1, v1, 24
	v_mul_hi_u32 v7, v0, 24
	v_mul_lo_u32 v0, v0, 24
	s_waitcnt vmcnt(1)
	v_mov_b32_e32 v6, v9
	v_add_u32_e32 v1, v7, v1
	s_waitcnt vmcnt(0)
	v_add_co_u32_e32 v0, vcc, v11, v0
	v_addc_co_u32_e32 v1, vcc, v12, v1, vcc
	global_store_dwordx2 v[0:1], v[9:10], off
	v_mov_b32_e32 v7, v10
	s_waitcnt vmcnt(0)
	global_atomic_cmpswap_x2 v[6:7], v8, v[4:7], s[44:45] offset:24 glc
	s_waitcnt vmcnt(0)
	v_cmp_ne_u64_e32 vcc, v[6:7], v[9:10]
	s_and_b64 exec, exec, vcc
	s_cbranch_execz .LBB11_1152
.LBB11_1151:                            ; =>This Inner Loop Header: Depth=1
	s_sleep 1
	global_store_dwordx2 v[0:1], v[6:7], off
	s_waitcnt vmcnt(0)
	global_atomic_cmpswap_x2 v[9:10], v8, v[4:7], s[44:45] offset:24 glc
	s_waitcnt vmcnt(0)
	v_cmp_eq_u64_e32 vcc, v[9:10], v[6:7]
	v_mov_b32_e32 v6, v9
	s_or_b64 s[4:5], vcc, s[4:5]
	v_mov_b32_e32 v7, v10
	s_andn2_b64 exec, exec, s[4:5]
	s_cbranch_execnz .LBB11_1151
.LBB11_1152:
	s_or_b64 exec, exec, s[10:11]
.LBB11_1153:
	v_readfirstlane_b32 s4, v42
	s_waitcnt vmcnt(0)
	v_mov_b32_e32 v0, 0
	v_mov_b32_e32 v1, 0
	v_cmp_eq_u32_e64 s[4:5], s4, v42
	s_and_saveexec_b64 s[8:9], s[4:5]
	s_cbranch_execz .LBB11_1159
; %bb.1154:
	v_mov_b32_e32 v4, 0
	global_load_dwordx2 v[7:8], v4, s[44:45] offset:24 glc
	s_waitcnt vmcnt(0)
	buffer_wbinvl1_vol
	global_load_dwordx2 v[0:1], v4, s[44:45] offset:40
	global_load_dwordx2 v[5:6], v4, s[44:45]
	s_waitcnt vmcnt(1)
	v_and_b32_e32 v0, v0, v7
	v_and_b32_e32 v1, v1, v8
	v_mul_lo_u32 v1, v1, 24
	v_mul_hi_u32 v9, v0, 24
	v_mul_lo_u32 v0, v0, 24
	v_add_u32_e32 v1, v9, v1
	s_waitcnt vmcnt(0)
	v_add_co_u32_e32 v0, vcc, v5, v0
	v_addc_co_u32_e32 v1, vcc, v6, v1, vcc
	global_load_dwordx2 v[5:6], v[0:1], off glc
	s_waitcnt vmcnt(0)
	global_atomic_cmpswap_x2 v[0:1], v4, v[5:8], s[44:45] offset:24 glc
	s_waitcnt vmcnt(0)
	buffer_wbinvl1_vol
	v_cmp_ne_u64_e32 vcc, v[0:1], v[7:8]
	s_and_saveexec_b64 s[10:11], vcc
	s_cbranch_execz .LBB11_1158
; %bb.1155:
	s_mov_b64 s[12:13], 0
.LBB11_1156:                            ; =>This Inner Loop Header: Depth=1
	s_sleep 1
	global_load_dwordx2 v[5:6], v4, s[44:45] offset:40
	global_load_dwordx2 v[9:10], v4, s[44:45]
	v_mov_b32_e32 v8, v1
	v_mov_b32_e32 v7, v0
	s_waitcnt vmcnt(1)
	v_and_b32_e32 v0, v5, v7
	s_waitcnt vmcnt(0)
	v_mad_u64_u32 v[0:1], s[14:15], v0, 24, v[9:10]
	v_and_b32_e32 v5, v6, v8
	v_mad_u64_u32 v[5:6], s[14:15], v5, 24, v[1:2]
	v_mov_b32_e32 v1, v5
	global_load_dwordx2 v[5:6], v[0:1], off glc
	s_waitcnt vmcnt(0)
	global_atomic_cmpswap_x2 v[0:1], v4, v[5:8], s[44:45] offset:24 glc
	s_waitcnt vmcnt(0)
	buffer_wbinvl1_vol
	v_cmp_eq_u64_e32 vcc, v[0:1], v[7:8]
	s_or_b64 s[12:13], vcc, s[12:13]
	s_andn2_b64 exec, exec, s[12:13]
	s_cbranch_execnz .LBB11_1156
; %bb.1157:
	s_or_b64 exec, exec, s[12:13]
.LBB11_1158:
	s_or_b64 exec, exec, s[10:11]
.LBB11_1159:
	s_or_b64 exec, exec, s[8:9]
	v_mov_b32_e32 v5, 0
	global_load_dwordx2 v[10:11], v5, s[44:45] offset:40
	global_load_dwordx4 v[6:9], v5, s[44:45]
	v_readfirstlane_b32 s8, v0
	v_readfirstlane_b32 s9, v1
	s_mov_b64 s[10:11], exec
	s_waitcnt vmcnt(1)
	v_readfirstlane_b32 s12, v10
	v_readfirstlane_b32 s13, v11
	s_and_b64 s[12:13], s[8:9], s[12:13]
	s_mul_i32 s14, s13, 24
	s_mul_hi_u32 s15, s12, 24
	s_mul_i32 s16, s12, 24
	s_add_i32 s14, s15, s14
	v_mov_b32_e32 v0, s14
	s_waitcnt vmcnt(0)
	v_add_co_u32_e32 v10, vcc, s16, v6
	v_addc_co_u32_e32 v11, vcc, v7, v0, vcc
	s_and_saveexec_b64 s[14:15], s[4:5]
	s_cbranch_execz .LBB11_1161
; %bb.1160:
	v_mov_b32_e32 v13, s11
	v_mov_b32_e32 v12, s10
	;; [unrolled: 1-line block ×4, first 2 shown]
	global_store_dwordx4 v[10:11], v[12:15], off offset:8
.LBB11_1161:
	s_or_b64 exec, exec, s[14:15]
	s_lshl_b64 s[10:11], s[12:13], 12
	v_mov_b32_e32 v0, s11
	v_add_co_u32_e32 v1, vcc, s10, v8
	v_addc_co_u32_e32 v0, vcc, v9, v0, vcc
	s_movk_i32 s10, 0xff1d
	v_and_or_b32 v2, v2, s10, 34
	s_mov_b32 s12, 0
	v_mov_b32_e32 v4, 58
	v_readfirstlane_b32 s10, v1
	v_readfirstlane_b32 s11, v0
	s_mov_b32 s13, s12
	s_mov_b32 s14, s12
	;; [unrolled: 1-line block ×3, first 2 shown]
	s_nop 1
	global_store_dwordx4 v41, v[2:5], s[10:11]
	v_mov_b32_e32 v0, s12
	v_mov_b32_e32 v1, s13
	;; [unrolled: 1-line block ×4, first 2 shown]
	global_store_dwordx4 v41, v[0:3], s[10:11] offset:16
	global_store_dwordx4 v41, v[0:3], s[10:11] offset:32
	;; [unrolled: 1-line block ×3, first 2 shown]
	s_and_saveexec_b64 s[10:11], s[4:5]
	s_cbranch_execz .LBB11_1169
; %bb.1162:
	v_mov_b32_e32 v8, 0
	global_load_dwordx2 v[14:15], v8, s[44:45] offset:32 glc
	global_load_dwordx2 v[0:1], v8, s[44:45] offset:40
	v_mov_b32_e32 v12, s8
	v_mov_b32_e32 v13, s9
	s_waitcnt vmcnt(0)
	v_readfirstlane_b32 s12, v0
	v_readfirstlane_b32 s13, v1
	s_and_b64 s[12:13], s[12:13], s[8:9]
	s_mul_i32 s13, s13, 24
	s_mul_hi_u32 s14, s12, 24
	s_mul_i32 s12, s12, 24
	s_add_i32 s13, s14, s13
	v_mov_b32_e32 v0, s13
	v_add_co_u32_e32 v4, vcc, s12, v6
	v_addc_co_u32_e32 v5, vcc, v7, v0, vcc
	global_store_dwordx2 v[4:5], v[14:15], off
	s_waitcnt vmcnt(0)
	global_atomic_cmpswap_x2 v[2:3], v8, v[12:15], s[44:45] offset:32 glc
	s_waitcnt vmcnt(0)
	v_cmp_ne_u64_e32 vcc, v[2:3], v[14:15]
	s_and_saveexec_b64 s[12:13], vcc
	s_cbranch_execz .LBB11_1165
; %bb.1163:
	s_mov_b64 s[14:15], 0
.LBB11_1164:                            ; =>This Inner Loop Header: Depth=1
	s_sleep 1
	global_store_dwordx2 v[4:5], v[2:3], off
	v_mov_b32_e32 v0, s8
	v_mov_b32_e32 v1, s9
	s_waitcnt vmcnt(0)
	global_atomic_cmpswap_x2 v[0:1], v8, v[0:3], s[44:45] offset:32 glc
	s_waitcnt vmcnt(0)
	v_cmp_eq_u64_e32 vcc, v[0:1], v[2:3]
	v_mov_b32_e32 v3, v1
	s_or_b64 s[14:15], vcc, s[14:15]
	v_mov_b32_e32 v2, v0
	s_andn2_b64 exec, exec, s[14:15]
	s_cbranch_execnz .LBB11_1164
.LBB11_1165:
	s_or_b64 exec, exec, s[12:13]
	v_mov_b32_e32 v3, 0
	global_load_dwordx2 v[0:1], v3, s[44:45] offset:16
	s_mov_b64 s[12:13], exec
	v_mbcnt_lo_u32_b32 v2, s12, 0
	v_mbcnt_hi_u32_b32 v2, s13, v2
	v_cmp_eq_u32_e32 vcc, 0, v2
	s_and_saveexec_b64 s[14:15], vcc
	s_cbranch_execz .LBB11_1167
; %bb.1166:
	s_bcnt1_i32_b64 s12, s[12:13]
	v_mov_b32_e32 v2, s12
	s_waitcnt vmcnt(0)
	global_atomic_add_x2 v[0:1], v[2:3], off offset:8
.LBB11_1167:
	s_or_b64 exec, exec, s[14:15]
	s_waitcnt vmcnt(0)
	global_load_dwordx2 v[2:3], v[0:1], off offset:16
	s_waitcnt vmcnt(0)
	v_cmp_eq_u64_e32 vcc, 0, v[2:3]
	s_cbranch_vccnz .LBB11_1169
; %bb.1168:
	global_load_dword v0, v[0:1], off offset:24
	v_mov_b32_e32 v1, 0
	s_waitcnt vmcnt(0)
	global_store_dwordx2 v[2:3], v[0:1], off
	v_and_b32_e32 v0, 0xffffff, v0
	v_readfirstlane_b32 m0, v0
	s_sendmsg sendmsg(MSG_INTERRUPT)
.LBB11_1169:
	s_or_b64 exec, exec, s[10:11]
	s_branch .LBB11_1173
.LBB11_1170:                            ;   in Loop: Header=BB11_1173 Depth=1
	s_or_b64 exec, exec, s[10:11]
	v_readfirstlane_b32 s10, v0
	s_cmp_eq_u32 s10, 0
	s_cbranch_scc1 .LBB11_1172
; %bb.1171:                             ;   in Loop: Header=BB11_1173 Depth=1
	s_sleep 1
	s_cbranch_execnz .LBB11_1173
	s_branch .LBB11_1175
.LBB11_1172:
	s_branch .LBB11_1175
.LBB11_1173:                            ; =>This Inner Loop Header: Depth=1
	v_mov_b32_e32 v0, 1
	s_and_saveexec_b64 s[10:11], s[4:5]
	s_cbranch_execz .LBB11_1170
; %bb.1174:                             ;   in Loop: Header=BB11_1173 Depth=1
	global_load_dword v0, v[10:11], off offset:20 glc
	s_waitcnt vmcnt(0)
	buffer_wbinvl1_vol
	v_and_b32_e32 v0, 1, v0
	s_branch .LBB11_1170
.LBB11_1175:
	s_and_saveexec_b64 s[10:11], s[4:5]
	s_cbranch_execz .LBB11_1178
; %bb.1176:
	v_mov_b32_e32 v6, 0
	global_load_dwordx2 v[2:3], v6, s[44:45] offset:40
	global_load_dwordx2 v[7:8], v6, s[44:45] offset:24 glc
	global_load_dwordx2 v[4:5], v6, s[44:45]
	v_mov_b32_e32 v1, s9
	s_mov_b64 s[4:5], 0
	s_waitcnt vmcnt(2)
	v_add_co_u32_e32 v9, vcc, 1, v2
	v_addc_co_u32_e32 v10, vcc, 0, v3, vcc
	v_add_co_u32_e32 v0, vcc, s8, v9
	v_addc_co_u32_e32 v1, vcc, v10, v1, vcc
	v_cmp_eq_u64_e32 vcc, 0, v[0:1]
	v_cndmask_b32_e32 v1, v1, v10, vcc
	v_cndmask_b32_e32 v0, v0, v9, vcc
	v_and_b32_e32 v3, v1, v3
	v_and_b32_e32 v2, v0, v2
	v_mul_lo_u32 v3, v3, 24
	v_mul_hi_u32 v9, v2, 24
	v_mul_lo_u32 v10, v2, 24
	s_waitcnt vmcnt(1)
	v_mov_b32_e32 v2, v7
	v_add_u32_e32 v3, v9, v3
	s_waitcnt vmcnt(0)
	v_add_co_u32_e32 v4, vcc, v4, v10
	v_addc_co_u32_e32 v5, vcc, v5, v3, vcc
	global_store_dwordx2 v[4:5], v[7:8], off
	v_mov_b32_e32 v3, v8
	s_waitcnt vmcnt(0)
	global_atomic_cmpswap_x2 v[2:3], v6, v[0:3], s[44:45] offset:24 glc
	s_waitcnt vmcnt(0)
	v_cmp_ne_u64_e32 vcc, v[2:3], v[7:8]
	s_and_b64 exec, exec, vcc
	s_cbranch_execz .LBB11_1178
.LBB11_1177:                            ; =>This Inner Loop Header: Depth=1
	s_sleep 1
	global_store_dwordx2 v[4:5], v[2:3], off
	s_waitcnt vmcnt(0)
	global_atomic_cmpswap_x2 v[7:8], v6, v[0:3], s[44:45] offset:24 glc
	s_waitcnt vmcnt(0)
	v_cmp_eq_u64_e32 vcc, v[7:8], v[2:3]
	v_mov_b32_e32 v2, v7
	s_or_b64 s[4:5], vcc, s[4:5]
	v_mov_b32_e32 v3, v8
	s_andn2_b64 exec, exec, s[4:5]
	s_cbranch_execnz .LBB11_1177
.LBB11_1178:
	s_or_b64 exec, exec, s[10:11]
	v_readfirstlane_b32 s4, v42
	v_mov_b32_e32 v5, 0
	v_mov_b32_e32 v6, 0
	v_cmp_eq_u32_e64 s[4:5], s4, v42
	s_and_saveexec_b64 s[8:9], s[4:5]
	s_cbranch_execz .LBB11_1184
; %bb.1179:
	v_mov_b32_e32 v0, 0
	global_load_dwordx2 v[3:4], v0, s[44:45] offset:24 glc
	s_waitcnt vmcnt(0)
	buffer_wbinvl1_vol
	global_load_dwordx2 v[1:2], v0, s[44:45] offset:40
	global_load_dwordx2 v[5:6], v0, s[44:45]
	s_waitcnt vmcnt(1)
	v_and_b32_e32 v1, v1, v3
	v_and_b32_e32 v2, v2, v4
	v_mul_lo_u32 v2, v2, 24
	v_mul_hi_u32 v7, v1, 24
	v_mul_lo_u32 v1, v1, 24
	v_add_u32_e32 v2, v7, v2
	s_waitcnt vmcnt(0)
	v_add_co_u32_e32 v1, vcc, v5, v1
	v_addc_co_u32_e32 v2, vcc, v6, v2, vcc
	global_load_dwordx2 v[1:2], v[1:2], off glc
	s_waitcnt vmcnt(0)
	global_atomic_cmpswap_x2 v[5:6], v0, v[1:4], s[44:45] offset:24 glc
	s_waitcnt vmcnt(0)
	buffer_wbinvl1_vol
	v_cmp_ne_u64_e32 vcc, v[5:6], v[3:4]
	s_and_saveexec_b64 s[10:11], vcc
	s_cbranch_execz .LBB11_1183
; %bb.1180:
	s_mov_b64 s[12:13], 0
.LBB11_1181:                            ; =>This Inner Loop Header: Depth=1
	s_sleep 1
	global_load_dwordx2 v[1:2], v0, s[44:45] offset:40
	global_load_dwordx2 v[7:8], v0, s[44:45]
	v_mov_b32_e32 v3, v5
	v_mov_b32_e32 v4, v6
	s_waitcnt vmcnt(1)
	v_and_b32_e32 v1, v1, v3
	s_waitcnt vmcnt(0)
	v_mad_u64_u32 v[5:6], s[14:15], v1, 24, v[7:8]
	v_and_b32_e32 v2, v2, v4
	v_mov_b32_e32 v1, v6
	v_mad_u64_u32 v[1:2], s[14:15], v2, 24, v[1:2]
	v_mov_b32_e32 v6, v1
	global_load_dwordx2 v[1:2], v[5:6], off glc
	s_waitcnt vmcnt(0)
	global_atomic_cmpswap_x2 v[5:6], v0, v[1:4], s[44:45] offset:24 glc
	s_waitcnt vmcnt(0)
	buffer_wbinvl1_vol
	v_cmp_eq_u64_e32 vcc, v[5:6], v[3:4]
	s_or_b64 s[12:13], vcc, s[12:13]
	s_andn2_b64 exec, exec, s[12:13]
	s_cbranch_execnz .LBB11_1181
; %bb.1182:
	s_or_b64 exec, exec, s[12:13]
.LBB11_1183:
	s_or_b64 exec, exec, s[10:11]
.LBB11_1184:
	s_or_b64 exec, exec, s[8:9]
	v_mov_b32_e32 v4, 0
	global_load_dwordx2 v[7:8], v4, s[44:45] offset:40
	global_load_dwordx4 v[0:3], v4, s[44:45]
	v_readfirstlane_b32 s8, v5
	v_readfirstlane_b32 s9, v6
	s_mov_b64 s[10:11], exec
	s_waitcnt vmcnt(1)
	v_readfirstlane_b32 s12, v7
	v_readfirstlane_b32 s13, v8
	s_and_b64 s[12:13], s[8:9], s[12:13]
	s_mul_i32 s14, s13, 24
	s_mul_hi_u32 s15, s12, 24
	s_mul_i32 s16, s12, 24
	s_add_i32 s14, s15, s14
	v_mov_b32_e32 v5, s14
	s_waitcnt vmcnt(0)
	v_add_co_u32_e32 v7, vcc, s16, v0
	v_addc_co_u32_e32 v8, vcc, v1, v5, vcc
	s_and_saveexec_b64 s[14:15], s[4:5]
	s_cbranch_execz .LBB11_1186
; %bb.1185:
	v_mov_b32_e32 v9, s10
	v_mov_b32_e32 v10, s11
	;; [unrolled: 1-line block ×4, first 2 shown]
	global_store_dwordx4 v[7:8], v[9:12], off offset:8
.LBB11_1186:
	s_or_b64 exec, exec, s[14:15]
	s_lshl_b64 s[10:11], s[12:13], 12
	v_mov_b32_e32 v5, s11
	v_add_co_u32_e32 v2, vcc, s10, v2
	v_addc_co_u32_e32 v11, vcc, v3, v5, vcc
	s_mov_b32 s12, 0
	v_mov_b32_e32 v3, 33
	v_mov_b32_e32 v5, v4
	;; [unrolled: 1-line block ×3, first 2 shown]
	v_readfirstlane_b32 s10, v2
	v_readfirstlane_b32 s11, v11
	v_add_co_u32_e32 v9, vcc, v2, v41
	s_mov_b32 s13, s12
	s_mov_b32 s14, s12
	;; [unrolled: 1-line block ×3, first 2 shown]
	s_nop 0
	global_store_dwordx4 v41, v[3:6], s[10:11]
	v_mov_b32_e32 v2, s12
	v_addc_co_u32_e32 v10, vcc, 0, v11, vcc
	v_mov_b32_e32 v3, s13
	v_mov_b32_e32 v4, s14
	;; [unrolled: 1-line block ×3, first 2 shown]
	global_store_dwordx4 v41, v[2:5], s[10:11] offset:16
	global_store_dwordx4 v41, v[2:5], s[10:11] offset:32
	;; [unrolled: 1-line block ×3, first 2 shown]
	s_and_saveexec_b64 s[10:11], s[4:5]
	s_cbranch_execz .LBB11_1194
; %bb.1187:
	v_mov_b32_e32 v6, 0
	global_load_dwordx2 v[13:14], v6, s[44:45] offset:32 glc
	global_load_dwordx2 v[2:3], v6, s[44:45] offset:40
	v_mov_b32_e32 v11, s8
	v_mov_b32_e32 v12, s9
	s_waitcnt vmcnt(0)
	v_readfirstlane_b32 s12, v2
	v_readfirstlane_b32 s13, v3
	s_and_b64 s[12:13], s[12:13], s[8:9]
	s_mul_i32 s13, s13, 24
	s_mul_hi_u32 s14, s12, 24
	s_mul_i32 s12, s12, 24
	s_add_i32 s13, s14, s13
	v_mov_b32_e32 v2, s13
	v_add_co_u32_e32 v4, vcc, s12, v0
	v_addc_co_u32_e32 v5, vcc, v1, v2, vcc
	global_store_dwordx2 v[4:5], v[13:14], off
	s_waitcnt vmcnt(0)
	global_atomic_cmpswap_x2 v[2:3], v6, v[11:14], s[44:45] offset:32 glc
	s_waitcnt vmcnt(0)
	v_cmp_ne_u64_e32 vcc, v[2:3], v[13:14]
	s_and_saveexec_b64 s[12:13], vcc
	s_cbranch_execz .LBB11_1190
; %bb.1188:
	s_mov_b64 s[14:15], 0
.LBB11_1189:                            ; =>This Inner Loop Header: Depth=1
	s_sleep 1
	global_store_dwordx2 v[4:5], v[2:3], off
	v_mov_b32_e32 v0, s8
	v_mov_b32_e32 v1, s9
	s_waitcnt vmcnt(0)
	global_atomic_cmpswap_x2 v[0:1], v6, v[0:3], s[44:45] offset:32 glc
	s_waitcnt vmcnt(0)
	v_cmp_eq_u64_e32 vcc, v[0:1], v[2:3]
	v_mov_b32_e32 v3, v1
	s_or_b64 s[14:15], vcc, s[14:15]
	v_mov_b32_e32 v2, v0
	s_andn2_b64 exec, exec, s[14:15]
	s_cbranch_execnz .LBB11_1189
.LBB11_1190:
	s_or_b64 exec, exec, s[12:13]
	v_mov_b32_e32 v3, 0
	global_load_dwordx2 v[0:1], v3, s[44:45] offset:16
	s_mov_b64 s[12:13], exec
	v_mbcnt_lo_u32_b32 v2, s12, 0
	v_mbcnt_hi_u32_b32 v2, s13, v2
	v_cmp_eq_u32_e32 vcc, 0, v2
	s_and_saveexec_b64 s[14:15], vcc
	s_cbranch_execz .LBB11_1192
; %bb.1191:
	s_bcnt1_i32_b64 s12, s[12:13]
	v_mov_b32_e32 v2, s12
	s_waitcnt vmcnt(0)
	global_atomic_add_x2 v[0:1], v[2:3], off offset:8
.LBB11_1192:
	s_or_b64 exec, exec, s[14:15]
	s_waitcnt vmcnt(0)
	global_load_dwordx2 v[2:3], v[0:1], off offset:16
	s_waitcnt vmcnt(0)
	v_cmp_eq_u64_e32 vcc, 0, v[2:3]
	s_cbranch_vccnz .LBB11_1194
; %bb.1193:
	global_load_dword v0, v[0:1], off offset:24
	v_mov_b32_e32 v1, 0
	s_waitcnt vmcnt(0)
	global_store_dwordx2 v[2:3], v[0:1], off
	v_and_b32_e32 v0, 0xffffff, v0
	v_readfirstlane_b32 m0, v0
	s_sendmsg sendmsg(MSG_INTERRUPT)
.LBB11_1194:
	s_or_b64 exec, exec, s[10:11]
	s_branch .LBB11_1198
.LBB11_1195:                            ;   in Loop: Header=BB11_1198 Depth=1
	s_or_b64 exec, exec, s[10:11]
	v_readfirstlane_b32 s10, v0
	s_cmp_eq_u32 s10, 0
	s_cbranch_scc1 .LBB11_1197
; %bb.1196:                             ;   in Loop: Header=BB11_1198 Depth=1
	s_sleep 1
	s_cbranch_execnz .LBB11_1198
	s_branch .LBB11_1200
.LBB11_1197:
	s_branch .LBB11_1200
.LBB11_1198:                            ; =>This Inner Loop Header: Depth=1
	v_mov_b32_e32 v0, 1
	s_and_saveexec_b64 s[10:11], s[4:5]
	s_cbranch_execz .LBB11_1195
; %bb.1199:                             ;   in Loop: Header=BB11_1198 Depth=1
	global_load_dword v0, v[7:8], off offset:20 glc
	s_waitcnt vmcnt(0)
	buffer_wbinvl1_vol
	v_and_b32_e32 v0, 1, v0
	s_branch .LBB11_1195
.LBB11_1200:
	global_load_dwordx2 v[0:1], v[9:10], off
	s_and_saveexec_b64 s[10:11], s[4:5]
	s_cbranch_execz .LBB11_1203
; %bb.1201:
	v_mov_b32_e32 v8, 0
	global_load_dwordx2 v[4:5], v8, s[44:45] offset:40
	global_load_dwordx2 v[9:10], v8, s[44:45] offset:24 glc
	global_load_dwordx2 v[6:7], v8, s[44:45]
	v_mov_b32_e32 v3, s9
	s_mov_b64 s[4:5], 0
	s_waitcnt vmcnt(2)
	v_add_co_u32_e32 v11, vcc, 1, v4
	v_addc_co_u32_e32 v12, vcc, 0, v5, vcc
	v_add_co_u32_e32 v2, vcc, s8, v11
	v_addc_co_u32_e32 v3, vcc, v12, v3, vcc
	v_cmp_eq_u64_e32 vcc, 0, v[2:3]
	v_cndmask_b32_e32 v3, v3, v12, vcc
	v_cndmask_b32_e32 v2, v2, v11, vcc
	v_and_b32_e32 v5, v3, v5
	v_and_b32_e32 v4, v2, v4
	v_mul_lo_u32 v5, v5, 24
	v_mul_hi_u32 v11, v4, 24
	v_mul_lo_u32 v12, v4, 24
	s_waitcnt vmcnt(1)
	v_mov_b32_e32 v4, v9
	v_add_u32_e32 v5, v11, v5
	s_waitcnt vmcnt(0)
	v_add_co_u32_e32 v6, vcc, v6, v12
	v_addc_co_u32_e32 v7, vcc, v7, v5, vcc
	global_store_dwordx2 v[6:7], v[9:10], off
	v_mov_b32_e32 v5, v10
	s_waitcnt vmcnt(0)
	global_atomic_cmpswap_x2 v[4:5], v8, v[2:5], s[44:45] offset:24 glc
	s_waitcnt vmcnt(0)
	v_cmp_ne_u64_e32 vcc, v[4:5], v[9:10]
	s_and_b64 exec, exec, vcc
	s_cbranch_execz .LBB11_1203
.LBB11_1202:                            ; =>This Inner Loop Header: Depth=1
	s_sleep 1
	global_store_dwordx2 v[6:7], v[4:5], off
	s_waitcnt vmcnt(0)
	global_atomic_cmpswap_x2 v[9:10], v8, v[2:5], s[44:45] offset:24 glc
	s_waitcnt vmcnt(0)
	v_cmp_eq_u64_e32 vcc, v[9:10], v[4:5]
	v_mov_b32_e32 v4, v9
	s_or_b64 s[4:5], vcc, s[4:5]
	v_mov_b32_e32 v5, v10
	s_andn2_b64 exec, exec, s[4:5]
	s_cbranch_execnz .LBB11_1202
.LBB11_1203:
	s_or_b64 exec, exec, s[10:11]
	s_and_b64 vcc, exec, s[46:47]
	s_cbranch_vccz .LBB11_1288
; %bb.1204:
	s_waitcnt vmcnt(0)
	v_and_b32_e32 v31, 2, v0
	v_mov_b32_e32 v28, 0
	v_and_b32_e32 v2, -3, v0
	v_mov_b32_e32 v3, v1
	s_mov_b64 s[10:11], 3
	v_mov_b32_e32 v6, 2
	v_mov_b32_e32 v7, 1
	s_getpc_b64 s[8:9]
	s_add_u32 s8, s8, .str.8@rel32@lo+4
	s_addc_u32 s9, s9, .str.8@rel32@hi+12
	s_branch .LBB11_1206
.LBB11_1205:                            ;   in Loop: Header=BB11_1206 Depth=1
	s_or_b64 exec, exec, s[16:17]
	s_sub_u32 s10, s10, s12
	s_subb_u32 s11, s11, s13
	s_add_u32 s8, s8, s12
	s_addc_u32 s9, s9, s13
	s_cmp_lg_u64 s[10:11], 0
	s_cbranch_scc0 .LBB11_1287
.LBB11_1206:                            ; =>This Loop Header: Depth=1
                                        ;     Child Loop BB11_1209 Depth 2
                                        ;     Child Loop BB11_1216 Depth 2
	;; [unrolled: 1-line block ×11, first 2 shown]
	v_cmp_lt_u64_e64 s[4:5], s[10:11], 56
	v_cmp_gt_u64_e64 s[14:15], s[10:11], 7
	s_and_b64 s[4:5], s[4:5], exec
	s_cselect_b32 s13, s11, 0
	s_cselect_b32 s12, s10, 56
	s_and_b64 vcc, exec, s[14:15]
	s_cbranch_vccnz .LBB11_1211
; %bb.1207:                             ;   in Loop: Header=BB11_1206 Depth=1
	v_mov_b32_e32 v10, 0
	s_cmp_eq_u64 s[10:11], 0
	v_mov_b32_e32 v11, 0
	s_mov_b64 s[4:5], 0
	s_cbranch_scc1 .LBB11_1210
; %bb.1208:                             ;   in Loop: Header=BB11_1206 Depth=1
	v_mov_b32_e32 v10, 0
	s_lshl_b64 s[14:15], s[12:13], 3
	s_mov_b64 s[16:17], 0
	v_mov_b32_e32 v11, 0
	s_mov_b64 s[18:19], s[8:9]
.LBB11_1209:                            ;   Parent Loop BB11_1206 Depth=1
                                        ; =>  This Inner Loop Header: Depth=2
	global_load_ubyte v4, v28, s[18:19]
	s_waitcnt vmcnt(0)
	v_and_b32_e32 v27, 0xffff, v4
	v_lshlrev_b64 v[4:5], s16, v[27:28]
	s_add_u32 s16, s16, 8
	s_addc_u32 s17, s17, 0
	s_add_u32 s18, s18, 1
	s_addc_u32 s19, s19, 0
	v_or_b32_e32 v10, v4, v10
	s_cmp_lg_u32 s14, s16
	v_or_b32_e32 v11, v5, v11
	s_cbranch_scc1 .LBB11_1209
.LBB11_1210:                            ;   in Loop: Header=BB11_1206 Depth=1
	s_mov_b32 s18, 0
	s_andn2_b64 vcc, exec, s[4:5]
	s_mov_b64 s[4:5], s[8:9]
	s_cbranch_vccz .LBB11_1212
	s_branch .LBB11_1213
.LBB11_1211:                            ;   in Loop: Header=BB11_1206 Depth=1
                                        ; implicit-def: $vgpr10_vgpr11
                                        ; implicit-def: $sgpr18
	s_mov_b64 s[4:5], s[8:9]
.LBB11_1212:                            ;   in Loop: Header=BB11_1206 Depth=1
	global_load_dwordx2 v[10:11], v28, s[8:9]
	s_add_i32 s18, s12, -8
	s_add_u32 s4, s8, 8
	s_addc_u32 s5, s9, 0
.LBB11_1213:                            ;   in Loop: Header=BB11_1206 Depth=1
	s_cmp_gt_u32 s18, 7
	s_cbranch_scc1 .LBB11_1217
; %bb.1214:                             ;   in Loop: Header=BB11_1206 Depth=1
	s_cmp_eq_u32 s18, 0
	s_cbranch_scc1 .LBB11_1218
; %bb.1215:                             ;   in Loop: Header=BB11_1206 Depth=1
	v_mov_b32_e32 v12, 0
	s_mov_b64 s[14:15], 0
	v_mov_b32_e32 v13, 0
	s_mov_b64 s[16:17], 0
.LBB11_1216:                            ;   Parent Loop BB11_1206 Depth=1
                                        ; =>  This Inner Loop Header: Depth=2
	s_add_u32 s20, s4, s16
	s_addc_u32 s21, s5, s17
	global_load_ubyte v4, v28, s[20:21]
	s_add_u32 s16, s16, 1
	s_addc_u32 s17, s17, 0
	s_waitcnt vmcnt(0)
	v_and_b32_e32 v27, 0xffff, v4
	v_lshlrev_b64 v[4:5], s14, v[27:28]
	s_add_u32 s14, s14, 8
	s_addc_u32 s15, s15, 0
	v_or_b32_e32 v12, v4, v12
	s_cmp_lg_u32 s18, s16
	v_or_b32_e32 v13, v5, v13
	s_cbranch_scc1 .LBB11_1216
	s_branch .LBB11_1219
.LBB11_1217:                            ;   in Loop: Header=BB11_1206 Depth=1
                                        ; implicit-def: $vgpr12_vgpr13
                                        ; implicit-def: $sgpr19
	s_branch .LBB11_1220
.LBB11_1218:                            ;   in Loop: Header=BB11_1206 Depth=1
	v_mov_b32_e32 v12, 0
	v_mov_b32_e32 v13, 0
.LBB11_1219:                            ;   in Loop: Header=BB11_1206 Depth=1
	s_mov_b32 s19, 0
	s_cbranch_execnz .LBB11_1221
.LBB11_1220:                            ;   in Loop: Header=BB11_1206 Depth=1
	global_load_dwordx2 v[12:13], v28, s[4:5]
	s_add_i32 s19, s18, -8
	s_add_u32 s4, s4, 8
	s_addc_u32 s5, s5, 0
.LBB11_1221:                            ;   in Loop: Header=BB11_1206 Depth=1
	s_cmp_gt_u32 s19, 7
	s_cbranch_scc1 .LBB11_1225
; %bb.1222:                             ;   in Loop: Header=BB11_1206 Depth=1
	s_cmp_eq_u32 s19, 0
	s_cbranch_scc1 .LBB11_1226
; %bb.1223:                             ;   in Loop: Header=BB11_1206 Depth=1
	v_mov_b32_e32 v14, 0
	s_mov_b64 s[14:15], 0
	v_mov_b32_e32 v15, 0
	s_mov_b64 s[16:17], 0
.LBB11_1224:                            ;   Parent Loop BB11_1206 Depth=1
                                        ; =>  This Inner Loop Header: Depth=2
	s_add_u32 s20, s4, s16
	s_addc_u32 s21, s5, s17
	global_load_ubyte v4, v28, s[20:21]
	s_add_u32 s16, s16, 1
	s_addc_u32 s17, s17, 0
	s_waitcnt vmcnt(0)
	v_and_b32_e32 v27, 0xffff, v4
	v_lshlrev_b64 v[4:5], s14, v[27:28]
	s_add_u32 s14, s14, 8
	s_addc_u32 s15, s15, 0
	v_or_b32_e32 v14, v4, v14
	s_cmp_lg_u32 s19, s16
	v_or_b32_e32 v15, v5, v15
	s_cbranch_scc1 .LBB11_1224
	s_branch .LBB11_1227
.LBB11_1225:                            ;   in Loop: Header=BB11_1206 Depth=1
                                        ; implicit-def: $sgpr18
	s_branch .LBB11_1228
.LBB11_1226:                            ;   in Loop: Header=BB11_1206 Depth=1
	v_mov_b32_e32 v14, 0
	v_mov_b32_e32 v15, 0
.LBB11_1227:                            ;   in Loop: Header=BB11_1206 Depth=1
	s_mov_b32 s18, 0
	s_cbranch_execnz .LBB11_1229
.LBB11_1228:                            ;   in Loop: Header=BB11_1206 Depth=1
	global_load_dwordx2 v[14:15], v28, s[4:5]
	s_add_i32 s18, s19, -8
	s_add_u32 s4, s4, 8
	s_addc_u32 s5, s5, 0
.LBB11_1229:                            ;   in Loop: Header=BB11_1206 Depth=1
	s_cmp_gt_u32 s18, 7
	s_cbranch_scc1 .LBB11_1233
; %bb.1230:                             ;   in Loop: Header=BB11_1206 Depth=1
	s_cmp_eq_u32 s18, 0
	s_cbranch_scc1 .LBB11_1234
; %bb.1231:                             ;   in Loop: Header=BB11_1206 Depth=1
	v_mov_b32_e32 v16, 0
	s_mov_b64 s[14:15], 0
	v_mov_b32_e32 v17, 0
	s_mov_b64 s[16:17], 0
.LBB11_1232:                            ;   Parent Loop BB11_1206 Depth=1
                                        ; =>  This Inner Loop Header: Depth=2
	s_add_u32 s20, s4, s16
	s_addc_u32 s21, s5, s17
	global_load_ubyte v4, v28, s[20:21]
	s_add_u32 s16, s16, 1
	s_addc_u32 s17, s17, 0
	s_waitcnt vmcnt(0)
	v_and_b32_e32 v27, 0xffff, v4
	v_lshlrev_b64 v[4:5], s14, v[27:28]
	s_add_u32 s14, s14, 8
	s_addc_u32 s15, s15, 0
	v_or_b32_e32 v16, v4, v16
	s_cmp_lg_u32 s18, s16
	v_or_b32_e32 v17, v5, v17
	s_cbranch_scc1 .LBB11_1232
	s_branch .LBB11_1235
.LBB11_1233:                            ;   in Loop: Header=BB11_1206 Depth=1
                                        ; implicit-def: $vgpr16_vgpr17
                                        ; implicit-def: $sgpr19
	s_branch .LBB11_1236
.LBB11_1234:                            ;   in Loop: Header=BB11_1206 Depth=1
	v_mov_b32_e32 v16, 0
	v_mov_b32_e32 v17, 0
.LBB11_1235:                            ;   in Loop: Header=BB11_1206 Depth=1
	s_mov_b32 s19, 0
	s_cbranch_execnz .LBB11_1237
.LBB11_1236:                            ;   in Loop: Header=BB11_1206 Depth=1
	global_load_dwordx2 v[16:17], v28, s[4:5]
	s_add_i32 s19, s18, -8
	s_add_u32 s4, s4, 8
	s_addc_u32 s5, s5, 0
.LBB11_1237:                            ;   in Loop: Header=BB11_1206 Depth=1
	s_cmp_gt_u32 s19, 7
	s_cbranch_scc1 .LBB11_1241
; %bb.1238:                             ;   in Loop: Header=BB11_1206 Depth=1
	s_cmp_eq_u32 s19, 0
	s_cbranch_scc1 .LBB11_1242
; %bb.1239:                             ;   in Loop: Header=BB11_1206 Depth=1
	v_mov_b32_e32 v18, 0
	s_mov_b64 s[14:15], 0
	v_mov_b32_e32 v19, 0
	s_mov_b64 s[16:17], 0
.LBB11_1240:                            ;   Parent Loop BB11_1206 Depth=1
                                        ; =>  This Inner Loop Header: Depth=2
	s_add_u32 s20, s4, s16
	s_addc_u32 s21, s5, s17
	global_load_ubyte v4, v28, s[20:21]
	s_add_u32 s16, s16, 1
	s_addc_u32 s17, s17, 0
	s_waitcnt vmcnt(0)
	v_and_b32_e32 v27, 0xffff, v4
	v_lshlrev_b64 v[4:5], s14, v[27:28]
	s_add_u32 s14, s14, 8
	s_addc_u32 s15, s15, 0
	v_or_b32_e32 v18, v4, v18
	s_cmp_lg_u32 s19, s16
	v_or_b32_e32 v19, v5, v19
	s_cbranch_scc1 .LBB11_1240
	s_branch .LBB11_1243
.LBB11_1241:                            ;   in Loop: Header=BB11_1206 Depth=1
                                        ; implicit-def: $sgpr18
	s_branch .LBB11_1244
.LBB11_1242:                            ;   in Loop: Header=BB11_1206 Depth=1
	v_mov_b32_e32 v18, 0
	v_mov_b32_e32 v19, 0
.LBB11_1243:                            ;   in Loop: Header=BB11_1206 Depth=1
	s_mov_b32 s18, 0
	s_cbranch_execnz .LBB11_1245
.LBB11_1244:                            ;   in Loop: Header=BB11_1206 Depth=1
	global_load_dwordx2 v[18:19], v28, s[4:5]
	s_add_i32 s18, s19, -8
	s_add_u32 s4, s4, 8
	s_addc_u32 s5, s5, 0
.LBB11_1245:                            ;   in Loop: Header=BB11_1206 Depth=1
	s_cmp_gt_u32 s18, 7
	s_cbranch_scc1 .LBB11_1249
; %bb.1246:                             ;   in Loop: Header=BB11_1206 Depth=1
	s_cmp_eq_u32 s18, 0
	s_cbranch_scc1 .LBB11_1250
; %bb.1247:                             ;   in Loop: Header=BB11_1206 Depth=1
	v_mov_b32_e32 v20, 0
	s_mov_b64 s[14:15], 0
	v_mov_b32_e32 v21, 0
	s_mov_b64 s[16:17], 0
.LBB11_1248:                            ;   Parent Loop BB11_1206 Depth=1
                                        ; =>  This Inner Loop Header: Depth=2
	s_add_u32 s20, s4, s16
	s_addc_u32 s21, s5, s17
	global_load_ubyte v4, v28, s[20:21]
	s_add_u32 s16, s16, 1
	s_addc_u32 s17, s17, 0
	s_waitcnt vmcnt(0)
	v_and_b32_e32 v27, 0xffff, v4
	v_lshlrev_b64 v[4:5], s14, v[27:28]
	s_add_u32 s14, s14, 8
	s_addc_u32 s15, s15, 0
	v_or_b32_e32 v20, v4, v20
	s_cmp_lg_u32 s18, s16
	v_or_b32_e32 v21, v5, v21
	s_cbranch_scc1 .LBB11_1248
	s_branch .LBB11_1251
.LBB11_1249:                            ;   in Loop: Header=BB11_1206 Depth=1
                                        ; implicit-def: $vgpr20_vgpr21
                                        ; implicit-def: $sgpr19
	s_branch .LBB11_1252
.LBB11_1250:                            ;   in Loop: Header=BB11_1206 Depth=1
	v_mov_b32_e32 v20, 0
	v_mov_b32_e32 v21, 0
.LBB11_1251:                            ;   in Loop: Header=BB11_1206 Depth=1
	s_mov_b32 s19, 0
	s_cbranch_execnz .LBB11_1253
.LBB11_1252:                            ;   in Loop: Header=BB11_1206 Depth=1
	global_load_dwordx2 v[20:21], v28, s[4:5]
	s_add_i32 s19, s18, -8
	s_add_u32 s4, s4, 8
	s_addc_u32 s5, s5, 0
.LBB11_1253:                            ;   in Loop: Header=BB11_1206 Depth=1
	s_cmp_gt_u32 s19, 7
	s_cbranch_scc1 .LBB11_1257
; %bb.1254:                             ;   in Loop: Header=BB11_1206 Depth=1
	s_cmp_eq_u32 s19, 0
	s_cbranch_scc1 .LBB11_1258
; %bb.1255:                             ;   in Loop: Header=BB11_1206 Depth=1
	v_mov_b32_e32 v22, 0
	s_mov_b64 s[14:15], 0
	v_mov_b32_e32 v23, 0
	s_mov_b64 s[16:17], s[4:5]
.LBB11_1256:                            ;   Parent Loop BB11_1206 Depth=1
                                        ; =>  This Inner Loop Header: Depth=2
	global_load_ubyte v4, v28, s[16:17]
	s_add_i32 s19, s19, -1
	s_waitcnt vmcnt(0)
	v_and_b32_e32 v27, 0xffff, v4
	v_lshlrev_b64 v[4:5], s14, v[27:28]
	s_add_u32 s14, s14, 8
	s_addc_u32 s15, s15, 0
	s_add_u32 s16, s16, 1
	s_addc_u32 s17, s17, 0
	v_or_b32_e32 v22, v4, v22
	s_cmp_lg_u32 s19, 0
	v_or_b32_e32 v23, v5, v23
	s_cbranch_scc1 .LBB11_1256
	s_branch .LBB11_1259
.LBB11_1257:                            ;   in Loop: Header=BB11_1206 Depth=1
	s_branch .LBB11_1260
.LBB11_1258:                            ;   in Loop: Header=BB11_1206 Depth=1
	v_mov_b32_e32 v22, 0
	v_mov_b32_e32 v23, 0
.LBB11_1259:                            ;   in Loop: Header=BB11_1206 Depth=1
	s_cbranch_execnz .LBB11_1261
.LBB11_1260:                            ;   in Loop: Header=BB11_1206 Depth=1
	global_load_dwordx2 v[22:23], v28, s[4:5]
.LBB11_1261:                            ;   in Loop: Header=BB11_1206 Depth=1
	v_readfirstlane_b32 s4, v42
	s_waitcnt vmcnt(0)
	v_mov_b32_e32 v4, 0
	v_mov_b32_e32 v5, 0
	v_cmp_eq_u32_e64 s[4:5], s4, v42
	s_and_saveexec_b64 s[14:15], s[4:5]
	s_cbranch_execz .LBB11_1267
; %bb.1262:                             ;   in Loop: Header=BB11_1206 Depth=1
	global_load_dwordx2 v[26:27], v28, s[44:45] offset:24 glc
	s_waitcnt vmcnt(0)
	buffer_wbinvl1_vol
	global_load_dwordx2 v[4:5], v28, s[44:45] offset:40
	global_load_dwordx2 v[8:9], v28, s[44:45]
	s_waitcnt vmcnt(1)
	v_and_b32_e32 v4, v4, v26
	v_and_b32_e32 v5, v5, v27
	v_mul_lo_u32 v5, v5, 24
	v_mul_hi_u32 v24, v4, 24
	v_mul_lo_u32 v4, v4, 24
	v_add_u32_e32 v5, v24, v5
	s_waitcnt vmcnt(0)
	v_add_co_u32_e32 v4, vcc, v8, v4
	v_addc_co_u32_e32 v5, vcc, v9, v5, vcc
	global_load_dwordx2 v[24:25], v[4:5], off glc
	s_waitcnt vmcnt(0)
	global_atomic_cmpswap_x2 v[4:5], v28, v[24:27], s[44:45] offset:24 glc
	s_waitcnt vmcnt(0)
	buffer_wbinvl1_vol
	v_cmp_ne_u64_e32 vcc, v[4:5], v[26:27]
	s_and_saveexec_b64 s[16:17], vcc
	s_cbranch_execz .LBB11_1266
; %bb.1263:                             ;   in Loop: Header=BB11_1206 Depth=1
	s_mov_b64 s[18:19], 0
.LBB11_1264:                            ;   Parent Loop BB11_1206 Depth=1
                                        ; =>  This Inner Loop Header: Depth=2
	s_sleep 1
	global_load_dwordx2 v[8:9], v28, s[44:45] offset:40
	global_load_dwordx2 v[24:25], v28, s[44:45]
	v_mov_b32_e32 v27, v5
	v_mov_b32_e32 v26, v4
	s_waitcnt vmcnt(1)
	v_and_b32_e32 v4, v8, v26
	s_waitcnt vmcnt(0)
	v_mad_u64_u32 v[4:5], s[20:21], v4, 24, v[24:25]
	v_and_b32_e32 v8, v9, v27
	v_mad_u64_u32 v[8:9], s[20:21], v8, 24, v[5:6]
	v_mov_b32_e32 v5, v8
	global_load_dwordx2 v[24:25], v[4:5], off glc
	s_waitcnt vmcnt(0)
	global_atomic_cmpswap_x2 v[4:5], v28, v[24:27], s[44:45] offset:24 glc
	s_waitcnt vmcnt(0)
	buffer_wbinvl1_vol
	v_cmp_eq_u64_e32 vcc, v[4:5], v[26:27]
	s_or_b64 s[18:19], vcc, s[18:19]
	s_andn2_b64 exec, exec, s[18:19]
	s_cbranch_execnz .LBB11_1264
; %bb.1265:                             ;   in Loop: Header=BB11_1206 Depth=1
	s_or_b64 exec, exec, s[18:19]
.LBB11_1266:                            ;   in Loop: Header=BB11_1206 Depth=1
	s_or_b64 exec, exec, s[16:17]
.LBB11_1267:                            ;   in Loop: Header=BB11_1206 Depth=1
	s_or_b64 exec, exec, s[14:15]
	global_load_dwordx2 v[8:9], v28, s[44:45] offset:40
	global_load_dwordx4 v[24:27], v28, s[44:45]
	v_readfirstlane_b32 s14, v4
	v_readfirstlane_b32 s15, v5
	s_mov_b64 s[18:19], exec
	s_waitcnt vmcnt(1)
	v_readfirstlane_b32 s16, v8
	v_readfirstlane_b32 s17, v9
	s_and_b64 s[16:17], s[14:15], s[16:17]
	s_mul_i32 s20, s17, 24
	s_mul_hi_u32 s21, s16, 24
	s_mul_i32 s22, s16, 24
	s_add_i32 s20, s21, s20
	v_mov_b32_e32 v4, s20
	s_waitcnt vmcnt(0)
	v_add_co_u32_e32 v29, vcc, s22, v24
	v_addc_co_u32_e32 v30, vcc, v25, v4, vcc
	s_and_saveexec_b64 s[20:21], s[4:5]
	s_cbranch_execz .LBB11_1269
; %bb.1268:                             ;   in Loop: Header=BB11_1206 Depth=1
	v_mov_b32_e32 v4, s18
	v_mov_b32_e32 v5, s19
	global_store_dwordx4 v[29:30], v[4:7], off offset:8
.LBB11_1269:                            ;   in Loop: Header=BB11_1206 Depth=1
	s_or_b64 exec, exec, s[20:21]
	v_cmp_gt_u64_e64 vcc, s[10:11], 56
	v_or_b32_e32 v4, 0, v3
	v_cndmask_b32_e32 v9, v4, v3, vcc
	v_or_b32_e32 v3, v2, v31
	s_lshl_b32 s18, s12, 2
	v_cndmask_b32_e32 v2, v3, v2, vcc
	s_add_i32 s18, s18, 28
	s_and_b32 s18, s18, 0x1e0
	v_and_b32_e32 v2, 0xffffff1f, v2
	s_lshl_b64 s[16:17], s[16:17], 12
	v_or_b32_e32 v8, s18, v2
	v_mov_b32_e32 v2, s17
	v_add_co_u32_e32 v26, vcc, s16, v26
	v_addc_co_u32_e32 v32, vcc, v27, v2, vcc
	v_readfirstlane_b32 s16, v26
	v_readfirstlane_b32 s17, v32
	s_nop 4
	global_store_dwordx4 v41, v[8:11], s[16:17]
	global_store_dwordx4 v41, v[12:15], s[16:17] offset:16
	global_store_dwordx4 v41, v[16:19], s[16:17] offset:32
	;; [unrolled: 1-line block ×3, first 2 shown]
	s_and_saveexec_b64 s[16:17], s[4:5]
	s_cbranch_execz .LBB11_1277
; %bb.1270:                             ;   in Loop: Header=BB11_1206 Depth=1
	global_load_dwordx2 v[12:13], v28, s[44:45] offset:32 glc
	global_load_dwordx2 v[2:3], v28, s[44:45] offset:40
	v_mov_b32_e32 v10, s14
	v_mov_b32_e32 v11, s15
	s_waitcnt vmcnt(0)
	v_readfirstlane_b32 s18, v2
	v_readfirstlane_b32 s19, v3
	s_and_b64 s[18:19], s[18:19], s[14:15]
	s_mul_i32 s19, s19, 24
	s_mul_hi_u32 s20, s18, 24
	s_mul_i32 s18, s18, 24
	s_add_i32 s19, s20, s19
	v_mov_b32_e32 v2, s19
	v_add_co_u32_e32 v8, vcc, s18, v24
	v_addc_co_u32_e32 v9, vcc, v25, v2, vcc
	global_store_dwordx2 v[8:9], v[12:13], off
	s_waitcnt vmcnt(0)
	global_atomic_cmpswap_x2 v[4:5], v28, v[10:13], s[44:45] offset:32 glc
	s_waitcnt vmcnt(0)
	v_cmp_ne_u64_e32 vcc, v[4:5], v[12:13]
	s_and_saveexec_b64 s[18:19], vcc
	s_cbranch_execz .LBB11_1273
; %bb.1271:                             ;   in Loop: Header=BB11_1206 Depth=1
	s_mov_b64 s[20:21], 0
.LBB11_1272:                            ;   Parent Loop BB11_1206 Depth=1
                                        ; =>  This Inner Loop Header: Depth=2
	s_sleep 1
	global_store_dwordx2 v[8:9], v[4:5], off
	v_mov_b32_e32 v2, s14
	v_mov_b32_e32 v3, s15
	s_waitcnt vmcnt(0)
	global_atomic_cmpswap_x2 v[2:3], v28, v[2:5], s[44:45] offset:32 glc
	s_waitcnt vmcnt(0)
	v_cmp_eq_u64_e32 vcc, v[2:3], v[4:5]
	v_mov_b32_e32 v5, v3
	s_or_b64 s[20:21], vcc, s[20:21]
	v_mov_b32_e32 v4, v2
	s_andn2_b64 exec, exec, s[20:21]
	s_cbranch_execnz .LBB11_1272
.LBB11_1273:                            ;   in Loop: Header=BB11_1206 Depth=1
	s_or_b64 exec, exec, s[18:19]
	global_load_dwordx2 v[2:3], v28, s[44:45] offset:16
	s_mov_b64 s[20:21], exec
	v_mbcnt_lo_u32_b32 v4, s20, 0
	v_mbcnt_hi_u32_b32 v4, s21, v4
	v_cmp_eq_u32_e32 vcc, 0, v4
	s_and_saveexec_b64 s[18:19], vcc
	s_cbranch_execz .LBB11_1275
; %bb.1274:                             ;   in Loop: Header=BB11_1206 Depth=1
	s_bcnt1_i32_b64 s20, s[20:21]
	v_mov_b32_e32 v27, s20
	s_waitcnt vmcnt(0)
	global_atomic_add_x2 v[2:3], v[27:28], off offset:8
.LBB11_1275:                            ;   in Loop: Header=BB11_1206 Depth=1
	s_or_b64 exec, exec, s[18:19]
	s_waitcnt vmcnt(0)
	global_load_dwordx2 v[4:5], v[2:3], off offset:16
	s_waitcnt vmcnt(0)
	v_cmp_eq_u64_e32 vcc, 0, v[4:5]
	s_cbranch_vccnz .LBB11_1277
; %bb.1276:                             ;   in Loop: Header=BB11_1206 Depth=1
	global_load_dword v27, v[2:3], off offset:24
	s_waitcnt vmcnt(0)
	v_and_b32_e32 v2, 0xffffff, v27
	v_readfirstlane_b32 m0, v2
	global_store_dwordx2 v[4:5], v[27:28], off
	s_sendmsg sendmsg(MSG_INTERRUPT)
.LBB11_1277:                            ;   in Loop: Header=BB11_1206 Depth=1
	s_or_b64 exec, exec, s[16:17]
	v_add_co_u32_e32 v2, vcc, v26, v41
	v_addc_co_u32_e32 v3, vcc, 0, v32, vcc
	s_branch .LBB11_1281
.LBB11_1278:                            ;   in Loop: Header=BB11_1281 Depth=2
	s_or_b64 exec, exec, s[16:17]
	v_readfirstlane_b32 s16, v4
	s_cmp_eq_u32 s16, 0
	s_cbranch_scc1 .LBB11_1280
; %bb.1279:                             ;   in Loop: Header=BB11_1281 Depth=2
	s_sleep 1
	s_cbranch_execnz .LBB11_1281
	s_branch .LBB11_1283
.LBB11_1280:                            ;   in Loop: Header=BB11_1206 Depth=1
	s_branch .LBB11_1283
.LBB11_1281:                            ;   Parent Loop BB11_1206 Depth=1
                                        ; =>  This Inner Loop Header: Depth=2
	v_mov_b32_e32 v4, 1
	s_and_saveexec_b64 s[16:17], s[4:5]
	s_cbranch_execz .LBB11_1278
; %bb.1282:                             ;   in Loop: Header=BB11_1281 Depth=2
	global_load_dword v4, v[29:30], off offset:20 glc
	s_waitcnt vmcnt(0)
	buffer_wbinvl1_vol
	v_and_b32_e32 v4, 1, v4
	s_branch .LBB11_1278
.LBB11_1283:                            ;   in Loop: Header=BB11_1206 Depth=1
	global_load_dwordx4 v[2:5], v[2:3], off
	s_and_saveexec_b64 s[16:17], s[4:5]
	s_cbranch_execz .LBB11_1205
; %bb.1284:                             ;   in Loop: Header=BB11_1206 Depth=1
	global_load_dwordx2 v[4:5], v28, s[44:45] offset:40
	global_load_dwordx2 v[12:13], v28, s[44:45] offset:24 glc
	global_load_dwordx2 v[14:15], v28, s[44:45]
	v_mov_b32_e32 v9, s15
	s_waitcnt vmcnt(2)
	v_add_co_u32_e32 v10, vcc, 1, v4
	v_addc_co_u32_e32 v11, vcc, 0, v5, vcc
	v_add_co_u32_e32 v8, vcc, s14, v10
	v_addc_co_u32_e32 v9, vcc, v11, v9, vcc
	v_cmp_eq_u64_e32 vcc, 0, v[8:9]
	v_cndmask_b32_e32 v9, v9, v11, vcc
	v_cndmask_b32_e32 v8, v8, v10, vcc
	v_and_b32_e32 v5, v9, v5
	v_and_b32_e32 v4, v8, v4
	v_mul_lo_u32 v5, v5, 24
	v_mul_hi_u32 v11, v4, 24
	v_mul_lo_u32 v4, v4, 24
	s_waitcnt vmcnt(1)
	v_mov_b32_e32 v10, v12
	v_add_u32_e32 v5, v11, v5
	s_waitcnt vmcnt(0)
	v_add_co_u32_e32 v4, vcc, v14, v4
	v_addc_co_u32_e32 v5, vcc, v15, v5, vcc
	global_store_dwordx2 v[4:5], v[12:13], off
	v_mov_b32_e32 v11, v13
	s_waitcnt vmcnt(0)
	global_atomic_cmpswap_x2 v[10:11], v28, v[8:11], s[44:45] offset:24 glc
	s_waitcnt vmcnt(0)
	v_cmp_ne_u64_e32 vcc, v[10:11], v[12:13]
	s_and_b64 exec, exec, vcc
	s_cbranch_execz .LBB11_1205
; %bb.1285:                             ;   in Loop: Header=BB11_1206 Depth=1
	s_mov_b64 s[4:5], 0
.LBB11_1286:                            ;   Parent Loop BB11_1206 Depth=1
                                        ; =>  This Inner Loop Header: Depth=2
	s_sleep 1
	global_store_dwordx2 v[4:5], v[10:11], off
	s_waitcnt vmcnt(0)
	global_atomic_cmpswap_x2 v[12:13], v28, v[8:11], s[44:45] offset:24 glc
	s_waitcnt vmcnt(0)
	v_cmp_eq_u64_e32 vcc, v[12:13], v[10:11]
	v_mov_b32_e32 v10, v12
	s_or_b64 s[4:5], vcc, s[4:5]
	v_mov_b32_e32 v11, v13
	s_andn2_b64 exec, exec, s[4:5]
	s_cbranch_execnz .LBB11_1286
	s_branch .LBB11_1205
.LBB11_1287:
	s_mov_b64 s[4:5], 0
	s_branch .LBB11_1289
.LBB11_1288:
	s_mov_b64 s[4:5], -1
                                        ; implicit-def: $vgpr2_vgpr3
.LBB11_1289:
	s_and_b64 vcc, exec, s[4:5]
	s_cbranch_vccz .LBB11_1316
; %bb.1290:
	v_readfirstlane_b32 s4, v42
	v_mov_b32_e32 v8, 0
	v_mov_b32_e32 v9, 0
	v_cmp_eq_u32_e64 s[4:5], s4, v42
	s_and_saveexec_b64 s[8:9], s[4:5]
	s_cbranch_execz .LBB11_1296
; %bb.1291:
	s_waitcnt vmcnt(0)
	v_mov_b32_e32 v2, 0
	global_load_dwordx2 v[5:6], v2, s[44:45] offset:24 glc
	s_waitcnt vmcnt(0)
	buffer_wbinvl1_vol
	global_load_dwordx2 v[3:4], v2, s[44:45] offset:40
	global_load_dwordx2 v[7:8], v2, s[44:45]
	s_waitcnt vmcnt(1)
	v_and_b32_e32 v3, v3, v5
	v_and_b32_e32 v4, v4, v6
	v_mul_lo_u32 v4, v4, 24
	v_mul_hi_u32 v9, v3, 24
	v_mul_lo_u32 v3, v3, 24
	v_add_u32_e32 v4, v9, v4
	s_waitcnt vmcnt(0)
	v_add_co_u32_e32 v3, vcc, v7, v3
	v_addc_co_u32_e32 v4, vcc, v8, v4, vcc
	global_load_dwordx2 v[3:4], v[3:4], off glc
	s_waitcnt vmcnt(0)
	global_atomic_cmpswap_x2 v[8:9], v2, v[3:6], s[44:45] offset:24 glc
	s_waitcnt vmcnt(0)
	buffer_wbinvl1_vol
	v_cmp_ne_u64_e32 vcc, v[8:9], v[5:6]
	s_and_saveexec_b64 s[10:11], vcc
	s_cbranch_execz .LBB11_1295
; %bb.1292:
	s_mov_b64 s[12:13], 0
.LBB11_1293:                            ; =>This Inner Loop Header: Depth=1
	s_sleep 1
	global_load_dwordx2 v[3:4], v2, s[44:45] offset:40
	global_load_dwordx2 v[10:11], v2, s[44:45]
	v_mov_b32_e32 v5, v8
	v_mov_b32_e32 v6, v9
	s_waitcnt vmcnt(1)
	v_and_b32_e32 v3, v3, v5
	s_waitcnt vmcnt(0)
	v_mad_u64_u32 v[7:8], s[14:15], v3, 24, v[10:11]
	v_and_b32_e32 v4, v4, v6
	v_mov_b32_e32 v3, v8
	v_mad_u64_u32 v[3:4], s[14:15], v4, 24, v[3:4]
	v_mov_b32_e32 v8, v3
	global_load_dwordx2 v[3:4], v[7:8], off glc
	s_waitcnt vmcnt(0)
	global_atomic_cmpswap_x2 v[8:9], v2, v[3:6], s[44:45] offset:24 glc
	s_waitcnt vmcnt(0)
	buffer_wbinvl1_vol
	v_cmp_eq_u64_e32 vcc, v[8:9], v[5:6]
	s_or_b64 s[12:13], vcc, s[12:13]
	s_andn2_b64 exec, exec, s[12:13]
	s_cbranch_execnz .LBB11_1293
; %bb.1294:
	s_or_b64 exec, exec, s[12:13]
.LBB11_1295:
	s_or_b64 exec, exec, s[10:11]
.LBB11_1296:
	s_or_b64 exec, exec, s[8:9]
	s_waitcnt vmcnt(0)
	v_mov_b32_e32 v2, 0
	global_load_dwordx2 v[10:11], v2, s[44:45] offset:40
	global_load_dwordx4 v[4:7], v2, s[44:45]
	v_readfirstlane_b32 s8, v8
	v_readfirstlane_b32 s9, v9
	s_mov_b64 s[10:11], exec
	s_waitcnt vmcnt(1)
	v_readfirstlane_b32 s12, v10
	v_readfirstlane_b32 s13, v11
	s_and_b64 s[12:13], s[8:9], s[12:13]
	s_mul_i32 s14, s13, 24
	s_mul_hi_u32 s15, s12, 24
	s_mul_i32 s16, s12, 24
	s_add_i32 s14, s15, s14
	v_mov_b32_e32 v3, s14
	s_waitcnt vmcnt(0)
	v_add_co_u32_e32 v8, vcc, s16, v4
	v_addc_co_u32_e32 v9, vcc, v5, v3, vcc
	s_and_saveexec_b64 s[14:15], s[4:5]
	s_cbranch_execz .LBB11_1298
; %bb.1297:
	v_mov_b32_e32 v10, s10
	v_mov_b32_e32 v11, s11
	;; [unrolled: 1-line block ×4, first 2 shown]
	global_store_dwordx4 v[8:9], v[10:13], off offset:8
.LBB11_1298:
	s_or_b64 exec, exec, s[14:15]
	s_lshl_b64 s[10:11], s[12:13], 12
	v_mov_b32_e32 v3, s11
	v_add_co_u32_e32 v10, vcc, s10, v6
	v_addc_co_u32_e32 v11, vcc, v7, v3, vcc
	s_movk_i32 s10, 0xff1f
	v_and_or_b32 v0, v0, s10, 32
	s_mov_b32 s12, 0
	v_mov_b32_e32 v3, v2
	v_readfirstlane_b32 s10, v10
	v_readfirstlane_b32 s11, v11
	v_add_co_u32_e32 v6, vcc, v10, v41
	s_mov_b32 s13, s12
	s_mov_b32 s14, s12
	;; [unrolled: 1-line block ×3, first 2 shown]
	s_nop 0
	global_store_dwordx4 v41, v[0:3], s[10:11]
	v_addc_co_u32_e32 v7, vcc, 0, v11, vcc
	v_mov_b32_e32 v0, s12
	v_mov_b32_e32 v1, s13
	;; [unrolled: 1-line block ×4, first 2 shown]
	global_store_dwordx4 v41, v[0:3], s[10:11] offset:16
	global_store_dwordx4 v41, v[0:3], s[10:11] offset:32
	;; [unrolled: 1-line block ×3, first 2 shown]
	s_and_saveexec_b64 s[10:11], s[4:5]
	s_cbranch_execz .LBB11_1306
; %bb.1299:
	v_mov_b32_e32 v10, 0
	global_load_dwordx2 v[13:14], v10, s[44:45] offset:32 glc
	global_load_dwordx2 v[0:1], v10, s[44:45] offset:40
	v_mov_b32_e32 v11, s8
	v_mov_b32_e32 v12, s9
	s_waitcnt vmcnt(0)
	v_readfirstlane_b32 s12, v0
	v_readfirstlane_b32 s13, v1
	s_and_b64 s[12:13], s[12:13], s[8:9]
	s_mul_i32 s13, s13, 24
	s_mul_hi_u32 s14, s12, 24
	s_mul_i32 s12, s12, 24
	s_add_i32 s13, s14, s13
	v_mov_b32_e32 v0, s13
	v_add_co_u32_e32 v4, vcc, s12, v4
	v_addc_co_u32_e32 v5, vcc, v5, v0, vcc
	global_store_dwordx2 v[4:5], v[13:14], off
	s_waitcnt vmcnt(0)
	global_atomic_cmpswap_x2 v[2:3], v10, v[11:14], s[44:45] offset:32 glc
	s_waitcnt vmcnt(0)
	v_cmp_ne_u64_e32 vcc, v[2:3], v[13:14]
	s_and_saveexec_b64 s[12:13], vcc
	s_cbranch_execz .LBB11_1302
; %bb.1300:
	s_mov_b64 s[14:15], 0
.LBB11_1301:                            ; =>This Inner Loop Header: Depth=1
	s_sleep 1
	global_store_dwordx2 v[4:5], v[2:3], off
	v_mov_b32_e32 v0, s8
	v_mov_b32_e32 v1, s9
	s_waitcnt vmcnt(0)
	global_atomic_cmpswap_x2 v[0:1], v10, v[0:3], s[44:45] offset:32 glc
	s_waitcnt vmcnt(0)
	v_cmp_eq_u64_e32 vcc, v[0:1], v[2:3]
	v_mov_b32_e32 v3, v1
	s_or_b64 s[14:15], vcc, s[14:15]
	v_mov_b32_e32 v2, v0
	s_andn2_b64 exec, exec, s[14:15]
	s_cbranch_execnz .LBB11_1301
.LBB11_1302:
	s_or_b64 exec, exec, s[12:13]
	v_mov_b32_e32 v3, 0
	global_load_dwordx2 v[0:1], v3, s[44:45] offset:16
	s_mov_b64 s[12:13], exec
	v_mbcnt_lo_u32_b32 v2, s12, 0
	v_mbcnt_hi_u32_b32 v2, s13, v2
	v_cmp_eq_u32_e32 vcc, 0, v2
	s_and_saveexec_b64 s[14:15], vcc
	s_cbranch_execz .LBB11_1304
; %bb.1303:
	s_bcnt1_i32_b64 s12, s[12:13]
	v_mov_b32_e32 v2, s12
	s_waitcnt vmcnt(0)
	global_atomic_add_x2 v[0:1], v[2:3], off offset:8
.LBB11_1304:
	s_or_b64 exec, exec, s[14:15]
	s_waitcnt vmcnt(0)
	global_load_dwordx2 v[2:3], v[0:1], off offset:16
	s_waitcnt vmcnt(0)
	v_cmp_eq_u64_e32 vcc, 0, v[2:3]
	s_cbranch_vccnz .LBB11_1306
; %bb.1305:
	global_load_dword v0, v[0:1], off offset:24
	v_mov_b32_e32 v1, 0
	s_waitcnt vmcnt(0)
	global_store_dwordx2 v[2:3], v[0:1], off
	v_and_b32_e32 v0, 0xffffff, v0
	v_readfirstlane_b32 m0, v0
	s_sendmsg sendmsg(MSG_INTERRUPT)
.LBB11_1306:
	s_or_b64 exec, exec, s[10:11]
	s_branch .LBB11_1310
.LBB11_1307:                            ;   in Loop: Header=BB11_1310 Depth=1
	s_or_b64 exec, exec, s[10:11]
	v_readfirstlane_b32 s10, v0
	s_cmp_eq_u32 s10, 0
	s_cbranch_scc1 .LBB11_1309
; %bb.1308:                             ;   in Loop: Header=BB11_1310 Depth=1
	s_sleep 1
	s_cbranch_execnz .LBB11_1310
	s_branch .LBB11_1312
.LBB11_1309:
	s_branch .LBB11_1312
.LBB11_1310:                            ; =>This Inner Loop Header: Depth=1
	v_mov_b32_e32 v0, 1
	s_and_saveexec_b64 s[10:11], s[4:5]
	s_cbranch_execz .LBB11_1307
; %bb.1311:                             ;   in Loop: Header=BB11_1310 Depth=1
	global_load_dword v0, v[8:9], off offset:20 glc
	s_waitcnt vmcnt(0)
	buffer_wbinvl1_vol
	v_and_b32_e32 v0, 1, v0
	s_branch .LBB11_1307
.LBB11_1312:
	global_load_dwordx2 v[2:3], v[6:7], off
	s_and_saveexec_b64 s[10:11], s[4:5]
	s_cbranch_execz .LBB11_1315
; %bb.1313:
	v_mov_b32_e32 v8, 0
	global_load_dwordx2 v[0:1], v8, s[44:45] offset:40
	global_load_dwordx2 v[9:10], v8, s[44:45] offset:24 glc
	global_load_dwordx2 v[11:12], v8, s[44:45]
	v_mov_b32_e32 v5, s9
	s_mov_b64 s[4:5], 0
	s_waitcnt vmcnt(2)
	v_add_co_u32_e32 v6, vcc, 1, v0
	v_addc_co_u32_e32 v7, vcc, 0, v1, vcc
	v_add_co_u32_e32 v4, vcc, s8, v6
	v_addc_co_u32_e32 v5, vcc, v7, v5, vcc
	v_cmp_eq_u64_e32 vcc, 0, v[4:5]
	v_cndmask_b32_e32 v5, v5, v7, vcc
	v_cndmask_b32_e32 v4, v4, v6, vcc
	v_and_b32_e32 v1, v5, v1
	v_and_b32_e32 v0, v4, v0
	v_mul_lo_u32 v1, v1, 24
	v_mul_hi_u32 v7, v0, 24
	v_mul_lo_u32 v0, v0, 24
	s_waitcnt vmcnt(1)
	v_mov_b32_e32 v6, v9
	v_add_u32_e32 v1, v7, v1
	s_waitcnt vmcnt(0)
	v_add_co_u32_e32 v0, vcc, v11, v0
	v_addc_co_u32_e32 v1, vcc, v12, v1, vcc
	global_store_dwordx2 v[0:1], v[9:10], off
	v_mov_b32_e32 v7, v10
	s_waitcnt vmcnt(0)
	global_atomic_cmpswap_x2 v[6:7], v8, v[4:7], s[44:45] offset:24 glc
	s_waitcnt vmcnt(0)
	v_cmp_ne_u64_e32 vcc, v[6:7], v[9:10]
	s_and_b64 exec, exec, vcc
	s_cbranch_execz .LBB11_1315
.LBB11_1314:                            ; =>This Inner Loop Header: Depth=1
	s_sleep 1
	global_store_dwordx2 v[0:1], v[6:7], off
	s_waitcnt vmcnt(0)
	global_atomic_cmpswap_x2 v[9:10], v8, v[4:7], s[44:45] offset:24 glc
	s_waitcnt vmcnt(0)
	v_cmp_eq_u64_e32 vcc, v[9:10], v[6:7]
	v_mov_b32_e32 v6, v9
	s_or_b64 s[4:5], vcc, s[4:5]
	v_mov_b32_e32 v7, v10
	s_andn2_b64 exec, exec, s[4:5]
	s_cbranch_execnz .LBB11_1314
.LBB11_1315:
	s_or_b64 exec, exec, s[10:11]
.LBB11_1316:
	v_readfirstlane_b32 s4, v42
	s_waitcnt vmcnt(0)
	v_mov_b32_e32 v0, 0
	v_mov_b32_e32 v1, 0
	v_cmp_eq_u32_e64 s[4:5], s4, v42
	s_and_saveexec_b64 s[8:9], s[4:5]
	s_cbranch_execz .LBB11_1322
; %bb.1317:
	v_mov_b32_e32 v4, 0
	global_load_dwordx2 v[7:8], v4, s[44:45] offset:24 glc
	s_waitcnt vmcnt(0)
	buffer_wbinvl1_vol
	global_load_dwordx2 v[0:1], v4, s[44:45] offset:40
	global_load_dwordx2 v[5:6], v4, s[44:45]
	s_waitcnt vmcnt(1)
	v_and_b32_e32 v0, v0, v7
	v_and_b32_e32 v1, v1, v8
	v_mul_lo_u32 v1, v1, 24
	v_mul_hi_u32 v9, v0, 24
	v_mul_lo_u32 v0, v0, 24
	v_add_u32_e32 v1, v9, v1
	s_waitcnt vmcnt(0)
	v_add_co_u32_e32 v0, vcc, v5, v0
	v_addc_co_u32_e32 v1, vcc, v6, v1, vcc
	global_load_dwordx2 v[5:6], v[0:1], off glc
	s_waitcnt vmcnt(0)
	global_atomic_cmpswap_x2 v[0:1], v4, v[5:8], s[44:45] offset:24 glc
	s_waitcnt vmcnt(0)
	buffer_wbinvl1_vol
	v_cmp_ne_u64_e32 vcc, v[0:1], v[7:8]
	s_and_saveexec_b64 s[10:11], vcc
	s_cbranch_execz .LBB11_1321
; %bb.1318:
	s_mov_b64 s[12:13], 0
.LBB11_1319:                            ; =>This Inner Loop Header: Depth=1
	s_sleep 1
	global_load_dwordx2 v[5:6], v4, s[44:45] offset:40
	global_load_dwordx2 v[9:10], v4, s[44:45]
	v_mov_b32_e32 v8, v1
	v_mov_b32_e32 v7, v0
	s_waitcnt vmcnt(1)
	v_and_b32_e32 v0, v5, v7
	s_waitcnt vmcnt(0)
	v_mad_u64_u32 v[0:1], s[14:15], v0, 24, v[9:10]
	v_and_b32_e32 v5, v6, v8
	v_mad_u64_u32 v[5:6], s[14:15], v5, 24, v[1:2]
	v_mov_b32_e32 v1, v5
	global_load_dwordx2 v[5:6], v[0:1], off glc
	s_waitcnt vmcnt(0)
	global_atomic_cmpswap_x2 v[0:1], v4, v[5:8], s[44:45] offset:24 glc
	s_waitcnt vmcnt(0)
	buffer_wbinvl1_vol
	v_cmp_eq_u64_e32 vcc, v[0:1], v[7:8]
	s_or_b64 s[12:13], vcc, s[12:13]
	s_andn2_b64 exec, exec, s[12:13]
	s_cbranch_execnz .LBB11_1319
; %bb.1320:
	s_or_b64 exec, exec, s[12:13]
.LBB11_1321:
	s_or_b64 exec, exec, s[10:11]
.LBB11_1322:
	s_or_b64 exec, exec, s[8:9]
	v_mov_b32_e32 v5, 0
	global_load_dwordx2 v[10:11], v5, s[44:45] offset:40
	global_load_dwordx4 v[6:9], v5, s[44:45]
	v_readfirstlane_b32 s8, v0
	v_readfirstlane_b32 s9, v1
	s_mov_b64 s[10:11], exec
	s_waitcnt vmcnt(1)
	v_readfirstlane_b32 s12, v10
	v_readfirstlane_b32 s13, v11
	s_and_b64 s[12:13], s[8:9], s[12:13]
	s_mul_i32 s14, s13, 24
	s_mul_hi_u32 s15, s12, 24
	s_mul_i32 s16, s12, 24
	s_add_i32 s14, s15, s14
	v_mov_b32_e32 v0, s14
	s_waitcnt vmcnt(0)
	v_add_co_u32_e32 v10, vcc, s16, v6
	v_addc_co_u32_e32 v11, vcc, v7, v0, vcc
	s_and_saveexec_b64 s[14:15], s[4:5]
	s_cbranch_execz .LBB11_1324
; %bb.1323:
	v_mov_b32_e32 v13, s11
	v_mov_b32_e32 v12, s10
	;; [unrolled: 1-line block ×4, first 2 shown]
	global_store_dwordx4 v[10:11], v[12:15], off offset:8
.LBB11_1324:
	s_or_b64 exec, exec, s[14:15]
	s_lshl_b64 s[10:11], s[12:13], 12
	v_mov_b32_e32 v0, s11
	v_add_co_u32_e32 v1, vcc, s10, v8
	v_addc_co_u32_e32 v0, vcc, v9, v0, vcc
	s_movk_i32 s10, 0xff1d
	v_and_or_b32 v2, v2, s10, 34
	s_mov_b32 s12, 0
	v_mov_b32_e32 v4, 10
	v_readfirstlane_b32 s10, v1
	v_readfirstlane_b32 s11, v0
	s_mov_b32 s13, s12
	s_mov_b32 s14, s12
	;; [unrolled: 1-line block ×3, first 2 shown]
	s_nop 1
	global_store_dwordx4 v41, v[2:5], s[10:11]
	v_mov_b32_e32 v0, s12
	v_mov_b32_e32 v1, s13
	;; [unrolled: 1-line block ×4, first 2 shown]
	global_store_dwordx4 v41, v[0:3], s[10:11] offset:16
	global_store_dwordx4 v41, v[0:3], s[10:11] offset:32
	;; [unrolled: 1-line block ×3, first 2 shown]
	s_and_saveexec_b64 s[10:11], s[4:5]
	s_cbranch_execz .LBB11_1332
; %bb.1325:
	v_mov_b32_e32 v8, 0
	global_load_dwordx2 v[14:15], v8, s[44:45] offset:32 glc
	global_load_dwordx2 v[0:1], v8, s[44:45] offset:40
	v_mov_b32_e32 v12, s8
	v_mov_b32_e32 v13, s9
	s_waitcnt vmcnt(0)
	v_readfirstlane_b32 s12, v0
	v_readfirstlane_b32 s13, v1
	s_and_b64 s[12:13], s[12:13], s[8:9]
	s_mul_i32 s13, s13, 24
	s_mul_hi_u32 s14, s12, 24
	s_mul_i32 s12, s12, 24
	s_add_i32 s13, s14, s13
	v_mov_b32_e32 v0, s13
	v_add_co_u32_e32 v4, vcc, s12, v6
	v_addc_co_u32_e32 v5, vcc, v7, v0, vcc
	global_store_dwordx2 v[4:5], v[14:15], off
	s_waitcnt vmcnt(0)
	global_atomic_cmpswap_x2 v[2:3], v8, v[12:15], s[44:45] offset:32 glc
	s_waitcnt vmcnt(0)
	v_cmp_ne_u64_e32 vcc, v[2:3], v[14:15]
	s_and_saveexec_b64 s[12:13], vcc
	s_cbranch_execz .LBB11_1328
; %bb.1326:
	s_mov_b64 s[14:15], 0
.LBB11_1327:                            ; =>This Inner Loop Header: Depth=1
	s_sleep 1
	global_store_dwordx2 v[4:5], v[2:3], off
	v_mov_b32_e32 v0, s8
	v_mov_b32_e32 v1, s9
	s_waitcnt vmcnt(0)
	global_atomic_cmpswap_x2 v[0:1], v8, v[0:3], s[44:45] offset:32 glc
	s_waitcnt vmcnt(0)
	v_cmp_eq_u64_e32 vcc, v[0:1], v[2:3]
	v_mov_b32_e32 v3, v1
	s_or_b64 s[14:15], vcc, s[14:15]
	v_mov_b32_e32 v2, v0
	s_andn2_b64 exec, exec, s[14:15]
	s_cbranch_execnz .LBB11_1327
.LBB11_1328:
	s_or_b64 exec, exec, s[12:13]
	v_mov_b32_e32 v3, 0
	global_load_dwordx2 v[0:1], v3, s[44:45] offset:16
	s_mov_b64 s[12:13], exec
	v_mbcnt_lo_u32_b32 v2, s12, 0
	v_mbcnt_hi_u32_b32 v2, s13, v2
	v_cmp_eq_u32_e32 vcc, 0, v2
	s_and_saveexec_b64 s[14:15], vcc
	s_cbranch_execz .LBB11_1330
; %bb.1329:
	s_bcnt1_i32_b64 s12, s[12:13]
	v_mov_b32_e32 v2, s12
	s_waitcnt vmcnt(0)
	global_atomic_add_x2 v[0:1], v[2:3], off offset:8
.LBB11_1330:
	s_or_b64 exec, exec, s[14:15]
	s_waitcnt vmcnt(0)
	global_load_dwordx2 v[2:3], v[0:1], off offset:16
	s_waitcnt vmcnt(0)
	v_cmp_eq_u64_e32 vcc, 0, v[2:3]
	s_cbranch_vccnz .LBB11_1332
; %bb.1331:
	global_load_dword v0, v[0:1], off offset:24
	v_mov_b32_e32 v1, 0
	s_waitcnt vmcnt(0)
	global_store_dwordx2 v[2:3], v[0:1], off
	v_and_b32_e32 v0, 0xffffff, v0
	v_readfirstlane_b32 m0, v0
	s_sendmsg sendmsg(MSG_INTERRUPT)
.LBB11_1332:
	s_or_b64 exec, exec, s[10:11]
	s_branch .LBB11_1336
.LBB11_1333:                            ;   in Loop: Header=BB11_1336 Depth=1
	s_or_b64 exec, exec, s[10:11]
	v_readfirstlane_b32 s10, v0
	s_cmp_eq_u32 s10, 0
	s_cbranch_scc1 .LBB11_1335
; %bb.1334:                             ;   in Loop: Header=BB11_1336 Depth=1
	s_sleep 1
	s_cbranch_execnz .LBB11_1336
	s_branch .LBB11_1338
.LBB11_1335:
	s_branch .LBB11_1338
.LBB11_1336:                            ; =>This Inner Loop Header: Depth=1
	v_mov_b32_e32 v0, 1
	s_and_saveexec_b64 s[10:11], s[4:5]
	s_cbranch_execz .LBB11_1333
; %bb.1337:                             ;   in Loop: Header=BB11_1336 Depth=1
	global_load_dword v0, v[10:11], off offset:20 glc
	s_waitcnt vmcnt(0)
	buffer_wbinvl1_vol
	v_and_b32_e32 v0, 1, v0
	s_branch .LBB11_1333
.LBB11_1338:
	s_and_saveexec_b64 s[10:11], s[4:5]
	s_cbranch_execz .LBB11_1341
; %bb.1339:
	v_mov_b32_e32 v6, 0
	global_load_dwordx2 v[2:3], v6, s[44:45] offset:40
	global_load_dwordx2 v[7:8], v6, s[44:45] offset:24 glc
	global_load_dwordx2 v[4:5], v6, s[44:45]
	v_mov_b32_e32 v1, s9
	s_mov_b64 s[4:5], 0
	s_waitcnt vmcnt(2)
	v_add_co_u32_e32 v9, vcc, 1, v2
	v_addc_co_u32_e32 v10, vcc, 0, v3, vcc
	v_add_co_u32_e32 v0, vcc, s8, v9
	v_addc_co_u32_e32 v1, vcc, v10, v1, vcc
	v_cmp_eq_u64_e32 vcc, 0, v[0:1]
	v_cndmask_b32_e32 v1, v1, v10, vcc
	v_cndmask_b32_e32 v0, v0, v9, vcc
	v_and_b32_e32 v3, v1, v3
	v_and_b32_e32 v2, v0, v2
	v_mul_lo_u32 v3, v3, 24
	v_mul_hi_u32 v9, v2, 24
	v_mul_lo_u32 v10, v2, 24
	s_waitcnt vmcnt(1)
	v_mov_b32_e32 v2, v7
	v_add_u32_e32 v3, v9, v3
	s_waitcnt vmcnt(0)
	v_add_co_u32_e32 v4, vcc, v4, v10
	v_addc_co_u32_e32 v5, vcc, v5, v3, vcc
	global_store_dwordx2 v[4:5], v[7:8], off
	v_mov_b32_e32 v3, v8
	s_waitcnt vmcnt(0)
	global_atomic_cmpswap_x2 v[2:3], v6, v[0:3], s[44:45] offset:24 glc
	s_waitcnt vmcnt(0)
	v_cmp_ne_u64_e32 vcc, v[2:3], v[7:8]
	s_and_b64 exec, exec, vcc
	s_cbranch_execz .LBB11_1341
.LBB11_1340:                            ; =>This Inner Loop Header: Depth=1
	s_sleep 1
	global_store_dwordx2 v[4:5], v[2:3], off
	s_waitcnt vmcnt(0)
	global_atomic_cmpswap_x2 v[7:8], v6, v[0:3], s[44:45] offset:24 glc
	s_waitcnt vmcnt(0)
	v_cmp_eq_u64_e32 vcc, v[7:8], v[2:3]
	v_mov_b32_e32 v2, v7
	s_or_b64 s[4:5], vcc, s[4:5]
	v_mov_b32_e32 v3, v8
	s_andn2_b64 exec, exec, s[4:5]
	s_cbranch_execnz .LBB11_1340
.LBB11_1341:
	s_or_b64 exec, exec, s[10:11]
	v_readfirstlane_b32 s4, v42
	v_mov_b32_e32 v5, 0
	v_mov_b32_e32 v6, 0
	v_cmp_eq_u32_e64 s[4:5], s4, v42
	s_and_saveexec_b64 s[8:9], s[4:5]
	s_cbranch_execz .LBB11_1347
; %bb.1342:
	v_mov_b32_e32 v0, 0
	global_load_dwordx2 v[3:4], v0, s[44:45] offset:24 glc
	s_waitcnt vmcnt(0)
	buffer_wbinvl1_vol
	global_load_dwordx2 v[1:2], v0, s[44:45] offset:40
	global_load_dwordx2 v[5:6], v0, s[44:45]
	s_waitcnt vmcnt(1)
	v_and_b32_e32 v1, v1, v3
	v_and_b32_e32 v2, v2, v4
	v_mul_lo_u32 v2, v2, 24
	v_mul_hi_u32 v7, v1, 24
	v_mul_lo_u32 v1, v1, 24
	v_add_u32_e32 v2, v7, v2
	s_waitcnt vmcnt(0)
	v_add_co_u32_e32 v1, vcc, v5, v1
	v_addc_co_u32_e32 v2, vcc, v6, v2, vcc
	global_load_dwordx2 v[1:2], v[1:2], off glc
	s_waitcnt vmcnt(0)
	global_atomic_cmpswap_x2 v[5:6], v0, v[1:4], s[44:45] offset:24 glc
	s_waitcnt vmcnt(0)
	buffer_wbinvl1_vol
	v_cmp_ne_u64_e32 vcc, v[5:6], v[3:4]
	s_and_saveexec_b64 s[10:11], vcc
	s_cbranch_execz .LBB11_1346
; %bb.1343:
	s_mov_b64 s[12:13], 0
.LBB11_1344:                            ; =>This Inner Loop Header: Depth=1
	s_sleep 1
	global_load_dwordx2 v[1:2], v0, s[44:45] offset:40
	global_load_dwordx2 v[7:8], v0, s[44:45]
	v_mov_b32_e32 v3, v5
	v_mov_b32_e32 v4, v6
	s_waitcnt vmcnt(1)
	v_and_b32_e32 v1, v1, v3
	s_waitcnt vmcnt(0)
	v_mad_u64_u32 v[5:6], s[14:15], v1, 24, v[7:8]
	v_and_b32_e32 v2, v2, v4
	v_mov_b32_e32 v1, v6
	v_mad_u64_u32 v[1:2], s[14:15], v2, 24, v[1:2]
	v_mov_b32_e32 v6, v1
	global_load_dwordx2 v[1:2], v[5:6], off glc
	s_waitcnt vmcnt(0)
	global_atomic_cmpswap_x2 v[5:6], v0, v[1:4], s[44:45] offset:24 glc
	s_waitcnt vmcnt(0)
	buffer_wbinvl1_vol
	v_cmp_eq_u64_e32 vcc, v[5:6], v[3:4]
	s_or_b64 s[12:13], vcc, s[12:13]
	s_andn2_b64 exec, exec, s[12:13]
	s_cbranch_execnz .LBB11_1344
; %bb.1345:
	s_or_b64 exec, exec, s[12:13]
.LBB11_1346:
	s_or_b64 exec, exec, s[10:11]
.LBB11_1347:
	s_or_b64 exec, exec, s[8:9]
	v_mov_b32_e32 v4, 0
	global_load_dwordx2 v[7:8], v4, s[44:45] offset:40
	global_load_dwordx4 v[0:3], v4, s[44:45]
	v_readfirstlane_b32 s8, v5
	v_readfirstlane_b32 s9, v6
	s_mov_b64 s[10:11], exec
	s_waitcnt vmcnt(1)
	v_readfirstlane_b32 s12, v7
	v_readfirstlane_b32 s13, v8
	s_and_b64 s[12:13], s[8:9], s[12:13]
	s_mul_i32 s14, s13, 24
	s_mul_hi_u32 s15, s12, 24
	s_mul_i32 s16, s12, 24
	s_add_i32 s14, s15, s14
	v_mov_b32_e32 v5, s14
	s_waitcnt vmcnt(0)
	v_add_co_u32_e32 v7, vcc, s16, v0
	v_addc_co_u32_e32 v8, vcc, v1, v5, vcc
	s_and_saveexec_b64 s[14:15], s[4:5]
	s_cbranch_execz .LBB11_1349
; %bb.1348:
	v_mov_b32_e32 v9, s10
	v_mov_b32_e32 v10, s11
	;; [unrolled: 1-line block ×4, first 2 shown]
	global_store_dwordx4 v[7:8], v[9:12], off offset:8
.LBB11_1349:
	s_or_b64 exec, exec, s[14:15]
	s_lshl_b64 s[10:11], s[12:13], 12
	v_mov_b32_e32 v5, s11
	v_add_co_u32_e32 v2, vcc, s10, v2
	v_addc_co_u32_e32 v11, vcc, v3, v5, vcc
	s_mov_b32 s12, 0
	v_mov_b32_e32 v3, 33
	v_mov_b32_e32 v5, v4
	;; [unrolled: 1-line block ×3, first 2 shown]
	v_readfirstlane_b32 s10, v2
	v_readfirstlane_b32 s11, v11
	v_add_co_u32_e32 v9, vcc, v2, v41
	s_mov_b32 s13, s12
	s_mov_b32 s14, s12
	;; [unrolled: 1-line block ×3, first 2 shown]
	s_nop 0
	global_store_dwordx4 v41, v[3:6], s[10:11]
	v_mov_b32_e32 v2, s12
	v_addc_co_u32_e32 v10, vcc, 0, v11, vcc
	v_mov_b32_e32 v3, s13
	v_mov_b32_e32 v4, s14
	;; [unrolled: 1-line block ×3, first 2 shown]
	global_store_dwordx4 v41, v[2:5], s[10:11] offset:16
	global_store_dwordx4 v41, v[2:5], s[10:11] offset:32
	;; [unrolled: 1-line block ×3, first 2 shown]
	s_and_saveexec_b64 s[10:11], s[4:5]
	s_cbranch_execz .LBB11_1357
; %bb.1350:
	v_mov_b32_e32 v6, 0
	global_load_dwordx2 v[13:14], v6, s[44:45] offset:32 glc
	global_load_dwordx2 v[2:3], v6, s[44:45] offset:40
	v_mov_b32_e32 v11, s8
	v_mov_b32_e32 v12, s9
	s_waitcnt vmcnt(0)
	v_readfirstlane_b32 s12, v2
	v_readfirstlane_b32 s13, v3
	s_and_b64 s[12:13], s[12:13], s[8:9]
	s_mul_i32 s13, s13, 24
	s_mul_hi_u32 s14, s12, 24
	s_mul_i32 s12, s12, 24
	s_add_i32 s13, s14, s13
	v_mov_b32_e32 v2, s13
	v_add_co_u32_e32 v4, vcc, s12, v0
	v_addc_co_u32_e32 v5, vcc, v1, v2, vcc
	global_store_dwordx2 v[4:5], v[13:14], off
	s_waitcnt vmcnt(0)
	global_atomic_cmpswap_x2 v[2:3], v6, v[11:14], s[44:45] offset:32 glc
	s_waitcnt vmcnt(0)
	v_cmp_ne_u64_e32 vcc, v[2:3], v[13:14]
	s_and_saveexec_b64 s[12:13], vcc
	s_cbranch_execz .LBB11_1353
; %bb.1351:
	s_mov_b64 s[14:15], 0
.LBB11_1352:                            ; =>This Inner Loop Header: Depth=1
	s_sleep 1
	global_store_dwordx2 v[4:5], v[2:3], off
	v_mov_b32_e32 v0, s8
	v_mov_b32_e32 v1, s9
	s_waitcnt vmcnt(0)
	global_atomic_cmpswap_x2 v[0:1], v6, v[0:3], s[44:45] offset:32 glc
	s_waitcnt vmcnt(0)
	v_cmp_eq_u64_e32 vcc, v[0:1], v[2:3]
	v_mov_b32_e32 v3, v1
	s_or_b64 s[14:15], vcc, s[14:15]
	v_mov_b32_e32 v2, v0
	s_andn2_b64 exec, exec, s[14:15]
	s_cbranch_execnz .LBB11_1352
.LBB11_1353:
	s_or_b64 exec, exec, s[12:13]
	v_mov_b32_e32 v3, 0
	global_load_dwordx2 v[0:1], v3, s[44:45] offset:16
	s_mov_b64 s[12:13], exec
	v_mbcnt_lo_u32_b32 v2, s12, 0
	v_mbcnt_hi_u32_b32 v2, s13, v2
	v_cmp_eq_u32_e32 vcc, 0, v2
	s_and_saveexec_b64 s[14:15], vcc
	s_cbranch_execz .LBB11_1355
; %bb.1354:
	s_bcnt1_i32_b64 s12, s[12:13]
	v_mov_b32_e32 v2, s12
	s_waitcnt vmcnt(0)
	global_atomic_add_x2 v[0:1], v[2:3], off offset:8
.LBB11_1355:
	s_or_b64 exec, exec, s[14:15]
	s_waitcnt vmcnt(0)
	global_load_dwordx2 v[2:3], v[0:1], off offset:16
	s_waitcnt vmcnt(0)
	v_cmp_eq_u64_e32 vcc, 0, v[2:3]
	s_cbranch_vccnz .LBB11_1357
; %bb.1356:
	global_load_dword v0, v[0:1], off offset:24
	v_mov_b32_e32 v1, 0
	s_waitcnt vmcnt(0)
	global_store_dwordx2 v[2:3], v[0:1], off
	v_and_b32_e32 v0, 0xffffff, v0
	v_readfirstlane_b32 m0, v0
	s_sendmsg sendmsg(MSG_INTERRUPT)
.LBB11_1357:
	s_or_b64 exec, exec, s[10:11]
	s_branch .LBB11_1361
.LBB11_1358:                            ;   in Loop: Header=BB11_1361 Depth=1
	s_or_b64 exec, exec, s[10:11]
	v_readfirstlane_b32 s10, v0
	s_cmp_eq_u32 s10, 0
	s_cbranch_scc1 .LBB11_1360
; %bb.1359:                             ;   in Loop: Header=BB11_1361 Depth=1
	s_sleep 1
	s_cbranch_execnz .LBB11_1361
	s_branch .LBB11_1363
.LBB11_1360:
	s_branch .LBB11_1363
.LBB11_1361:                            ; =>This Inner Loop Header: Depth=1
	v_mov_b32_e32 v0, 1
	s_and_saveexec_b64 s[10:11], s[4:5]
	s_cbranch_execz .LBB11_1358
; %bb.1362:                             ;   in Loop: Header=BB11_1361 Depth=1
	global_load_dword v0, v[7:8], off offset:20 glc
	s_waitcnt vmcnt(0)
	buffer_wbinvl1_vol
	v_and_b32_e32 v0, 1, v0
	s_branch .LBB11_1358
.LBB11_1363:
	global_load_dwordx2 v[4:5], v[9:10], off
	s_and_saveexec_b64 s[10:11], s[4:5]
	s_cbranch_execz .LBB11_1366
; %bb.1364:
	v_mov_b32_e32 v8, 0
	global_load_dwordx2 v[2:3], v8, s[44:45] offset:40
	global_load_dwordx2 v[9:10], v8, s[44:45] offset:24 glc
	global_load_dwordx2 v[6:7], v8, s[44:45]
	v_mov_b32_e32 v1, s9
	s_mov_b64 s[4:5], 0
	s_waitcnt vmcnt(2)
	v_add_co_u32_e32 v11, vcc, 1, v2
	v_addc_co_u32_e32 v12, vcc, 0, v3, vcc
	v_add_co_u32_e32 v0, vcc, s8, v11
	v_addc_co_u32_e32 v1, vcc, v12, v1, vcc
	v_cmp_eq_u64_e32 vcc, 0, v[0:1]
	v_cndmask_b32_e32 v1, v1, v12, vcc
	v_cndmask_b32_e32 v0, v0, v11, vcc
	v_and_b32_e32 v3, v1, v3
	v_and_b32_e32 v2, v0, v2
	v_mul_lo_u32 v3, v3, 24
	v_mul_hi_u32 v11, v2, 24
	v_mul_lo_u32 v12, v2, 24
	s_waitcnt vmcnt(1)
	v_mov_b32_e32 v2, v9
	v_add_u32_e32 v3, v11, v3
	s_waitcnt vmcnt(0)
	v_add_co_u32_e32 v6, vcc, v6, v12
	v_addc_co_u32_e32 v7, vcc, v7, v3, vcc
	global_store_dwordx2 v[6:7], v[9:10], off
	v_mov_b32_e32 v3, v10
	s_waitcnt vmcnt(0)
	global_atomic_cmpswap_x2 v[2:3], v8, v[0:3], s[44:45] offset:24 glc
	s_waitcnt vmcnt(0)
	v_cmp_ne_u64_e32 vcc, v[2:3], v[9:10]
	s_and_b64 exec, exec, vcc
	s_cbranch_execz .LBB11_1366
.LBB11_1365:                            ; =>This Inner Loop Header: Depth=1
	s_sleep 1
	global_store_dwordx2 v[6:7], v[2:3], off
	s_waitcnt vmcnt(0)
	global_atomic_cmpswap_x2 v[9:10], v8, v[0:3], s[44:45] offset:24 glc
	s_waitcnt vmcnt(0)
	v_cmp_eq_u64_e32 vcc, v[9:10], v[2:3]
	v_mov_b32_e32 v2, v9
	s_or_b64 s[4:5], vcc, s[4:5]
	v_mov_b32_e32 v3, v10
	s_andn2_b64 exec, exec, s[4:5]
	s_cbranch_execnz .LBB11_1365
.LBB11_1366:
	s_or_b64 exec, exec, s[10:11]
	s_and_b64 vcc, exec, s[6:7]
	s_cbranch_vccz .LBB11_1451
; %bb.1367:
	s_waitcnt vmcnt(0)
	v_and_b32_e32 v29, 2, v4
	v_mov_b32_e32 v26, 0
	v_and_b32_e32 v0, -3, v4
	v_mov_b32_e32 v1, v5
	s_mov_b64 s[8:9], 3
	v_mov_b32_e32 v8, 2
	v_mov_b32_e32 v9, 1
	s_getpc_b64 s[6:7]
	s_add_u32 s6, s6, .str.7@rel32@lo+4
	s_addc_u32 s7, s7, .str.7@rel32@hi+12
	s_branch .LBB11_1369
.LBB11_1368:                            ;   in Loop: Header=BB11_1369 Depth=1
	s_or_b64 exec, exec, s[14:15]
	s_sub_u32 s8, s8, s10
	s_subb_u32 s9, s9, s11
	s_add_u32 s6, s6, s10
	s_addc_u32 s7, s7, s11
	s_cmp_lg_u64 s[8:9], 0
	s_cbranch_scc0 .LBB11_1450
.LBB11_1369:                            ; =>This Loop Header: Depth=1
                                        ;     Child Loop BB11_1372 Depth 2
                                        ;     Child Loop BB11_1379 Depth 2
	;; [unrolled: 1-line block ×11, first 2 shown]
	v_cmp_lt_u64_e64 s[4:5], s[8:9], 56
	v_cmp_gt_u64_e64 s[12:13], s[8:9], 7
	s_and_b64 s[4:5], s[4:5], exec
	s_cselect_b32 s11, s9, 0
	s_cselect_b32 s10, s8, 56
	s_and_b64 vcc, exec, s[12:13]
	s_cbranch_vccnz .LBB11_1374
; %bb.1370:                             ;   in Loop: Header=BB11_1369 Depth=1
	s_waitcnt vmcnt(0)
	v_mov_b32_e32 v2, 0
	s_cmp_eq_u64 s[8:9], 0
	v_mov_b32_e32 v3, 0
	s_mov_b64 s[4:5], 0
	s_cbranch_scc1 .LBB11_1373
; %bb.1371:                             ;   in Loop: Header=BB11_1369 Depth=1
	v_mov_b32_e32 v2, 0
	s_lshl_b64 s[12:13], s[10:11], 3
	s_mov_b64 s[14:15], 0
	v_mov_b32_e32 v3, 0
	s_mov_b64 s[16:17], s[6:7]
.LBB11_1372:                            ;   Parent Loop BB11_1369 Depth=1
                                        ; =>  This Inner Loop Header: Depth=2
	global_load_ubyte v6, v26, s[16:17]
	s_waitcnt vmcnt(0)
	v_and_b32_e32 v25, 0xffff, v6
	v_lshlrev_b64 v[6:7], s14, v[25:26]
	s_add_u32 s14, s14, 8
	s_addc_u32 s15, s15, 0
	s_add_u32 s16, s16, 1
	s_addc_u32 s17, s17, 0
	v_or_b32_e32 v2, v6, v2
	s_cmp_lg_u32 s12, s14
	v_or_b32_e32 v3, v7, v3
	s_cbranch_scc1 .LBB11_1372
.LBB11_1373:                            ;   in Loop: Header=BB11_1369 Depth=1
	s_mov_b32 s16, 0
	s_andn2_b64 vcc, exec, s[4:5]
	s_mov_b64 s[4:5], s[6:7]
	s_cbranch_vccz .LBB11_1375
	s_branch .LBB11_1376
.LBB11_1374:                            ;   in Loop: Header=BB11_1369 Depth=1
                                        ; implicit-def: $vgpr2_vgpr3
                                        ; implicit-def: $sgpr16
	s_mov_b64 s[4:5], s[6:7]
.LBB11_1375:                            ;   in Loop: Header=BB11_1369 Depth=1
	global_load_dwordx2 v[2:3], v26, s[6:7]
	s_add_i32 s16, s10, -8
	s_add_u32 s4, s6, 8
	s_addc_u32 s5, s7, 0
.LBB11_1376:                            ;   in Loop: Header=BB11_1369 Depth=1
	s_cmp_gt_u32 s16, 7
	s_cbranch_scc1 .LBB11_1380
; %bb.1377:                             ;   in Loop: Header=BB11_1369 Depth=1
	s_cmp_eq_u32 s16, 0
	s_cbranch_scc1 .LBB11_1381
; %bb.1378:                             ;   in Loop: Header=BB11_1369 Depth=1
	v_mov_b32_e32 v10, 0
	s_mov_b64 s[12:13], 0
	v_mov_b32_e32 v11, 0
	s_mov_b64 s[14:15], 0
.LBB11_1379:                            ;   Parent Loop BB11_1369 Depth=1
                                        ; =>  This Inner Loop Header: Depth=2
	s_add_u32 s18, s4, s14
	s_addc_u32 s19, s5, s15
	global_load_ubyte v6, v26, s[18:19]
	s_add_u32 s14, s14, 1
	s_addc_u32 s15, s15, 0
	s_waitcnt vmcnt(0)
	v_and_b32_e32 v25, 0xffff, v6
	v_lshlrev_b64 v[6:7], s12, v[25:26]
	s_add_u32 s12, s12, 8
	s_addc_u32 s13, s13, 0
	v_or_b32_e32 v10, v6, v10
	s_cmp_lg_u32 s16, s14
	v_or_b32_e32 v11, v7, v11
	s_cbranch_scc1 .LBB11_1379
	s_branch .LBB11_1382
.LBB11_1380:                            ;   in Loop: Header=BB11_1369 Depth=1
                                        ; implicit-def: $vgpr10_vgpr11
                                        ; implicit-def: $sgpr17
	s_branch .LBB11_1383
.LBB11_1381:                            ;   in Loop: Header=BB11_1369 Depth=1
	v_mov_b32_e32 v10, 0
	v_mov_b32_e32 v11, 0
.LBB11_1382:                            ;   in Loop: Header=BB11_1369 Depth=1
	s_mov_b32 s17, 0
	s_cbranch_execnz .LBB11_1384
.LBB11_1383:                            ;   in Loop: Header=BB11_1369 Depth=1
	global_load_dwordx2 v[10:11], v26, s[4:5]
	s_add_i32 s17, s16, -8
	s_add_u32 s4, s4, 8
	s_addc_u32 s5, s5, 0
.LBB11_1384:                            ;   in Loop: Header=BB11_1369 Depth=1
	s_cmp_gt_u32 s17, 7
	s_cbranch_scc1 .LBB11_1388
; %bb.1385:                             ;   in Loop: Header=BB11_1369 Depth=1
	s_cmp_eq_u32 s17, 0
	s_cbranch_scc1 .LBB11_1389
; %bb.1386:                             ;   in Loop: Header=BB11_1369 Depth=1
	v_mov_b32_e32 v12, 0
	s_mov_b64 s[12:13], 0
	v_mov_b32_e32 v13, 0
	s_mov_b64 s[14:15], 0
.LBB11_1387:                            ;   Parent Loop BB11_1369 Depth=1
                                        ; =>  This Inner Loop Header: Depth=2
	s_add_u32 s18, s4, s14
	s_addc_u32 s19, s5, s15
	global_load_ubyte v6, v26, s[18:19]
	s_add_u32 s14, s14, 1
	s_addc_u32 s15, s15, 0
	s_waitcnt vmcnt(0)
	v_and_b32_e32 v25, 0xffff, v6
	v_lshlrev_b64 v[6:7], s12, v[25:26]
	s_add_u32 s12, s12, 8
	s_addc_u32 s13, s13, 0
	v_or_b32_e32 v12, v6, v12
	s_cmp_lg_u32 s17, s14
	v_or_b32_e32 v13, v7, v13
	s_cbranch_scc1 .LBB11_1387
	s_branch .LBB11_1390
.LBB11_1388:                            ;   in Loop: Header=BB11_1369 Depth=1
                                        ; implicit-def: $sgpr16
	s_branch .LBB11_1391
.LBB11_1389:                            ;   in Loop: Header=BB11_1369 Depth=1
	v_mov_b32_e32 v12, 0
	v_mov_b32_e32 v13, 0
.LBB11_1390:                            ;   in Loop: Header=BB11_1369 Depth=1
	s_mov_b32 s16, 0
	s_cbranch_execnz .LBB11_1392
.LBB11_1391:                            ;   in Loop: Header=BB11_1369 Depth=1
	global_load_dwordx2 v[12:13], v26, s[4:5]
	s_add_i32 s16, s17, -8
	s_add_u32 s4, s4, 8
	s_addc_u32 s5, s5, 0
.LBB11_1392:                            ;   in Loop: Header=BB11_1369 Depth=1
	s_cmp_gt_u32 s16, 7
	s_cbranch_scc1 .LBB11_1396
; %bb.1393:                             ;   in Loop: Header=BB11_1369 Depth=1
	s_cmp_eq_u32 s16, 0
	s_cbranch_scc1 .LBB11_1397
; %bb.1394:                             ;   in Loop: Header=BB11_1369 Depth=1
	v_mov_b32_e32 v14, 0
	s_mov_b64 s[12:13], 0
	v_mov_b32_e32 v15, 0
	s_mov_b64 s[14:15], 0
.LBB11_1395:                            ;   Parent Loop BB11_1369 Depth=1
                                        ; =>  This Inner Loop Header: Depth=2
	s_add_u32 s18, s4, s14
	s_addc_u32 s19, s5, s15
	global_load_ubyte v6, v26, s[18:19]
	s_add_u32 s14, s14, 1
	s_addc_u32 s15, s15, 0
	s_waitcnt vmcnt(0)
	v_and_b32_e32 v25, 0xffff, v6
	v_lshlrev_b64 v[6:7], s12, v[25:26]
	s_add_u32 s12, s12, 8
	s_addc_u32 s13, s13, 0
	v_or_b32_e32 v14, v6, v14
	s_cmp_lg_u32 s16, s14
	v_or_b32_e32 v15, v7, v15
	s_cbranch_scc1 .LBB11_1395
	s_branch .LBB11_1398
.LBB11_1396:                            ;   in Loop: Header=BB11_1369 Depth=1
                                        ; implicit-def: $vgpr14_vgpr15
                                        ; implicit-def: $sgpr17
	s_branch .LBB11_1399
.LBB11_1397:                            ;   in Loop: Header=BB11_1369 Depth=1
	v_mov_b32_e32 v14, 0
	v_mov_b32_e32 v15, 0
.LBB11_1398:                            ;   in Loop: Header=BB11_1369 Depth=1
	s_mov_b32 s17, 0
	s_cbranch_execnz .LBB11_1400
.LBB11_1399:                            ;   in Loop: Header=BB11_1369 Depth=1
	global_load_dwordx2 v[14:15], v26, s[4:5]
	s_add_i32 s17, s16, -8
	s_add_u32 s4, s4, 8
	s_addc_u32 s5, s5, 0
.LBB11_1400:                            ;   in Loop: Header=BB11_1369 Depth=1
	s_cmp_gt_u32 s17, 7
	s_cbranch_scc1 .LBB11_1404
; %bb.1401:                             ;   in Loop: Header=BB11_1369 Depth=1
	s_cmp_eq_u32 s17, 0
	s_cbranch_scc1 .LBB11_1405
; %bb.1402:                             ;   in Loop: Header=BB11_1369 Depth=1
	v_mov_b32_e32 v16, 0
	s_mov_b64 s[12:13], 0
	v_mov_b32_e32 v17, 0
	s_mov_b64 s[14:15], 0
.LBB11_1403:                            ;   Parent Loop BB11_1369 Depth=1
                                        ; =>  This Inner Loop Header: Depth=2
	s_add_u32 s18, s4, s14
	s_addc_u32 s19, s5, s15
	global_load_ubyte v6, v26, s[18:19]
	s_add_u32 s14, s14, 1
	s_addc_u32 s15, s15, 0
	s_waitcnt vmcnt(0)
	v_and_b32_e32 v25, 0xffff, v6
	v_lshlrev_b64 v[6:7], s12, v[25:26]
	s_add_u32 s12, s12, 8
	s_addc_u32 s13, s13, 0
	v_or_b32_e32 v16, v6, v16
	s_cmp_lg_u32 s17, s14
	v_or_b32_e32 v17, v7, v17
	s_cbranch_scc1 .LBB11_1403
	s_branch .LBB11_1406
.LBB11_1404:                            ;   in Loop: Header=BB11_1369 Depth=1
                                        ; implicit-def: $sgpr16
	s_branch .LBB11_1407
.LBB11_1405:                            ;   in Loop: Header=BB11_1369 Depth=1
	v_mov_b32_e32 v16, 0
	v_mov_b32_e32 v17, 0
.LBB11_1406:                            ;   in Loop: Header=BB11_1369 Depth=1
	s_mov_b32 s16, 0
	s_cbranch_execnz .LBB11_1408
.LBB11_1407:                            ;   in Loop: Header=BB11_1369 Depth=1
	global_load_dwordx2 v[16:17], v26, s[4:5]
	s_add_i32 s16, s17, -8
	s_add_u32 s4, s4, 8
	s_addc_u32 s5, s5, 0
.LBB11_1408:                            ;   in Loop: Header=BB11_1369 Depth=1
	s_cmp_gt_u32 s16, 7
	s_cbranch_scc1 .LBB11_1412
; %bb.1409:                             ;   in Loop: Header=BB11_1369 Depth=1
	s_cmp_eq_u32 s16, 0
	s_cbranch_scc1 .LBB11_1413
; %bb.1410:                             ;   in Loop: Header=BB11_1369 Depth=1
	v_mov_b32_e32 v18, 0
	s_mov_b64 s[12:13], 0
	v_mov_b32_e32 v19, 0
	s_mov_b64 s[14:15], 0
.LBB11_1411:                            ;   Parent Loop BB11_1369 Depth=1
                                        ; =>  This Inner Loop Header: Depth=2
	s_add_u32 s18, s4, s14
	s_addc_u32 s19, s5, s15
	global_load_ubyte v6, v26, s[18:19]
	s_add_u32 s14, s14, 1
	s_addc_u32 s15, s15, 0
	s_waitcnt vmcnt(0)
	v_and_b32_e32 v25, 0xffff, v6
	v_lshlrev_b64 v[6:7], s12, v[25:26]
	s_add_u32 s12, s12, 8
	s_addc_u32 s13, s13, 0
	v_or_b32_e32 v18, v6, v18
	s_cmp_lg_u32 s16, s14
	v_or_b32_e32 v19, v7, v19
	s_cbranch_scc1 .LBB11_1411
	s_branch .LBB11_1414
.LBB11_1412:                            ;   in Loop: Header=BB11_1369 Depth=1
                                        ; implicit-def: $vgpr18_vgpr19
                                        ; implicit-def: $sgpr17
	s_branch .LBB11_1415
.LBB11_1413:                            ;   in Loop: Header=BB11_1369 Depth=1
	v_mov_b32_e32 v18, 0
	v_mov_b32_e32 v19, 0
.LBB11_1414:                            ;   in Loop: Header=BB11_1369 Depth=1
	s_mov_b32 s17, 0
	s_cbranch_execnz .LBB11_1416
.LBB11_1415:                            ;   in Loop: Header=BB11_1369 Depth=1
	global_load_dwordx2 v[18:19], v26, s[4:5]
	s_add_i32 s17, s16, -8
	s_add_u32 s4, s4, 8
	s_addc_u32 s5, s5, 0
.LBB11_1416:                            ;   in Loop: Header=BB11_1369 Depth=1
	s_cmp_gt_u32 s17, 7
	s_cbranch_scc1 .LBB11_1420
; %bb.1417:                             ;   in Loop: Header=BB11_1369 Depth=1
	s_cmp_eq_u32 s17, 0
	s_cbranch_scc1 .LBB11_1421
; %bb.1418:                             ;   in Loop: Header=BB11_1369 Depth=1
	v_mov_b32_e32 v20, 0
	s_mov_b64 s[12:13], 0
	v_mov_b32_e32 v21, 0
	s_mov_b64 s[14:15], s[4:5]
.LBB11_1419:                            ;   Parent Loop BB11_1369 Depth=1
                                        ; =>  This Inner Loop Header: Depth=2
	global_load_ubyte v6, v26, s[14:15]
	s_add_i32 s17, s17, -1
	s_waitcnt vmcnt(0)
	v_and_b32_e32 v25, 0xffff, v6
	v_lshlrev_b64 v[6:7], s12, v[25:26]
	s_add_u32 s12, s12, 8
	s_addc_u32 s13, s13, 0
	s_add_u32 s14, s14, 1
	s_addc_u32 s15, s15, 0
	v_or_b32_e32 v20, v6, v20
	s_cmp_lg_u32 s17, 0
	v_or_b32_e32 v21, v7, v21
	s_cbranch_scc1 .LBB11_1419
	s_branch .LBB11_1422
.LBB11_1420:                            ;   in Loop: Header=BB11_1369 Depth=1
	s_branch .LBB11_1423
.LBB11_1421:                            ;   in Loop: Header=BB11_1369 Depth=1
	v_mov_b32_e32 v20, 0
	v_mov_b32_e32 v21, 0
.LBB11_1422:                            ;   in Loop: Header=BB11_1369 Depth=1
	s_cbranch_execnz .LBB11_1424
.LBB11_1423:                            ;   in Loop: Header=BB11_1369 Depth=1
	global_load_dwordx2 v[20:21], v26, s[4:5]
.LBB11_1424:                            ;   in Loop: Header=BB11_1369 Depth=1
	v_readfirstlane_b32 s4, v42
	v_mov_b32_e32 v6, 0
	v_mov_b32_e32 v7, 0
	v_cmp_eq_u32_e64 s[4:5], s4, v42
	s_and_saveexec_b64 s[12:13], s[4:5]
	s_cbranch_execz .LBB11_1430
; %bb.1425:                             ;   in Loop: Header=BB11_1369 Depth=1
	global_load_dwordx2 v[24:25], v26, s[44:45] offset:24 glc
	s_waitcnt vmcnt(0)
	buffer_wbinvl1_vol
	global_load_dwordx2 v[6:7], v26, s[44:45] offset:40
	global_load_dwordx2 v[22:23], v26, s[44:45]
	s_waitcnt vmcnt(1)
	v_and_b32_e32 v6, v6, v24
	v_and_b32_e32 v7, v7, v25
	v_mul_lo_u32 v7, v7, 24
	v_mul_hi_u32 v27, v6, 24
	v_mul_lo_u32 v6, v6, 24
	v_add_u32_e32 v7, v27, v7
	s_waitcnt vmcnt(0)
	v_add_co_u32_e32 v6, vcc, v22, v6
	v_addc_co_u32_e32 v7, vcc, v23, v7, vcc
	global_load_dwordx2 v[22:23], v[6:7], off glc
	s_waitcnt vmcnt(0)
	global_atomic_cmpswap_x2 v[6:7], v26, v[22:25], s[44:45] offset:24 glc
	s_waitcnt vmcnt(0)
	buffer_wbinvl1_vol
	v_cmp_ne_u64_e32 vcc, v[6:7], v[24:25]
	s_and_saveexec_b64 s[14:15], vcc
	s_cbranch_execz .LBB11_1429
; %bb.1426:                             ;   in Loop: Header=BB11_1369 Depth=1
	s_mov_b64 s[16:17], 0
.LBB11_1427:                            ;   Parent Loop BB11_1369 Depth=1
                                        ; =>  This Inner Loop Header: Depth=2
	s_sleep 1
	global_load_dwordx2 v[22:23], v26, s[44:45] offset:40
	global_load_dwordx2 v[27:28], v26, s[44:45]
	v_mov_b32_e32 v25, v7
	v_mov_b32_e32 v24, v6
	s_waitcnt vmcnt(1)
	v_and_b32_e32 v6, v22, v24
	s_waitcnt vmcnt(0)
	v_mad_u64_u32 v[6:7], s[18:19], v6, 24, v[27:28]
	v_and_b32_e32 v22, v23, v25
	v_mad_u64_u32 v[22:23], s[18:19], v22, 24, v[7:8]
	v_mov_b32_e32 v7, v22
	global_load_dwordx2 v[22:23], v[6:7], off glc
	s_waitcnt vmcnt(0)
	global_atomic_cmpswap_x2 v[6:7], v26, v[22:25], s[44:45] offset:24 glc
	s_waitcnt vmcnt(0)
	buffer_wbinvl1_vol
	v_cmp_eq_u64_e32 vcc, v[6:7], v[24:25]
	s_or_b64 s[16:17], vcc, s[16:17]
	s_andn2_b64 exec, exec, s[16:17]
	s_cbranch_execnz .LBB11_1427
; %bb.1428:                             ;   in Loop: Header=BB11_1369 Depth=1
	s_or_b64 exec, exec, s[16:17]
.LBB11_1429:                            ;   in Loop: Header=BB11_1369 Depth=1
	s_or_b64 exec, exec, s[14:15]
.LBB11_1430:                            ;   in Loop: Header=BB11_1369 Depth=1
	s_or_b64 exec, exec, s[12:13]
	global_load_dwordx2 v[27:28], v26, s[44:45] offset:40
	global_load_dwordx4 v[22:25], v26, s[44:45]
	v_readfirstlane_b32 s12, v6
	v_readfirstlane_b32 s13, v7
	s_mov_b64 s[16:17], exec
	s_waitcnt vmcnt(1)
	v_readfirstlane_b32 s14, v27
	v_readfirstlane_b32 s15, v28
	s_and_b64 s[14:15], s[12:13], s[14:15]
	s_mul_i32 s18, s15, 24
	s_mul_hi_u32 s19, s14, 24
	s_mul_i32 s20, s14, 24
	s_add_i32 s18, s19, s18
	v_mov_b32_e32 v6, s18
	s_waitcnt vmcnt(0)
	v_add_co_u32_e32 v27, vcc, s20, v22
	v_addc_co_u32_e32 v28, vcc, v23, v6, vcc
	s_and_saveexec_b64 s[18:19], s[4:5]
	s_cbranch_execz .LBB11_1432
; %bb.1431:                             ;   in Loop: Header=BB11_1369 Depth=1
	v_mov_b32_e32 v6, s16
	v_mov_b32_e32 v7, s17
	global_store_dwordx4 v[27:28], v[6:9], off offset:8
.LBB11_1432:                            ;   in Loop: Header=BB11_1369 Depth=1
	s_or_b64 exec, exec, s[18:19]
	v_cmp_gt_u64_e64 vcc, s[8:9], 56
	v_or_b32_e32 v6, 0, v1
	v_cndmask_b32_e32 v1, v6, v1, vcc
	v_or_b32_e32 v6, v0, v29
	s_lshl_b32 s16, s10, 2
	s_lshl_b64 s[14:15], s[14:15], 12
	v_cndmask_b32_e32 v0, v6, v0, vcc
	s_add_i32 s16, s16, 28
	v_mov_b32_e32 v6, s15
	v_add_co_u32_e32 v24, vcc, s14, v24
	s_and_b32 s16, s16, 0x1e0
	v_and_b32_e32 v0, 0xffffff1f, v0
	v_addc_co_u32_e32 v30, vcc, v25, v6, vcc
	v_or_b32_e32 v0, s16, v0
	v_readfirstlane_b32 s14, v24
	v_readfirstlane_b32 s15, v30
	s_nop 4
	global_store_dwordx4 v41, v[0:3], s[14:15]
	global_store_dwordx4 v41, v[10:13], s[14:15] offset:16
	global_store_dwordx4 v41, v[14:17], s[14:15] offset:32
	global_store_dwordx4 v41, v[18:21], s[14:15] offset:48
	s_and_saveexec_b64 s[14:15], s[4:5]
	s_cbranch_execz .LBB11_1440
; %bb.1433:                             ;   in Loop: Header=BB11_1369 Depth=1
	global_load_dwordx2 v[12:13], v26, s[44:45] offset:32 glc
	global_load_dwordx2 v[0:1], v26, s[44:45] offset:40
	v_mov_b32_e32 v10, s12
	v_mov_b32_e32 v11, s13
	s_waitcnt vmcnt(0)
	v_readfirstlane_b32 s16, v0
	v_readfirstlane_b32 s17, v1
	s_and_b64 s[16:17], s[16:17], s[12:13]
	s_mul_i32 s17, s17, 24
	s_mul_hi_u32 s18, s16, 24
	s_mul_i32 s16, s16, 24
	s_add_i32 s17, s18, s17
	v_mov_b32_e32 v0, s17
	v_add_co_u32_e32 v6, vcc, s16, v22
	v_addc_co_u32_e32 v7, vcc, v23, v0, vcc
	global_store_dwordx2 v[6:7], v[12:13], off
	s_waitcnt vmcnt(0)
	global_atomic_cmpswap_x2 v[2:3], v26, v[10:13], s[44:45] offset:32 glc
	s_waitcnt vmcnt(0)
	v_cmp_ne_u64_e32 vcc, v[2:3], v[12:13]
	s_and_saveexec_b64 s[16:17], vcc
	s_cbranch_execz .LBB11_1436
; %bb.1434:                             ;   in Loop: Header=BB11_1369 Depth=1
	s_mov_b64 s[18:19], 0
.LBB11_1435:                            ;   Parent Loop BB11_1369 Depth=1
                                        ; =>  This Inner Loop Header: Depth=2
	s_sleep 1
	global_store_dwordx2 v[6:7], v[2:3], off
	v_mov_b32_e32 v0, s12
	v_mov_b32_e32 v1, s13
	s_waitcnt vmcnt(0)
	global_atomic_cmpswap_x2 v[0:1], v26, v[0:3], s[44:45] offset:32 glc
	s_waitcnt vmcnt(0)
	v_cmp_eq_u64_e32 vcc, v[0:1], v[2:3]
	v_mov_b32_e32 v3, v1
	s_or_b64 s[18:19], vcc, s[18:19]
	v_mov_b32_e32 v2, v0
	s_andn2_b64 exec, exec, s[18:19]
	s_cbranch_execnz .LBB11_1435
.LBB11_1436:                            ;   in Loop: Header=BB11_1369 Depth=1
	s_or_b64 exec, exec, s[16:17]
	global_load_dwordx2 v[0:1], v26, s[44:45] offset:16
	s_mov_b64 s[18:19], exec
	v_mbcnt_lo_u32_b32 v2, s18, 0
	v_mbcnt_hi_u32_b32 v2, s19, v2
	v_cmp_eq_u32_e32 vcc, 0, v2
	s_and_saveexec_b64 s[16:17], vcc
	s_cbranch_execz .LBB11_1438
; %bb.1437:                             ;   in Loop: Header=BB11_1369 Depth=1
	s_bcnt1_i32_b64 s18, s[18:19]
	v_mov_b32_e32 v25, s18
	s_waitcnt vmcnt(0)
	global_atomic_add_x2 v[0:1], v[25:26], off offset:8
.LBB11_1438:                            ;   in Loop: Header=BB11_1369 Depth=1
	s_or_b64 exec, exec, s[16:17]
	s_waitcnt vmcnt(0)
	global_load_dwordx2 v[2:3], v[0:1], off offset:16
	s_waitcnt vmcnt(0)
	v_cmp_eq_u64_e32 vcc, 0, v[2:3]
	s_cbranch_vccnz .LBB11_1440
; %bb.1439:                             ;   in Loop: Header=BB11_1369 Depth=1
	global_load_dword v25, v[0:1], off offset:24
	s_waitcnt vmcnt(0)
	v_and_b32_e32 v0, 0xffffff, v25
	v_readfirstlane_b32 m0, v0
	global_store_dwordx2 v[2:3], v[25:26], off
	s_sendmsg sendmsg(MSG_INTERRUPT)
.LBB11_1440:                            ;   in Loop: Header=BB11_1369 Depth=1
	s_or_b64 exec, exec, s[14:15]
	v_add_co_u32_e32 v0, vcc, v24, v41
	v_addc_co_u32_e32 v1, vcc, 0, v30, vcc
	s_branch .LBB11_1444
.LBB11_1441:                            ;   in Loop: Header=BB11_1444 Depth=2
	s_or_b64 exec, exec, s[14:15]
	v_readfirstlane_b32 s14, v2
	s_cmp_eq_u32 s14, 0
	s_cbranch_scc1 .LBB11_1443
; %bb.1442:                             ;   in Loop: Header=BB11_1444 Depth=2
	s_sleep 1
	s_cbranch_execnz .LBB11_1444
	s_branch .LBB11_1446
.LBB11_1443:                            ;   in Loop: Header=BB11_1369 Depth=1
	s_branch .LBB11_1446
.LBB11_1444:                            ;   Parent Loop BB11_1369 Depth=1
                                        ; =>  This Inner Loop Header: Depth=2
	v_mov_b32_e32 v2, 1
	s_and_saveexec_b64 s[14:15], s[4:5]
	s_cbranch_execz .LBB11_1441
; %bb.1445:                             ;   in Loop: Header=BB11_1444 Depth=2
	global_load_dword v2, v[27:28], off offset:20 glc
	s_waitcnt vmcnt(0)
	buffer_wbinvl1_vol
	v_and_b32_e32 v2, 1, v2
	s_branch .LBB11_1441
.LBB11_1446:                            ;   in Loop: Header=BB11_1369 Depth=1
	global_load_dwordx4 v[0:3], v[0:1], off
	s_and_saveexec_b64 s[14:15], s[4:5]
	s_cbranch_execz .LBB11_1368
; %bb.1447:                             ;   in Loop: Header=BB11_1369 Depth=1
	global_load_dwordx2 v[2:3], v26, s[44:45] offset:40
	global_load_dwordx2 v[6:7], v26, s[44:45] offset:24 glc
	global_load_dwordx2 v[13:14], v26, s[44:45]
	v_mov_b32_e32 v11, s13
	s_waitcnt vmcnt(2)
	v_add_co_u32_e32 v12, vcc, 1, v2
	v_addc_co_u32_e32 v15, vcc, 0, v3, vcc
	v_add_co_u32_e32 v10, vcc, s12, v12
	v_addc_co_u32_e32 v11, vcc, v15, v11, vcc
	v_cmp_eq_u64_e32 vcc, 0, v[10:11]
	v_cndmask_b32_e32 v11, v11, v15, vcc
	v_cndmask_b32_e32 v10, v10, v12, vcc
	v_and_b32_e32 v3, v11, v3
	v_and_b32_e32 v2, v10, v2
	v_mul_lo_u32 v3, v3, 24
	v_mul_hi_u32 v15, v2, 24
	v_mul_lo_u32 v2, v2, 24
	s_waitcnt vmcnt(1)
	v_mov_b32_e32 v12, v6
	v_add_u32_e32 v3, v15, v3
	s_waitcnt vmcnt(0)
	v_add_co_u32_e32 v2, vcc, v13, v2
	v_addc_co_u32_e32 v3, vcc, v14, v3, vcc
	global_store_dwordx2 v[2:3], v[6:7], off
	v_mov_b32_e32 v13, v7
	s_waitcnt vmcnt(0)
	global_atomic_cmpswap_x2 v[12:13], v26, v[10:13], s[44:45] offset:24 glc
	s_waitcnt vmcnt(0)
	v_cmp_ne_u64_e32 vcc, v[12:13], v[6:7]
	s_and_b64 exec, exec, vcc
	s_cbranch_execz .LBB11_1368
; %bb.1448:                             ;   in Loop: Header=BB11_1369 Depth=1
	s_mov_b64 s[4:5], 0
.LBB11_1449:                            ;   Parent Loop BB11_1369 Depth=1
                                        ; =>  This Inner Loop Header: Depth=2
	s_sleep 1
	global_store_dwordx2 v[2:3], v[12:13], off
	s_waitcnt vmcnt(0)
	global_atomic_cmpswap_x2 v[6:7], v26, v[10:13], s[44:45] offset:24 glc
	s_waitcnt vmcnt(0)
	v_cmp_eq_u64_e32 vcc, v[6:7], v[12:13]
	v_mov_b32_e32 v13, v7
	s_or_b64 s[4:5], vcc, s[4:5]
	v_mov_b32_e32 v12, v6
	s_andn2_b64 exec, exec, s[4:5]
	s_cbranch_execnz .LBB11_1449
	s_branch .LBB11_1368
.LBB11_1450:
	s_mov_b64 s[4:5], 0
	s_branch .LBB11_1452
.LBB11_1451:
	s_mov_b64 s[4:5], -1
                                        ; implicit-def: $vgpr0_vgpr1
.LBB11_1452:
	s_and_b64 vcc, exec, s[4:5]
	s_cbranch_vccz .LBB11_1479
; %bb.1453:
	v_readfirstlane_b32 s4, v42
	v_mov_b32_e32 v7, 0
	v_mov_b32_e32 v8, 0
	v_cmp_eq_u32_e64 s[4:5], s4, v42
	s_and_saveexec_b64 s[6:7], s[4:5]
	s_cbranch_execz .LBB11_1459
; %bb.1454:
	s_waitcnt vmcnt(0)
	v_mov_b32_e32 v0, 0
	global_load_dwordx2 v[9:10], v0, s[44:45] offset:24 glc
	s_waitcnt vmcnt(0)
	buffer_wbinvl1_vol
	global_load_dwordx2 v[1:2], v0, s[44:45] offset:40
	global_load_dwordx2 v[6:7], v0, s[44:45]
	s_waitcnt vmcnt(1)
	v_and_b32_e32 v1, v1, v9
	v_and_b32_e32 v2, v2, v10
	v_mul_lo_u32 v2, v2, 24
	v_mul_hi_u32 v3, v1, 24
	v_mul_lo_u32 v1, v1, 24
	v_add_u32_e32 v2, v3, v2
	s_waitcnt vmcnt(0)
	v_add_co_u32_e32 v1, vcc, v6, v1
	v_addc_co_u32_e32 v2, vcc, v7, v2, vcc
	global_load_dwordx2 v[7:8], v[1:2], off glc
	s_waitcnt vmcnt(0)
	global_atomic_cmpswap_x2 v[7:8], v0, v[7:10], s[44:45] offset:24 glc
	s_waitcnt vmcnt(0)
	buffer_wbinvl1_vol
	v_cmp_ne_u64_e32 vcc, v[7:8], v[9:10]
	s_and_saveexec_b64 s[8:9], vcc
	s_cbranch_execz .LBB11_1458
; %bb.1455:
	s_mov_b64 s[10:11], 0
.LBB11_1456:                            ; =>This Inner Loop Header: Depth=1
	s_sleep 1
	global_load_dwordx2 v[1:2], v0, s[44:45] offset:40
	global_load_dwordx2 v[11:12], v0, s[44:45]
	v_mov_b32_e32 v10, v8
	v_mov_b32_e32 v9, v7
	s_waitcnt vmcnt(1)
	v_and_b32_e32 v1, v1, v9
	s_waitcnt vmcnt(0)
	v_mad_u64_u32 v[6:7], s[12:13], v1, 24, v[11:12]
	v_and_b32_e32 v2, v2, v10
	v_mov_b32_e32 v1, v7
	v_mad_u64_u32 v[1:2], s[12:13], v2, 24, v[1:2]
	v_mov_b32_e32 v7, v1
	global_load_dwordx2 v[7:8], v[6:7], off glc
	s_waitcnt vmcnt(0)
	global_atomic_cmpswap_x2 v[7:8], v0, v[7:10], s[44:45] offset:24 glc
	s_waitcnt vmcnt(0)
	buffer_wbinvl1_vol
	v_cmp_eq_u64_e32 vcc, v[7:8], v[9:10]
	s_or_b64 s[10:11], vcc, s[10:11]
	s_andn2_b64 exec, exec, s[10:11]
	s_cbranch_execnz .LBB11_1456
; %bb.1457:
	s_or_b64 exec, exec, s[10:11]
.LBB11_1458:
	s_or_b64 exec, exec, s[8:9]
.LBB11_1459:
	s_or_b64 exec, exec, s[6:7]
	v_mov_b32_e32 v6, 0
	global_load_dwordx2 v[9:10], v6, s[44:45] offset:40
	global_load_dwordx4 v[0:3], v6, s[44:45]
	v_readfirstlane_b32 s6, v7
	v_readfirstlane_b32 s7, v8
	s_mov_b64 s[8:9], exec
	s_waitcnt vmcnt(1)
	v_readfirstlane_b32 s10, v9
	v_readfirstlane_b32 s11, v10
	s_and_b64 s[10:11], s[6:7], s[10:11]
	s_mul_i32 s12, s11, 24
	s_mul_hi_u32 s13, s10, 24
	s_mul_i32 s14, s10, 24
	s_add_i32 s12, s13, s12
	v_mov_b32_e32 v7, s12
	s_waitcnt vmcnt(0)
	v_add_co_u32_e32 v8, vcc, s14, v0
	v_addc_co_u32_e32 v9, vcc, v1, v7, vcc
	s_and_saveexec_b64 s[12:13], s[4:5]
	s_cbranch_execz .LBB11_1461
; %bb.1460:
	v_mov_b32_e32 v11, s9
	v_mov_b32_e32 v10, s8
	;; [unrolled: 1-line block ×4, first 2 shown]
	global_store_dwordx4 v[8:9], v[10:13], off offset:8
.LBB11_1461:
	s_or_b64 exec, exec, s[12:13]
	s_lshl_b64 s[8:9], s[10:11], 12
	v_mov_b32_e32 v7, s9
	v_add_co_u32_e32 v2, vcc, s8, v2
	v_addc_co_u32_e32 v3, vcc, v3, v7, vcc
	s_movk_i32 s8, 0xff1f
	v_and_or_b32 v4, v4, s8, 32
	v_add_co_u32_e32 v10, vcc, v2, v41
	s_mov_b32 s8, 0
	v_mov_b32_e32 v7, v6
	v_readfirstlane_b32 s12, v2
	v_readfirstlane_b32 s13, v3
	v_addc_co_u32_e32 v11, vcc, 0, v3, vcc
	s_mov_b32 s9, s8
	s_mov_b32 s10, s8
	;; [unrolled: 1-line block ×3, first 2 shown]
	s_nop 0
	global_store_dwordx4 v41, v[4:7], s[12:13]
	v_mov_b32_e32 v2, s8
	v_mov_b32_e32 v3, s9
	;; [unrolled: 1-line block ×4, first 2 shown]
	global_store_dwordx4 v41, v[2:5], s[12:13] offset:16
	global_store_dwordx4 v41, v[2:5], s[12:13] offset:32
	;; [unrolled: 1-line block ×3, first 2 shown]
	s_and_saveexec_b64 s[8:9], s[4:5]
	s_cbranch_execz .LBB11_1469
; %bb.1462:
	v_mov_b32_e32 v6, 0
	global_load_dwordx2 v[14:15], v6, s[44:45] offset:32 glc
	global_load_dwordx2 v[2:3], v6, s[44:45] offset:40
	v_mov_b32_e32 v12, s6
	v_mov_b32_e32 v13, s7
	s_waitcnt vmcnt(0)
	v_readfirstlane_b32 s10, v2
	v_readfirstlane_b32 s11, v3
	s_and_b64 s[10:11], s[10:11], s[6:7]
	s_mul_i32 s11, s11, 24
	s_mul_hi_u32 s12, s10, 24
	s_mul_i32 s10, s10, 24
	s_add_i32 s11, s12, s11
	v_mov_b32_e32 v2, s11
	v_add_co_u32_e32 v4, vcc, s10, v0
	v_addc_co_u32_e32 v5, vcc, v1, v2, vcc
	global_store_dwordx2 v[4:5], v[14:15], off
	s_waitcnt vmcnt(0)
	global_atomic_cmpswap_x2 v[2:3], v6, v[12:15], s[44:45] offset:32 glc
	s_waitcnt vmcnt(0)
	v_cmp_ne_u64_e32 vcc, v[2:3], v[14:15]
	s_and_saveexec_b64 s[10:11], vcc
	s_cbranch_execz .LBB11_1465
; %bb.1463:
	s_mov_b64 s[12:13], 0
.LBB11_1464:                            ; =>This Inner Loop Header: Depth=1
	s_sleep 1
	global_store_dwordx2 v[4:5], v[2:3], off
	v_mov_b32_e32 v0, s6
	v_mov_b32_e32 v1, s7
	s_waitcnt vmcnt(0)
	global_atomic_cmpswap_x2 v[0:1], v6, v[0:3], s[44:45] offset:32 glc
	s_waitcnt vmcnt(0)
	v_cmp_eq_u64_e32 vcc, v[0:1], v[2:3]
	v_mov_b32_e32 v3, v1
	s_or_b64 s[12:13], vcc, s[12:13]
	v_mov_b32_e32 v2, v0
	s_andn2_b64 exec, exec, s[12:13]
	s_cbranch_execnz .LBB11_1464
.LBB11_1465:
	s_or_b64 exec, exec, s[10:11]
	v_mov_b32_e32 v3, 0
	global_load_dwordx2 v[0:1], v3, s[44:45] offset:16
	s_mov_b64 s[10:11], exec
	v_mbcnt_lo_u32_b32 v2, s10, 0
	v_mbcnt_hi_u32_b32 v2, s11, v2
	v_cmp_eq_u32_e32 vcc, 0, v2
	s_and_saveexec_b64 s[12:13], vcc
	s_cbranch_execz .LBB11_1467
; %bb.1466:
	s_bcnt1_i32_b64 s10, s[10:11]
	v_mov_b32_e32 v2, s10
	s_waitcnt vmcnt(0)
	global_atomic_add_x2 v[0:1], v[2:3], off offset:8
.LBB11_1467:
	s_or_b64 exec, exec, s[12:13]
	s_waitcnt vmcnt(0)
	global_load_dwordx2 v[2:3], v[0:1], off offset:16
	s_waitcnt vmcnt(0)
	v_cmp_eq_u64_e32 vcc, 0, v[2:3]
	s_cbranch_vccnz .LBB11_1469
; %bb.1468:
	global_load_dword v0, v[0:1], off offset:24
	v_mov_b32_e32 v1, 0
	s_waitcnt vmcnt(0)
	global_store_dwordx2 v[2:3], v[0:1], off
	v_and_b32_e32 v0, 0xffffff, v0
	v_readfirstlane_b32 m0, v0
	s_sendmsg sendmsg(MSG_INTERRUPT)
.LBB11_1469:
	s_or_b64 exec, exec, s[8:9]
	s_branch .LBB11_1473
.LBB11_1470:                            ;   in Loop: Header=BB11_1473 Depth=1
	s_or_b64 exec, exec, s[8:9]
	v_readfirstlane_b32 s8, v0
	s_cmp_eq_u32 s8, 0
	s_cbranch_scc1 .LBB11_1472
; %bb.1471:                             ;   in Loop: Header=BB11_1473 Depth=1
	s_sleep 1
	s_cbranch_execnz .LBB11_1473
	s_branch .LBB11_1475
.LBB11_1472:
	s_branch .LBB11_1475
.LBB11_1473:                            ; =>This Inner Loop Header: Depth=1
	v_mov_b32_e32 v0, 1
	s_and_saveexec_b64 s[8:9], s[4:5]
	s_cbranch_execz .LBB11_1470
; %bb.1474:                             ;   in Loop: Header=BB11_1473 Depth=1
	global_load_dword v0, v[8:9], off offset:20 glc
	s_waitcnt vmcnt(0)
	buffer_wbinvl1_vol
	v_and_b32_e32 v0, 1, v0
	s_branch .LBB11_1470
.LBB11_1475:
	global_load_dwordx2 v[0:1], v[10:11], off
	s_and_saveexec_b64 s[8:9], s[4:5]
	s_cbranch_execz .LBB11_1478
; %bb.1476:
	v_mov_b32_e32 v8, 0
	global_load_dwordx2 v[4:5], v8, s[44:45] offset:40
	global_load_dwordx2 v[9:10], v8, s[44:45] offset:24 glc
	global_load_dwordx2 v[6:7], v8, s[44:45]
	v_mov_b32_e32 v3, s7
	s_mov_b64 s[4:5], 0
	s_waitcnt vmcnt(2)
	v_add_co_u32_e32 v11, vcc, 1, v4
	v_addc_co_u32_e32 v12, vcc, 0, v5, vcc
	v_add_co_u32_e32 v2, vcc, s6, v11
	v_addc_co_u32_e32 v3, vcc, v12, v3, vcc
	v_cmp_eq_u64_e32 vcc, 0, v[2:3]
	v_cndmask_b32_e32 v3, v3, v12, vcc
	v_cndmask_b32_e32 v2, v2, v11, vcc
	v_and_b32_e32 v5, v3, v5
	v_and_b32_e32 v4, v2, v4
	v_mul_lo_u32 v5, v5, 24
	v_mul_hi_u32 v11, v4, 24
	v_mul_lo_u32 v12, v4, 24
	s_waitcnt vmcnt(1)
	v_mov_b32_e32 v4, v9
	v_add_u32_e32 v5, v11, v5
	s_waitcnt vmcnt(0)
	v_add_co_u32_e32 v6, vcc, v6, v12
	v_addc_co_u32_e32 v7, vcc, v7, v5, vcc
	global_store_dwordx2 v[6:7], v[9:10], off
	v_mov_b32_e32 v5, v10
	s_waitcnt vmcnt(0)
	global_atomic_cmpswap_x2 v[4:5], v8, v[2:5], s[44:45] offset:24 glc
	s_waitcnt vmcnt(0)
	v_cmp_ne_u64_e32 vcc, v[4:5], v[9:10]
	s_and_b64 exec, exec, vcc
	s_cbranch_execz .LBB11_1478
.LBB11_1477:                            ; =>This Inner Loop Header: Depth=1
	s_sleep 1
	global_store_dwordx2 v[6:7], v[4:5], off
	s_waitcnt vmcnt(0)
	global_atomic_cmpswap_x2 v[9:10], v8, v[2:5], s[44:45] offset:24 glc
	s_waitcnt vmcnt(0)
	v_cmp_eq_u64_e32 vcc, v[9:10], v[4:5]
	v_mov_b32_e32 v4, v9
	s_or_b64 s[4:5], vcc, s[4:5]
	v_mov_b32_e32 v5, v10
	s_andn2_b64 exec, exec, s[4:5]
	s_cbranch_execnz .LBB11_1477
.LBB11_1478:
	s_or_b64 exec, exec, s[8:9]
.LBB11_1479:
	s_getpc_b64 s[6:7]
	s_add_u32 s6, s6, .str.4@rel32@lo+4
	s_addc_u32 s7, s7, .str.4@rel32@hi+12
	s_cmp_lg_u64 s[6:7], 0
	s_cbranch_scc0 .LBB11_1564
; %bb.1480:
	s_waitcnt vmcnt(0)
	v_and_b32_e32 v6, -3, v0
	v_mov_b32_e32 v7, v1
	s_mov_b64 s[8:9], 13
	v_mov_b32_e32 v26, 0
	v_mov_b32_e32 v4, 2
	;; [unrolled: 1-line block ×3, first 2 shown]
	s_branch .LBB11_1482
.LBB11_1481:                            ;   in Loop: Header=BB11_1482 Depth=1
	s_or_b64 exec, exec, s[14:15]
	s_sub_u32 s8, s8, s10
	s_subb_u32 s9, s9, s11
	s_add_u32 s6, s6, s10
	s_addc_u32 s7, s7, s11
	s_cmp_lg_u64 s[8:9], 0
	s_cbranch_scc0 .LBB11_1563
.LBB11_1482:                            ; =>This Loop Header: Depth=1
                                        ;     Child Loop BB11_1485 Depth 2
                                        ;     Child Loop BB11_1492 Depth 2
	;; [unrolled: 1-line block ×11, first 2 shown]
	v_cmp_lt_u64_e64 s[4:5], s[8:9], 56
	v_cmp_gt_u64_e64 s[12:13], s[8:9], 7
	s_and_b64 s[4:5], s[4:5], exec
	s_cselect_b32 s11, s9, 0
	s_cselect_b32 s10, s8, 56
	s_and_b64 vcc, exec, s[12:13]
	s_cbranch_vccnz .LBB11_1487
; %bb.1483:                             ;   in Loop: Header=BB11_1482 Depth=1
	s_waitcnt vmcnt(0)
	v_mov_b32_e32 v8, 0
	s_cmp_eq_u64 s[8:9], 0
	v_mov_b32_e32 v9, 0
	s_mov_b64 s[4:5], 0
	s_cbranch_scc1 .LBB11_1486
; %bb.1484:                             ;   in Loop: Header=BB11_1482 Depth=1
	v_mov_b32_e32 v8, 0
	s_lshl_b64 s[12:13], s[10:11], 3
	s_mov_b64 s[14:15], 0
	v_mov_b32_e32 v9, 0
	s_mov_b64 s[16:17], s[6:7]
.LBB11_1485:                            ;   Parent Loop BB11_1482 Depth=1
                                        ; =>  This Inner Loop Header: Depth=2
	global_load_ubyte v2, v26, s[16:17]
	s_waitcnt vmcnt(0)
	v_and_b32_e32 v25, 0xffff, v2
	v_lshlrev_b64 v[2:3], s14, v[25:26]
	s_add_u32 s14, s14, 8
	s_addc_u32 s15, s15, 0
	s_add_u32 s16, s16, 1
	s_addc_u32 s17, s17, 0
	v_or_b32_e32 v8, v2, v8
	s_cmp_lg_u32 s12, s14
	v_or_b32_e32 v9, v3, v9
	s_cbranch_scc1 .LBB11_1485
.LBB11_1486:                            ;   in Loop: Header=BB11_1482 Depth=1
	s_mov_b32 s16, 0
	s_andn2_b64 vcc, exec, s[4:5]
	s_mov_b64 s[4:5], s[6:7]
	s_cbranch_vccz .LBB11_1488
	s_branch .LBB11_1489
.LBB11_1487:                            ;   in Loop: Header=BB11_1482 Depth=1
                                        ; implicit-def: $sgpr16
	s_mov_b64 s[4:5], s[6:7]
.LBB11_1488:                            ;   in Loop: Header=BB11_1482 Depth=1
	global_load_dwordx2 v[8:9], v26, s[6:7]
	s_add_i32 s16, s10, -8
	s_add_u32 s4, s6, 8
	s_addc_u32 s5, s7, 0
.LBB11_1489:                            ;   in Loop: Header=BB11_1482 Depth=1
	s_cmp_gt_u32 s16, 7
	s_cbranch_scc1 .LBB11_1493
; %bb.1490:                             ;   in Loop: Header=BB11_1482 Depth=1
	s_cmp_eq_u32 s16, 0
	s_cbranch_scc1 .LBB11_1494
; %bb.1491:                             ;   in Loop: Header=BB11_1482 Depth=1
	v_mov_b32_e32 v10, 0
	s_mov_b64 s[12:13], 0
	v_mov_b32_e32 v11, 0
	s_mov_b64 s[14:15], 0
.LBB11_1492:                            ;   Parent Loop BB11_1482 Depth=1
                                        ; =>  This Inner Loop Header: Depth=2
	s_add_u32 s18, s4, s14
	s_addc_u32 s19, s5, s15
	global_load_ubyte v2, v26, s[18:19]
	s_add_u32 s14, s14, 1
	s_addc_u32 s15, s15, 0
	s_waitcnt vmcnt(0)
	v_and_b32_e32 v25, 0xffff, v2
	v_lshlrev_b64 v[2:3], s12, v[25:26]
	s_add_u32 s12, s12, 8
	s_addc_u32 s13, s13, 0
	v_or_b32_e32 v10, v2, v10
	s_cmp_lg_u32 s16, s14
	v_or_b32_e32 v11, v3, v11
	s_cbranch_scc1 .LBB11_1492
	s_branch .LBB11_1495
.LBB11_1493:                            ;   in Loop: Header=BB11_1482 Depth=1
                                        ; implicit-def: $vgpr10_vgpr11
                                        ; implicit-def: $sgpr17
	s_branch .LBB11_1496
.LBB11_1494:                            ;   in Loop: Header=BB11_1482 Depth=1
	v_mov_b32_e32 v10, 0
	v_mov_b32_e32 v11, 0
.LBB11_1495:                            ;   in Loop: Header=BB11_1482 Depth=1
	s_mov_b32 s17, 0
	s_cbranch_execnz .LBB11_1497
.LBB11_1496:                            ;   in Loop: Header=BB11_1482 Depth=1
	global_load_dwordx2 v[10:11], v26, s[4:5]
	s_add_i32 s17, s16, -8
	s_add_u32 s4, s4, 8
	s_addc_u32 s5, s5, 0
.LBB11_1497:                            ;   in Loop: Header=BB11_1482 Depth=1
	s_cmp_gt_u32 s17, 7
	s_cbranch_scc1 .LBB11_1501
; %bb.1498:                             ;   in Loop: Header=BB11_1482 Depth=1
	s_cmp_eq_u32 s17, 0
	s_cbranch_scc1 .LBB11_1502
; %bb.1499:                             ;   in Loop: Header=BB11_1482 Depth=1
	v_mov_b32_e32 v12, 0
	s_mov_b64 s[12:13], 0
	v_mov_b32_e32 v13, 0
	s_mov_b64 s[14:15], 0
.LBB11_1500:                            ;   Parent Loop BB11_1482 Depth=1
                                        ; =>  This Inner Loop Header: Depth=2
	s_add_u32 s18, s4, s14
	s_addc_u32 s19, s5, s15
	global_load_ubyte v2, v26, s[18:19]
	s_add_u32 s14, s14, 1
	s_addc_u32 s15, s15, 0
	s_waitcnt vmcnt(0)
	v_and_b32_e32 v25, 0xffff, v2
	v_lshlrev_b64 v[2:3], s12, v[25:26]
	s_add_u32 s12, s12, 8
	s_addc_u32 s13, s13, 0
	v_or_b32_e32 v12, v2, v12
	s_cmp_lg_u32 s17, s14
	v_or_b32_e32 v13, v3, v13
	s_cbranch_scc1 .LBB11_1500
	s_branch .LBB11_1503
.LBB11_1501:                            ;   in Loop: Header=BB11_1482 Depth=1
                                        ; implicit-def: $sgpr16
	s_branch .LBB11_1504
.LBB11_1502:                            ;   in Loop: Header=BB11_1482 Depth=1
	v_mov_b32_e32 v12, 0
	v_mov_b32_e32 v13, 0
.LBB11_1503:                            ;   in Loop: Header=BB11_1482 Depth=1
	s_mov_b32 s16, 0
	s_cbranch_execnz .LBB11_1505
.LBB11_1504:                            ;   in Loop: Header=BB11_1482 Depth=1
	global_load_dwordx2 v[12:13], v26, s[4:5]
	s_add_i32 s16, s17, -8
	s_add_u32 s4, s4, 8
	s_addc_u32 s5, s5, 0
.LBB11_1505:                            ;   in Loop: Header=BB11_1482 Depth=1
	s_cmp_gt_u32 s16, 7
	s_cbranch_scc1 .LBB11_1509
; %bb.1506:                             ;   in Loop: Header=BB11_1482 Depth=1
	s_cmp_eq_u32 s16, 0
	s_cbranch_scc1 .LBB11_1510
; %bb.1507:                             ;   in Loop: Header=BB11_1482 Depth=1
	v_mov_b32_e32 v14, 0
	s_mov_b64 s[12:13], 0
	v_mov_b32_e32 v15, 0
	s_mov_b64 s[14:15], 0
.LBB11_1508:                            ;   Parent Loop BB11_1482 Depth=1
                                        ; =>  This Inner Loop Header: Depth=2
	s_add_u32 s18, s4, s14
	s_addc_u32 s19, s5, s15
	global_load_ubyte v2, v26, s[18:19]
	s_add_u32 s14, s14, 1
	s_addc_u32 s15, s15, 0
	s_waitcnt vmcnt(0)
	v_and_b32_e32 v25, 0xffff, v2
	v_lshlrev_b64 v[2:3], s12, v[25:26]
	s_add_u32 s12, s12, 8
	s_addc_u32 s13, s13, 0
	v_or_b32_e32 v14, v2, v14
	s_cmp_lg_u32 s16, s14
	v_or_b32_e32 v15, v3, v15
	s_cbranch_scc1 .LBB11_1508
	s_branch .LBB11_1511
.LBB11_1509:                            ;   in Loop: Header=BB11_1482 Depth=1
                                        ; implicit-def: $vgpr14_vgpr15
                                        ; implicit-def: $sgpr17
	s_branch .LBB11_1512
.LBB11_1510:                            ;   in Loop: Header=BB11_1482 Depth=1
	v_mov_b32_e32 v14, 0
	v_mov_b32_e32 v15, 0
.LBB11_1511:                            ;   in Loop: Header=BB11_1482 Depth=1
	s_mov_b32 s17, 0
	s_cbranch_execnz .LBB11_1513
.LBB11_1512:                            ;   in Loop: Header=BB11_1482 Depth=1
	global_load_dwordx2 v[14:15], v26, s[4:5]
	s_add_i32 s17, s16, -8
	s_add_u32 s4, s4, 8
	s_addc_u32 s5, s5, 0
.LBB11_1513:                            ;   in Loop: Header=BB11_1482 Depth=1
	s_cmp_gt_u32 s17, 7
	s_cbranch_scc1 .LBB11_1517
; %bb.1514:                             ;   in Loop: Header=BB11_1482 Depth=1
	s_cmp_eq_u32 s17, 0
	s_cbranch_scc1 .LBB11_1518
; %bb.1515:                             ;   in Loop: Header=BB11_1482 Depth=1
	v_mov_b32_e32 v16, 0
	s_mov_b64 s[12:13], 0
	v_mov_b32_e32 v17, 0
	s_mov_b64 s[14:15], 0
.LBB11_1516:                            ;   Parent Loop BB11_1482 Depth=1
                                        ; =>  This Inner Loop Header: Depth=2
	s_add_u32 s18, s4, s14
	s_addc_u32 s19, s5, s15
	global_load_ubyte v2, v26, s[18:19]
	s_add_u32 s14, s14, 1
	s_addc_u32 s15, s15, 0
	s_waitcnt vmcnt(0)
	v_and_b32_e32 v25, 0xffff, v2
	v_lshlrev_b64 v[2:3], s12, v[25:26]
	s_add_u32 s12, s12, 8
	s_addc_u32 s13, s13, 0
	v_or_b32_e32 v16, v2, v16
	s_cmp_lg_u32 s17, s14
	v_or_b32_e32 v17, v3, v17
	s_cbranch_scc1 .LBB11_1516
	s_branch .LBB11_1519
.LBB11_1517:                            ;   in Loop: Header=BB11_1482 Depth=1
                                        ; implicit-def: $sgpr16
	s_branch .LBB11_1520
.LBB11_1518:                            ;   in Loop: Header=BB11_1482 Depth=1
	v_mov_b32_e32 v16, 0
	v_mov_b32_e32 v17, 0
.LBB11_1519:                            ;   in Loop: Header=BB11_1482 Depth=1
	s_mov_b32 s16, 0
	s_cbranch_execnz .LBB11_1521
.LBB11_1520:                            ;   in Loop: Header=BB11_1482 Depth=1
	global_load_dwordx2 v[16:17], v26, s[4:5]
	s_add_i32 s16, s17, -8
	s_add_u32 s4, s4, 8
	s_addc_u32 s5, s5, 0
.LBB11_1521:                            ;   in Loop: Header=BB11_1482 Depth=1
	s_cmp_gt_u32 s16, 7
	s_cbranch_scc1 .LBB11_1525
; %bb.1522:                             ;   in Loop: Header=BB11_1482 Depth=1
	s_cmp_eq_u32 s16, 0
	s_cbranch_scc1 .LBB11_1526
; %bb.1523:                             ;   in Loop: Header=BB11_1482 Depth=1
	v_mov_b32_e32 v18, 0
	s_mov_b64 s[12:13], 0
	v_mov_b32_e32 v19, 0
	s_mov_b64 s[14:15], 0
.LBB11_1524:                            ;   Parent Loop BB11_1482 Depth=1
                                        ; =>  This Inner Loop Header: Depth=2
	s_add_u32 s18, s4, s14
	s_addc_u32 s19, s5, s15
	global_load_ubyte v2, v26, s[18:19]
	s_add_u32 s14, s14, 1
	s_addc_u32 s15, s15, 0
	s_waitcnt vmcnt(0)
	v_and_b32_e32 v25, 0xffff, v2
	v_lshlrev_b64 v[2:3], s12, v[25:26]
	s_add_u32 s12, s12, 8
	s_addc_u32 s13, s13, 0
	v_or_b32_e32 v18, v2, v18
	s_cmp_lg_u32 s16, s14
	v_or_b32_e32 v19, v3, v19
	s_cbranch_scc1 .LBB11_1524
	s_branch .LBB11_1527
.LBB11_1525:                            ;   in Loop: Header=BB11_1482 Depth=1
                                        ; implicit-def: $vgpr18_vgpr19
                                        ; implicit-def: $sgpr17
	s_branch .LBB11_1528
.LBB11_1526:                            ;   in Loop: Header=BB11_1482 Depth=1
	v_mov_b32_e32 v18, 0
	v_mov_b32_e32 v19, 0
.LBB11_1527:                            ;   in Loop: Header=BB11_1482 Depth=1
	s_mov_b32 s17, 0
	s_cbranch_execnz .LBB11_1529
.LBB11_1528:                            ;   in Loop: Header=BB11_1482 Depth=1
	global_load_dwordx2 v[18:19], v26, s[4:5]
	s_add_i32 s17, s16, -8
	s_add_u32 s4, s4, 8
	s_addc_u32 s5, s5, 0
.LBB11_1529:                            ;   in Loop: Header=BB11_1482 Depth=1
	s_cmp_gt_u32 s17, 7
	s_cbranch_scc1 .LBB11_1533
; %bb.1530:                             ;   in Loop: Header=BB11_1482 Depth=1
	s_cmp_eq_u32 s17, 0
	s_cbranch_scc1 .LBB11_1534
; %bb.1531:                             ;   in Loop: Header=BB11_1482 Depth=1
	v_mov_b32_e32 v20, 0
	s_mov_b64 s[12:13], 0
	v_mov_b32_e32 v21, 0
	s_mov_b64 s[14:15], s[4:5]
.LBB11_1532:                            ;   Parent Loop BB11_1482 Depth=1
                                        ; =>  This Inner Loop Header: Depth=2
	global_load_ubyte v2, v26, s[14:15]
	s_add_i32 s17, s17, -1
	s_waitcnt vmcnt(0)
	v_and_b32_e32 v25, 0xffff, v2
	v_lshlrev_b64 v[2:3], s12, v[25:26]
	s_add_u32 s12, s12, 8
	s_addc_u32 s13, s13, 0
	s_add_u32 s14, s14, 1
	s_addc_u32 s15, s15, 0
	v_or_b32_e32 v20, v2, v20
	s_cmp_lg_u32 s17, 0
	v_or_b32_e32 v21, v3, v21
	s_cbranch_scc1 .LBB11_1532
	s_branch .LBB11_1535
.LBB11_1533:                            ;   in Loop: Header=BB11_1482 Depth=1
	s_branch .LBB11_1536
.LBB11_1534:                            ;   in Loop: Header=BB11_1482 Depth=1
	v_mov_b32_e32 v20, 0
	v_mov_b32_e32 v21, 0
.LBB11_1535:                            ;   in Loop: Header=BB11_1482 Depth=1
	s_cbranch_execnz .LBB11_1537
.LBB11_1536:                            ;   in Loop: Header=BB11_1482 Depth=1
	global_load_dwordx2 v[20:21], v26, s[4:5]
.LBB11_1537:                            ;   in Loop: Header=BB11_1482 Depth=1
	v_readfirstlane_b32 s4, v42
	v_mov_b32_e32 v2, 0
	v_mov_b32_e32 v3, 0
	v_cmp_eq_u32_e64 s[4:5], s4, v42
	s_and_saveexec_b64 s[12:13], s[4:5]
	s_cbranch_execz .LBB11_1543
; %bb.1538:                             ;   in Loop: Header=BB11_1482 Depth=1
	global_load_dwordx2 v[24:25], v26, s[44:45] offset:24 glc
	s_waitcnt vmcnt(0)
	buffer_wbinvl1_vol
	global_load_dwordx2 v[2:3], v26, s[44:45] offset:40
	global_load_dwordx2 v[22:23], v26, s[44:45]
	s_waitcnt vmcnt(1)
	v_and_b32_e32 v2, v2, v24
	v_and_b32_e32 v3, v3, v25
	v_mul_lo_u32 v3, v3, 24
	v_mul_hi_u32 v27, v2, 24
	v_mul_lo_u32 v2, v2, 24
	v_add_u32_e32 v3, v27, v3
	s_waitcnt vmcnt(0)
	v_add_co_u32_e32 v2, vcc, v22, v2
	v_addc_co_u32_e32 v3, vcc, v23, v3, vcc
	global_load_dwordx2 v[22:23], v[2:3], off glc
	s_waitcnt vmcnt(0)
	global_atomic_cmpswap_x2 v[2:3], v26, v[22:25], s[44:45] offset:24 glc
	s_waitcnt vmcnt(0)
	buffer_wbinvl1_vol
	v_cmp_ne_u64_e32 vcc, v[2:3], v[24:25]
	s_and_saveexec_b64 s[14:15], vcc
	s_cbranch_execz .LBB11_1542
; %bb.1539:                             ;   in Loop: Header=BB11_1482 Depth=1
	s_mov_b64 s[16:17], 0
.LBB11_1540:                            ;   Parent Loop BB11_1482 Depth=1
                                        ; =>  This Inner Loop Header: Depth=2
	s_sleep 1
	global_load_dwordx2 v[22:23], v26, s[44:45] offset:40
	global_load_dwordx2 v[27:28], v26, s[44:45]
	v_mov_b32_e32 v25, v3
	v_mov_b32_e32 v24, v2
	s_waitcnt vmcnt(1)
	v_and_b32_e32 v2, v22, v24
	s_waitcnt vmcnt(0)
	v_mad_u64_u32 v[2:3], s[18:19], v2, 24, v[27:28]
	v_and_b32_e32 v22, v23, v25
	v_mad_u64_u32 v[22:23], s[18:19], v22, 24, v[3:4]
	v_mov_b32_e32 v3, v22
	global_load_dwordx2 v[22:23], v[2:3], off glc
	s_waitcnt vmcnt(0)
	global_atomic_cmpswap_x2 v[2:3], v26, v[22:25], s[44:45] offset:24 glc
	s_waitcnt vmcnt(0)
	buffer_wbinvl1_vol
	v_cmp_eq_u64_e32 vcc, v[2:3], v[24:25]
	s_or_b64 s[16:17], vcc, s[16:17]
	s_andn2_b64 exec, exec, s[16:17]
	s_cbranch_execnz .LBB11_1540
; %bb.1541:                             ;   in Loop: Header=BB11_1482 Depth=1
	s_or_b64 exec, exec, s[16:17]
.LBB11_1542:                            ;   in Loop: Header=BB11_1482 Depth=1
	s_or_b64 exec, exec, s[14:15]
.LBB11_1543:                            ;   in Loop: Header=BB11_1482 Depth=1
	s_or_b64 exec, exec, s[12:13]
	global_load_dwordx2 v[27:28], v26, s[44:45] offset:40
	global_load_dwordx4 v[22:25], v26, s[44:45]
	v_readfirstlane_b32 s12, v2
	v_readfirstlane_b32 s13, v3
	s_mov_b64 s[14:15], exec
	s_waitcnt vmcnt(1)
	v_readfirstlane_b32 s16, v27
	v_readfirstlane_b32 s17, v28
	s_and_b64 s[16:17], s[12:13], s[16:17]
	s_mul_i32 s18, s17, 24
	s_mul_hi_u32 s19, s16, 24
	s_mul_i32 s20, s16, 24
	s_add_i32 s18, s19, s18
	v_mov_b32_e32 v2, s18
	s_waitcnt vmcnt(0)
	v_add_co_u32_e32 v27, vcc, s20, v22
	v_addc_co_u32_e32 v28, vcc, v23, v2, vcc
	s_and_saveexec_b64 s[18:19], s[4:5]
	s_cbranch_execz .LBB11_1545
; %bb.1544:                             ;   in Loop: Header=BB11_1482 Depth=1
	v_mov_b32_e32 v2, s14
	v_mov_b32_e32 v3, s15
	global_store_dwordx4 v[27:28], v[2:5], off offset:8
.LBB11_1545:                            ;   in Loop: Header=BB11_1482 Depth=1
	s_or_b64 exec, exec, s[18:19]
	s_lshl_b64 s[14:15], s[16:17], 12
	v_mov_b32_e32 v2, s15
	v_add_co_u32_e32 v24, vcc, s14, v24
	v_addc_co_u32_e32 v29, vcc, v25, v2, vcc
	v_cmp_gt_u64_e64 vcc, s[8:9], 56
	v_or_b32_e32 v2, 2, v6
	s_lshl_b32 s14, s10, 2
	v_cndmask_b32_e32 v2, v2, v6, vcc
	s_add_i32 s14, s14, 28
	s_and_b32 s14, s14, 0x1e0
	v_and_b32_e32 v2, 0xffffff1f, v2
	v_or_b32_e32 v6, s14, v2
	v_readfirstlane_b32 s14, v24
	v_readfirstlane_b32 s15, v29
	s_nop 4
	global_store_dwordx4 v41, v[6:9], s[14:15]
	global_store_dwordx4 v41, v[10:13], s[14:15] offset:16
	global_store_dwordx4 v41, v[14:17], s[14:15] offset:32
	;; [unrolled: 1-line block ×3, first 2 shown]
	s_and_saveexec_b64 s[14:15], s[4:5]
	s_cbranch_execz .LBB11_1553
; %bb.1546:                             ;   in Loop: Header=BB11_1482 Depth=1
	global_load_dwordx2 v[10:11], v26, s[44:45] offset:32 glc
	global_load_dwordx2 v[2:3], v26, s[44:45] offset:40
	v_mov_b32_e32 v8, s12
	v_mov_b32_e32 v9, s13
	s_waitcnt vmcnt(0)
	v_readfirstlane_b32 s16, v2
	v_readfirstlane_b32 s17, v3
	s_and_b64 s[16:17], s[16:17], s[12:13]
	s_mul_i32 s17, s17, 24
	s_mul_hi_u32 s18, s16, 24
	s_mul_i32 s16, s16, 24
	s_add_i32 s17, s18, s17
	v_mov_b32_e32 v3, s17
	v_add_co_u32_e32 v2, vcc, s16, v22
	v_addc_co_u32_e32 v3, vcc, v23, v3, vcc
	global_store_dwordx2 v[2:3], v[10:11], off
	s_waitcnt vmcnt(0)
	global_atomic_cmpswap_x2 v[8:9], v26, v[8:11], s[44:45] offset:32 glc
	s_waitcnt vmcnt(0)
	v_cmp_ne_u64_e32 vcc, v[8:9], v[10:11]
	s_and_saveexec_b64 s[16:17], vcc
	s_cbranch_execz .LBB11_1549
; %bb.1547:                             ;   in Loop: Header=BB11_1482 Depth=1
	s_mov_b64 s[18:19], 0
.LBB11_1548:                            ;   Parent Loop BB11_1482 Depth=1
                                        ; =>  This Inner Loop Header: Depth=2
	s_sleep 1
	global_store_dwordx2 v[2:3], v[8:9], off
	v_mov_b32_e32 v6, s12
	v_mov_b32_e32 v7, s13
	s_waitcnt vmcnt(0)
	global_atomic_cmpswap_x2 v[6:7], v26, v[6:9], s[44:45] offset:32 glc
	s_waitcnt vmcnt(0)
	v_cmp_eq_u64_e32 vcc, v[6:7], v[8:9]
	v_mov_b32_e32 v9, v7
	s_or_b64 s[18:19], vcc, s[18:19]
	v_mov_b32_e32 v8, v6
	s_andn2_b64 exec, exec, s[18:19]
	s_cbranch_execnz .LBB11_1548
.LBB11_1549:                            ;   in Loop: Header=BB11_1482 Depth=1
	s_or_b64 exec, exec, s[16:17]
	global_load_dwordx2 v[2:3], v26, s[44:45] offset:16
	s_mov_b64 s[18:19], exec
	v_mbcnt_lo_u32_b32 v6, s18, 0
	v_mbcnt_hi_u32_b32 v6, s19, v6
	v_cmp_eq_u32_e32 vcc, 0, v6
	s_and_saveexec_b64 s[16:17], vcc
	s_cbranch_execz .LBB11_1551
; %bb.1550:                             ;   in Loop: Header=BB11_1482 Depth=1
	s_bcnt1_i32_b64 s18, s[18:19]
	v_mov_b32_e32 v25, s18
	s_waitcnt vmcnt(0)
	global_atomic_add_x2 v[2:3], v[25:26], off offset:8
.LBB11_1551:                            ;   in Loop: Header=BB11_1482 Depth=1
	s_or_b64 exec, exec, s[16:17]
	s_waitcnt vmcnt(0)
	global_load_dwordx2 v[6:7], v[2:3], off offset:16
	s_waitcnt vmcnt(0)
	v_cmp_eq_u64_e32 vcc, 0, v[6:7]
	s_cbranch_vccnz .LBB11_1553
; %bb.1552:                             ;   in Loop: Header=BB11_1482 Depth=1
	global_load_dword v25, v[2:3], off offset:24
	s_waitcnt vmcnt(0)
	v_and_b32_e32 v2, 0xffffff, v25
	v_readfirstlane_b32 m0, v2
	global_store_dwordx2 v[6:7], v[25:26], off
	s_sendmsg sendmsg(MSG_INTERRUPT)
.LBB11_1553:                            ;   in Loop: Header=BB11_1482 Depth=1
	s_or_b64 exec, exec, s[14:15]
	v_add_co_u32_e32 v2, vcc, v24, v41
	v_addc_co_u32_e32 v3, vcc, 0, v29, vcc
	s_branch .LBB11_1557
.LBB11_1554:                            ;   in Loop: Header=BB11_1557 Depth=2
	s_or_b64 exec, exec, s[14:15]
	v_readfirstlane_b32 s14, v6
	s_cmp_eq_u32 s14, 0
	s_cbranch_scc1 .LBB11_1556
; %bb.1555:                             ;   in Loop: Header=BB11_1557 Depth=2
	s_sleep 1
	s_cbranch_execnz .LBB11_1557
	s_branch .LBB11_1559
.LBB11_1556:                            ;   in Loop: Header=BB11_1482 Depth=1
	s_branch .LBB11_1559
.LBB11_1557:                            ;   Parent Loop BB11_1482 Depth=1
                                        ; =>  This Inner Loop Header: Depth=2
	v_mov_b32_e32 v6, 1
	s_and_saveexec_b64 s[14:15], s[4:5]
	s_cbranch_execz .LBB11_1554
; %bb.1558:                             ;   in Loop: Header=BB11_1557 Depth=2
	global_load_dword v6, v[27:28], off offset:20 glc
	s_waitcnt vmcnt(0)
	buffer_wbinvl1_vol
	v_and_b32_e32 v6, 1, v6
	s_branch .LBB11_1554
.LBB11_1559:                            ;   in Loop: Header=BB11_1482 Depth=1
	global_load_dwordx4 v[6:9], v[2:3], off
	s_and_saveexec_b64 s[14:15], s[4:5]
	s_cbranch_execz .LBB11_1481
; %bb.1560:                             ;   in Loop: Header=BB11_1482 Depth=1
	global_load_dwordx2 v[2:3], v26, s[44:45] offset:40
	global_load_dwordx2 v[12:13], v26, s[44:45] offset:24 glc
	global_load_dwordx2 v[14:15], v26, s[44:45]
	s_waitcnt vmcnt(3)
	v_mov_b32_e32 v9, s13
	s_waitcnt vmcnt(2)
	v_add_co_u32_e32 v10, vcc, 1, v2
	v_addc_co_u32_e32 v11, vcc, 0, v3, vcc
	v_add_co_u32_e32 v8, vcc, s12, v10
	v_addc_co_u32_e32 v9, vcc, v11, v9, vcc
	v_cmp_eq_u64_e32 vcc, 0, v[8:9]
	v_cndmask_b32_e32 v9, v9, v11, vcc
	v_cndmask_b32_e32 v8, v8, v10, vcc
	v_and_b32_e32 v3, v9, v3
	v_and_b32_e32 v2, v8, v2
	v_mul_lo_u32 v3, v3, 24
	v_mul_hi_u32 v11, v2, 24
	v_mul_lo_u32 v2, v2, 24
	s_waitcnt vmcnt(1)
	v_mov_b32_e32 v10, v12
	v_add_u32_e32 v3, v11, v3
	s_waitcnt vmcnt(0)
	v_add_co_u32_e32 v2, vcc, v14, v2
	v_addc_co_u32_e32 v3, vcc, v15, v3, vcc
	global_store_dwordx2 v[2:3], v[12:13], off
	v_mov_b32_e32 v11, v13
	s_waitcnt vmcnt(0)
	global_atomic_cmpswap_x2 v[10:11], v26, v[8:11], s[44:45] offset:24 glc
	s_waitcnt vmcnt(0)
	v_cmp_ne_u64_e32 vcc, v[10:11], v[12:13]
	s_and_b64 exec, exec, vcc
	s_cbranch_execz .LBB11_1481
; %bb.1561:                             ;   in Loop: Header=BB11_1482 Depth=1
	s_mov_b64 s[4:5], 0
.LBB11_1562:                            ;   Parent Loop BB11_1482 Depth=1
                                        ; =>  This Inner Loop Header: Depth=2
	s_sleep 1
	global_store_dwordx2 v[2:3], v[10:11], off
	s_waitcnt vmcnt(0)
	global_atomic_cmpswap_x2 v[12:13], v26, v[8:11], s[44:45] offset:24 glc
	s_waitcnt vmcnt(0)
	v_cmp_eq_u64_e32 vcc, v[12:13], v[10:11]
	v_mov_b32_e32 v10, v12
	s_or_b64 s[4:5], vcc, s[4:5]
	v_mov_b32_e32 v11, v13
	s_andn2_b64 exec, exec, s[4:5]
	s_cbranch_execnz .LBB11_1562
	s_branch .LBB11_1481
.LBB11_1563:
	s_mov_b64 s[4:5], 0
	s_branch .LBB11_1565
.LBB11_1564:
	s_mov_b64 s[4:5], -1
.LBB11_1565:
	s_and_b64 vcc, exec, s[4:5]
	s_cbranch_vccz .LBB11_1592
; %bb.1566:
	v_readfirstlane_b32 s4, v42
	s_waitcnt vmcnt(0)
	v_mov_b32_e32 v8, 0
	v_mov_b32_e32 v9, 0
	v_cmp_eq_u32_e64 s[4:5], s4, v42
	s_and_saveexec_b64 s[6:7], s[4:5]
	s_cbranch_execz .LBB11_1572
; %bb.1567:
	v_mov_b32_e32 v2, 0
	global_load_dwordx2 v[5:6], v2, s[44:45] offset:24 glc
	s_waitcnt vmcnt(0)
	buffer_wbinvl1_vol
	global_load_dwordx2 v[3:4], v2, s[44:45] offset:40
	global_load_dwordx2 v[7:8], v2, s[44:45]
	s_waitcnt vmcnt(1)
	v_and_b32_e32 v3, v3, v5
	v_and_b32_e32 v4, v4, v6
	v_mul_lo_u32 v4, v4, 24
	v_mul_hi_u32 v9, v3, 24
	v_mul_lo_u32 v3, v3, 24
	v_add_u32_e32 v4, v9, v4
	s_waitcnt vmcnt(0)
	v_add_co_u32_e32 v3, vcc, v7, v3
	v_addc_co_u32_e32 v4, vcc, v8, v4, vcc
	global_load_dwordx2 v[3:4], v[3:4], off glc
	s_waitcnt vmcnt(0)
	global_atomic_cmpswap_x2 v[8:9], v2, v[3:6], s[44:45] offset:24 glc
	s_waitcnt vmcnt(0)
	buffer_wbinvl1_vol
	v_cmp_ne_u64_e32 vcc, v[8:9], v[5:6]
	s_and_saveexec_b64 s[8:9], vcc
	s_cbranch_execz .LBB11_1571
; %bb.1568:
	s_mov_b64 s[10:11], 0
.LBB11_1569:                            ; =>This Inner Loop Header: Depth=1
	s_sleep 1
	global_load_dwordx2 v[3:4], v2, s[44:45] offset:40
	global_load_dwordx2 v[10:11], v2, s[44:45]
	v_mov_b32_e32 v5, v8
	v_mov_b32_e32 v6, v9
	s_waitcnt vmcnt(1)
	v_and_b32_e32 v3, v3, v5
	s_waitcnt vmcnt(0)
	v_mad_u64_u32 v[7:8], s[12:13], v3, 24, v[10:11]
	v_and_b32_e32 v4, v4, v6
	v_mov_b32_e32 v3, v8
	v_mad_u64_u32 v[3:4], s[12:13], v4, 24, v[3:4]
	v_mov_b32_e32 v8, v3
	global_load_dwordx2 v[3:4], v[7:8], off glc
	s_waitcnt vmcnt(0)
	global_atomic_cmpswap_x2 v[8:9], v2, v[3:6], s[44:45] offset:24 glc
	s_waitcnt vmcnt(0)
	buffer_wbinvl1_vol
	v_cmp_eq_u64_e32 vcc, v[8:9], v[5:6]
	s_or_b64 s[10:11], vcc, s[10:11]
	s_andn2_b64 exec, exec, s[10:11]
	s_cbranch_execnz .LBB11_1569
; %bb.1570:
	s_or_b64 exec, exec, s[10:11]
.LBB11_1571:
	s_or_b64 exec, exec, s[8:9]
.LBB11_1572:
	s_or_b64 exec, exec, s[6:7]
	v_mov_b32_e32 v2, 0
	global_load_dwordx2 v[10:11], v2, s[44:45] offset:40
	global_load_dwordx4 v[4:7], v2, s[44:45]
	v_readfirstlane_b32 s6, v8
	v_readfirstlane_b32 s7, v9
	s_mov_b64 s[8:9], exec
	s_waitcnt vmcnt(1)
	v_readfirstlane_b32 s10, v10
	v_readfirstlane_b32 s11, v11
	s_and_b64 s[10:11], s[6:7], s[10:11]
	s_mul_i32 s12, s11, 24
	s_mul_hi_u32 s13, s10, 24
	s_mul_i32 s14, s10, 24
	s_add_i32 s12, s13, s12
	v_mov_b32_e32 v3, s12
	s_waitcnt vmcnt(0)
	v_add_co_u32_e32 v8, vcc, s14, v4
	v_addc_co_u32_e32 v9, vcc, v5, v3, vcc
	s_and_saveexec_b64 s[12:13], s[4:5]
	s_cbranch_execz .LBB11_1574
; %bb.1573:
	v_mov_b32_e32 v11, s9
	v_mov_b32_e32 v10, s8
	;; [unrolled: 1-line block ×4, first 2 shown]
	global_store_dwordx4 v[8:9], v[10:13], off offset:8
.LBB11_1574:
	s_or_b64 exec, exec, s[12:13]
	s_lshl_b64 s[8:9], s[10:11], 12
	v_mov_b32_e32 v3, s9
	v_add_co_u32_e32 v6, vcc, s8, v6
	v_addc_co_u32_e32 v7, vcc, v7, v3, vcc
	s_movk_i32 s8, 0xff1d
	v_and_or_b32 v0, v0, s8, 34
	s_mov_b32 s8, 0
	v_mov_b32_e32 v3, v2
	v_readfirstlane_b32 s12, v6
	v_readfirstlane_b32 s13, v7
	s_mov_b32 s9, s8
	s_mov_b32 s10, s8
	;; [unrolled: 1-line block ×3, first 2 shown]
	s_nop 1
	global_store_dwordx4 v41, v[0:3], s[12:13]
	s_nop 0
	v_mov_b32_e32 v0, s8
	v_mov_b32_e32 v1, s9
	;; [unrolled: 1-line block ×4, first 2 shown]
	global_store_dwordx4 v41, v[0:3], s[12:13] offset:16
	global_store_dwordx4 v41, v[0:3], s[12:13] offset:32
	;; [unrolled: 1-line block ×3, first 2 shown]
	s_and_saveexec_b64 s[8:9], s[4:5]
	s_cbranch_execz .LBB11_1582
; %bb.1575:
	v_mov_b32_e32 v6, 0
	global_load_dwordx2 v[12:13], v6, s[44:45] offset:32 glc
	global_load_dwordx2 v[0:1], v6, s[44:45] offset:40
	v_mov_b32_e32 v10, s6
	v_mov_b32_e32 v11, s7
	s_waitcnt vmcnt(0)
	v_readfirstlane_b32 s10, v0
	v_readfirstlane_b32 s11, v1
	s_and_b64 s[10:11], s[10:11], s[6:7]
	s_mul_i32 s11, s11, 24
	s_mul_hi_u32 s12, s10, 24
	s_mul_i32 s10, s10, 24
	s_add_i32 s11, s12, s11
	v_mov_b32_e32 v0, s11
	v_add_co_u32_e32 v4, vcc, s10, v4
	v_addc_co_u32_e32 v5, vcc, v5, v0, vcc
	global_store_dwordx2 v[4:5], v[12:13], off
	s_waitcnt vmcnt(0)
	global_atomic_cmpswap_x2 v[2:3], v6, v[10:13], s[44:45] offset:32 glc
	s_waitcnt vmcnt(0)
	v_cmp_ne_u64_e32 vcc, v[2:3], v[12:13]
	s_and_saveexec_b64 s[10:11], vcc
	s_cbranch_execz .LBB11_1578
; %bb.1576:
	s_mov_b64 s[12:13], 0
.LBB11_1577:                            ; =>This Inner Loop Header: Depth=1
	s_sleep 1
	global_store_dwordx2 v[4:5], v[2:3], off
	v_mov_b32_e32 v0, s6
	v_mov_b32_e32 v1, s7
	s_waitcnt vmcnt(0)
	global_atomic_cmpswap_x2 v[0:1], v6, v[0:3], s[44:45] offset:32 glc
	s_waitcnt vmcnt(0)
	v_cmp_eq_u64_e32 vcc, v[0:1], v[2:3]
	v_mov_b32_e32 v3, v1
	s_or_b64 s[12:13], vcc, s[12:13]
	v_mov_b32_e32 v2, v0
	s_andn2_b64 exec, exec, s[12:13]
	s_cbranch_execnz .LBB11_1577
.LBB11_1578:
	s_or_b64 exec, exec, s[10:11]
	v_mov_b32_e32 v3, 0
	global_load_dwordx2 v[0:1], v3, s[44:45] offset:16
	s_mov_b64 s[10:11], exec
	v_mbcnt_lo_u32_b32 v2, s10, 0
	v_mbcnt_hi_u32_b32 v2, s11, v2
	v_cmp_eq_u32_e32 vcc, 0, v2
	s_and_saveexec_b64 s[12:13], vcc
	s_cbranch_execz .LBB11_1580
; %bb.1579:
	s_bcnt1_i32_b64 s10, s[10:11]
	v_mov_b32_e32 v2, s10
	s_waitcnt vmcnt(0)
	global_atomic_add_x2 v[0:1], v[2:3], off offset:8
.LBB11_1580:
	s_or_b64 exec, exec, s[12:13]
	s_waitcnt vmcnt(0)
	global_load_dwordx2 v[2:3], v[0:1], off offset:16
	s_waitcnt vmcnt(0)
	v_cmp_eq_u64_e32 vcc, 0, v[2:3]
	s_cbranch_vccnz .LBB11_1582
; %bb.1581:
	global_load_dword v0, v[0:1], off offset:24
	v_mov_b32_e32 v1, 0
	s_waitcnt vmcnt(0)
	global_store_dwordx2 v[2:3], v[0:1], off
	v_and_b32_e32 v0, 0xffffff, v0
	v_readfirstlane_b32 m0, v0
	s_sendmsg sendmsg(MSG_INTERRUPT)
.LBB11_1582:
	s_or_b64 exec, exec, s[8:9]
	s_branch .LBB11_1586
.LBB11_1583:                            ;   in Loop: Header=BB11_1586 Depth=1
	s_or_b64 exec, exec, s[8:9]
	v_readfirstlane_b32 s8, v0
	s_cmp_eq_u32 s8, 0
	s_cbranch_scc1 .LBB11_1585
; %bb.1584:                             ;   in Loop: Header=BB11_1586 Depth=1
	s_sleep 1
	s_cbranch_execnz .LBB11_1586
	s_branch .LBB11_1588
.LBB11_1585:
	s_branch .LBB11_1588
.LBB11_1586:                            ; =>This Inner Loop Header: Depth=1
	v_mov_b32_e32 v0, 1
	s_and_saveexec_b64 s[8:9], s[4:5]
	s_cbranch_execz .LBB11_1583
; %bb.1587:                             ;   in Loop: Header=BB11_1586 Depth=1
	global_load_dword v0, v[8:9], off offset:20 glc
	s_waitcnt vmcnt(0)
	buffer_wbinvl1_vol
	v_and_b32_e32 v0, 1, v0
	s_branch .LBB11_1583
.LBB11_1588:
	s_and_saveexec_b64 s[8:9], s[4:5]
	s_cbranch_execz .LBB11_1591
; %bb.1589:
	v_mov_b32_e32 v6, 0
	global_load_dwordx2 v[2:3], v6, s[44:45] offset:40
	global_load_dwordx2 v[7:8], v6, s[44:45] offset:24 glc
	global_load_dwordx2 v[4:5], v6, s[44:45]
	v_mov_b32_e32 v1, s7
	s_mov_b64 s[4:5], 0
	s_waitcnt vmcnt(2)
	v_add_co_u32_e32 v9, vcc, 1, v2
	v_addc_co_u32_e32 v10, vcc, 0, v3, vcc
	v_add_co_u32_e32 v0, vcc, s6, v9
	v_addc_co_u32_e32 v1, vcc, v10, v1, vcc
	v_cmp_eq_u64_e32 vcc, 0, v[0:1]
	v_cndmask_b32_e32 v1, v1, v10, vcc
	v_cndmask_b32_e32 v0, v0, v9, vcc
	v_and_b32_e32 v3, v1, v3
	v_and_b32_e32 v2, v0, v2
	v_mul_lo_u32 v3, v3, 24
	v_mul_hi_u32 v9, v2, 24
	v_mul_lo_u32 v10, v2, 24
	s_waitcnt vmcnt(1)
	v_mov_b32_e32 v2, v7
	v_add_u32_e32 v3, v9, v3
	s_waitcnt vmcnt(0)
	v_add_co_u32_e32 v4, vcc, v4, v10
	v_addc_co_u32_e32 v5, vcc, v5, v3, vcc
	global_store_dwordx2 v[4:5], v[7:8], off
	v_mov_b32_e32 v3, v8
	s_waitcnt vmcnt(0)
	global_atomic_cmpswap_x2 v[2:3], v6, v[0:3], s[44:45] offset:24 glc
	s_waitcnt vmcnt(0)
	v_cmp_ne_u64_e32 vcc, v[2:3], v[7:8]
	s_and_b64 exec, exec, vcc
	s_cbranch_execz .LBB11_1591
.LBB11_1590:                            ; =>This Inner Loop Header: Depth=1
	s_sleep 1
	global_store_dwordx2 v[4:5], v[2:3], off
	s_waitcnt vmcnt(0)
	global_atomic_cmpswap_x2 v[7:8], v6, v[0:3], s[44:45] offset:24 glc
	s_waitcnt vmcnt(0)
	v_cmp_eq_u64_e32 vcc, v[7:8], v[2:3]
	v_mov_b32_e32 v2, v7
	s_or_b64 s[4:5], vcc, s[4:5]
	v_mov_b32_e32 v3, v8
	s_andn2_b64 exec, exec, s[4:5]
	s_cbranch_execnz .LBB11_1590
.LBB11_1591:
	s_or_b64 exec, exec, s[8:9]
.LBB11_1592:
	s_add_u32 s38, s54, 16
	s_addc_u32 s39, s55, 0
	s_getpc_b64 s[4:5]
	s_add_u32 s4, s4, .str.3@rel32@lo+4
	s_addc_u32 s5, s5, .str.3@rel32@hi+12
	s_mov_b64 s[8:9], s[38:39]
	s_waitcnt vmcnt(0)
	v_mov_b32_e32 v0, s4
	v_mov_b32_e32 v1, s5
	s_mov_b64 s[24:25], src_private_base
	s_getpc_b64 s[48:49]
	s_add_u32 s48, s48, _ZNK8migraphx13basic_printerIZNS_4coutEvEUlT_E_ElsEPKc@rel32@lo+4
	s_addc_u32 s49, s49, _ZNK8migraphx13basic_printerIZNS_4coutEvEUlT_E_ElsEPKc@rel32@hi+12
	s_swappc_b64 s[30:31], s[48:49]
	s_getpc_b64 s[4:5]
	s_add_u32 s4, s4, .str.5@rel32@lo+4
	s_addc_u32 s5, s5, .str.5@rel32@hi+12
	s_mov_b64 s[8:9], s[38:39]
	v_mov_b32_e32 v0, s4
	v_mov_b32_e32 v1, s5
	s_swappc_b64 s[30:31], s[48:49]
	s_mov_b64 s[8:9], s[38:39]
	v_mov_b32_e32 v0, 8
	v_mov_b32_e32 v1, s25
	s_getpc_b64 s[4:5]
	s_add_u32 s4, s4, _ZN8migraphx4testlsIKNS_13basic_printerIZNS_4coutEvEUlT_E_EEEERS3_S7_RKNS0_10expressionINS0_14lhs_expressionIRcNS0_3nopEEEcNS0_5equalEEE@rel32@lo+4
	s_addc_u32 s5, s5, _ZN8migraphx4testlsIKNS_13basic_printerIZNS_4coutEvEUlT_E_EEEERS3_S7_RKNS0_10expressionINS0_14lhs_expressionIRcNS0_3nopEEEcNS0_5equalEEE@rel32@hi+12
	s_swappc_b64 s[30:31], s[4:5]
	s_getpc_b64 s[4:5]
	s_add_u32 s4, s4, .str.6@rel32@lo+4
	s_addc_u32 s5, s5, .str.6@rel32@hi+12
	s_mov_b64 s[8:9], s[38:39]
	v_mov_b32_e32 v0, s4
	v_mov_b32_e32 v1, s5
	s_swappc_b64 s[30:31], s[48:49]
	v_readfirstlane_b32 s4, v42
	v_mov_b32_e32 v5, 0
	v_mov_b32_e32 v6, 0
	v_cmp_eq_u32_e64 s[4:5], s4, v42
	s_and_saveexec_b64 s[6:7], s[4:5]
	s_cbranch_execz .LBB11_1598
; %bb.1593:
	v_mov_b32_e32 v0, 0
	global_load_dwordx2 v[3:4], v0, s[44:45] offset:24 glc
	s_waitcnt vmcnt(0)
	buffer_wbinvl1_vol
	global_load_dwordx2 v[1:2], v0, s[44:45] offset:40
	global_load_dwordx2 v[5:6], v0, s[44:45]
	s_waitcnt vmcnt(1)
	v_and_b32_e32 v1, v1, v3
	v_and_b32_e32 v2, v2, v4
	v_mul_lo_u32 v2, v2, 24
	v_mul_hi_u32 v7, v1, 24
	v_mul_lo_u32 v1, v1, 24
	v_add_u32_e32 v2, v7, v2
	s_waitcnt vmcnt(0)
	v_add_co_u32_e32 v1, vcc, v5, v1
	v_addc_co_u32_e32 v2, vcc, v6, v2, vcc
	global_load_dwordx2 v[1:2], v[1:2], off glc
	s_waitcnt vmcnt(0)
	global_atomic_cmpswap_x2 v[5:6], v0, v[1:4], s[44:45] offset:24 glc
	s_waitcnt vmcnt(0)
	buffer_wbinvl1_vol
	v_cmp_ne_u64_e32 vcc, v[5:6], v[3:4]
	s_and_saveexec_b64 s[8:9], vcc
	s_cbranch_execz .LBB11_1597
; %bb.1594:
	s_mov_b64 s[10:11], 0
.LBB11_1595:                            ; =>This Inner Loop Header: Depth=1
	s_sleep 1
	global_load_dwordx2 v[1:2], v0, s[44:45] offset:40
	global_load_dwordx2 v[7:8], v0, s[44:45]
	v_mov_b32_e32 v3, v5
	v_mov_b32_e32 v4, v6
	s_waitcnt vmcnt(1)
	v_and_b32_e32 v1, v1, v3
	s_waitcnt vmcnt(0)
	v_mad_u64_u32 v[5:6], s[12:13], v1, 24, v[7:8]
	v_and_b32_e32 v2, v2, v4
	v_mov_b32_e32 v1, v6
	v_mad_u64_u32 v[1:2], s[12:13], v2, 24, v[1:2]
	v_mov_b32_e32 v6, v1
	global_load_dwordx2 v[1:2], v[5:6], off glc
	s_waitcnt vmcnt(0)
	global_atomic_cmpswap_x2 v[5:6], v0, v[1:4], s[44:45] offset:24 glc
	s_waitcnt vmcnt(0)
	buffer_wbinvl1_vol
	v_cmp_eq_u64_e32 vcc, v[5:6], v[3:4]
	s_or_b64 s[10:11], vcc, s[10:11]
	s_andn2_b64 exec, exec, s[10:11]
	s_cbranch_execnz .LBB11_1595
; %bb.1596:
	s_or_b64 exec, exec, s[10:11]
.LBB11_1597:
	s_or_b64 exec, exec, s[8:9]
.LBB11_1598:
	s_or_b64 exec, exec, s[6:7]
	v_mov_b32_e32 v4, 0
	global_load_dwordx2 v[7:8], v4, s[44:45] offset:40
	global_load_dwordx4 v[0:3], v4, s[44:45]
	v_readfirstlane_b32 s6, v5
	v_readfirstlane_b32 s7, v6
	s_mov_b64 s[8:9], exec
	s_waitcnt vmcnt(1)
	v_readfirstlane_b32 s10, v7
	v_readfirstlane_b32 s11, v8
	s_and_b64 s[10:11], s[6:7], s[10:11]
	s_mul_i32 s12, s11, 24
	s_mul_hi_u32 s13, s10, 24
	s_mul_i32 s14, s10, 24
	s_add_i32 s12, s13, s12
	v_mov_b32_e32 v5, s12
	s_waitcnt vmcnt(0)
	v_add_co_u32_e32 v7, vcc, s14, v0
	v_addc_co_u32_e32 v8, vcc, v1, v5, vcc
	s_and_saveexec_b64 s[12:13], s[4:5]
	s_cbranch_execz .LBB11_1600
; %bb.1599:
	v_mov_b32_e32 v10, s9
	v_mov_b32_e32 v9, s8
	;; [unrolled: 1-line block ×4, first 2 shown]
	global_store_dwordx4 v[7:8], v[9:12], off offset:8
.LBB11_1600:
	s_or_b64 exec, exec, s[12:13]
	s_lshl_b64 s[8:9], s[10:11], 12
	v_mov_b32_e32 v5, s9
	v_add_co_u32_e32 v2, vcc, s8, v2
	v_addc_co_u32_e32 v11, vcc, v3, v5, vcc
	s_mov_b32 s8, 0
	v_mov_b32_e32 v3, 33
	v_mov_b32_e32 v5, v4
	;; [unrolled: 1-line block ×3, first 2 shown]
	v_readfirstlane_b32 s12, v2
	v_readfirstlane_b32 s13, v11
	v_add_co_u32_e32 v9, vcc, v2, v41
	s_mov_b32 s9, s8
	s_mov_b32 s10, s8
	;; [unrolled: 1-line block ×3, first 2 shown]
	s_nop 0
	global_store_dwordx4 v41, v[3:6], s[12:13]
	v_mov_b32_e32 v2, s8
	v_addc_co_u32_e32 v10, vcc, 0, v11, vcc
	v_mov_b32_e32 v3, s9
	v_mov_b32_e32 v4, s10
	;; [unrolled: 1-line block ×3, first 2 shown]
	global_store_dwordx4 v41, v[2:5], s[12:13] offset:16
	global_store_dwordx4 v41, v[2:5], s[12:13] offset:32
	;; [unrolled: 1-line block ×3, first 2 shown]
	s_and_saveexec_b64 s[8:9], s[4:5]
	s_cbranch_execz .LBB11_1608
; %bb.1601:
	v_mov_b32_e32 v6, 0
	global_load_dwordx2 v[13:14], v6, s[44:45] offset:32 glc
	global_load_dwordx2 v[2:3], v6, s[44:45] offset:40
	v_mov_b32_e32 v11, s6
	v_mov_b32_e32 v12, s7
	s_waitcnt vmcnt(0)
	v_readfirstlane_b32 s10, v2
	v_readfirstlane_b32 s11, v3
	s_and_b64 s[10:11], s[10:11], s[6:7]
	s_mul_i32 s11, s11, 24
	s_mul_hi_u32 s12, s10, 24
	s_mul_i32 s10, s10, 24
	s_add_i32 s11, s12, s11
	v_mov_b32_e32 v2, s11
	v_add_co_u32_e32 v4, vcc, s10, v0
	v_addc_co_u32_e32 v5, vcc, v1, v2, vcc
	global_store_dwordx2 v[4:5], v[13:14], off
	s_waitcnt vmcnt(0)
	global_atomic_cmpswap_x2 v[2:3], v6, v[11:14], s[44:45] offset:32 glc
	s_waitcnt vmcnt(0)
	v_cmp_ne_u64_e32 vcc, v[2:3], v[13:14]
	s_and_saveexec_b64 s[10:11], vcc
	s_cbranch_execz .LBB11_1604
; %bb.1602:
	s_mov_b64 s[12:13], 0
.LBB11_1603:                            ; =>This Inner Loop Header: Depth=1
	s_sleep 1
	global_store_dwordx2 v[4:5], v[2:3], off
	v_mov_b32_e32 v0, s6
	v_mov_b32_e32 v1, s7
	s_waitcnt vmcnt(0)
	global_atomic_cmpswap_x2 v[0:1], v6, v[0:3], s[44:45] offset:32 glc
	s_waitcnt vmcnt(0)
	v_cmp_eq_u64_e32 vcc, v[0:1], v[2:3]
	v_mov_b32_e32 v3, v1
	s_or_b64 s[12:13], vcc, s[12:13]
	v_mov_b32_e32 v2, v0
	s_andn2_b64 exec, exec, s[12:13]
	s_cbranch_execnz .LBB11_1603
.LBB11_1604:
	s_or_b64 exec, exec, s[10:11]
	v_mov_b32_e32 v3, 0
	global_load_dwordx2 v[0:1], v3, s[44:45] offset:16
	s_mov_b64 s[10:11], exec
	v_mbcnt_lo_u32_b32 v2, s10, 0
	v_mbcnt_hi_u32_b32 v2, s11, v2
	v_cmp_eq_u32_e32 vcc, 0, v2
	s_and_saveexec_b64 s[12:13], vcc
	s_cbranch_execz .LBB11_1606
; %bb.1605:
	s_bcnt1_i32_b64 s10, s[10:11]
	v_mov_b32_e32 v2, s10
	s_waitcnt vmcnt(0)
	global_atomic_add_x2 v[0:1], v[2:3], off offset:8
.LBB11_1606:
	s_or_b64 exec, exec, s[12:13]
	s_waitcnt vmcnt(0)
	global_load_dwordx2 v[2:3], v[0:1], off offset:16
	s_waitcnt vmcnt(0)
	v_cmp_eq_u64_e32 vcc, 0, v[2:3]
	s_cbranch_vccnz .LBB11_1608
; %bb.1607:
	global_load_dword v0, v[0:1], off offset:24
	v_mov_b32_e32 v1, 0
	s_waitcnt vmcnt(0)
	global_store_dwordx2 v[2:3], v[0:1], off
	v_and_b32_e32 v0, 0xffffff, v0
	v_readfirstlane_b32 m0, v0
	s_sendmsg sendmsg(MSG_INTERRUPT)
.LBB11_1608:
	s_or_b64 exec, exec, s[8:9]
	s_branch .LBB11_1612
.LBB11_1609:                            ;   in Loop: Header=BB11_1612 Depth=1
	s_or_b64 exec, exec, s[8:9]
	v_readfirstlane_b32 s8, v0
	s_cmp_eq_u32 s8, 0
	s_cbranch_scc1 .LBB11_1611
; %bb.1610:                             ;   in Loop: Header=BB11_1612 Depth=1
	s_sleep 1
	s_cbranch_execnz .LBB11_1612
	s_branch .LBB11_1614
.LBB11_1611:
	s_branch .LBB11_1614
.LBB11_1612:                            ; =>This Inner Loop Header: Depth=1
	v_mov_b32_e32 v0, 1
	s_and_saveexec_b64 s[8:9], s[4:5]
	s_cbranch_execz .LBB11_1609
; %bb.1613:                             ;   in Loop: Header=BB11_1612 Depth=1
	global_load_dword v0, v[7:8], off offset:20 glc
	s_waitcnt vmcnt(0)
	buffer_wbinvl1_vol
	v_and_b32_e32 v0, 1, v0
	s_branch .LBB11_1609
.LBB11_1614:
	global_load_dwordx2 v[0:1], v[9:10], off
	s_and_saveexec_b64 s[8:9], s[4:5]
	s_cbranch_execz .LBB11_1617
; %bb.1615:
	v_mov_b32_e32 v8, 0
	global_load_dwordx2 v[4:5], v8, s[44:45] offset:40
	global_load_dwordx2 v[9:10], v8, s[44:45] offset:24 glc
	global_load_dwordx2 v[6:7], v8, s[44:45]
	v_mov_b32_e32 v3, s7
	s_mov_b64 s[4:5], 0
	s_waitcnt vmcnt(2)
	v_add_co_u32_e32 v11, vcc, 1, v4
	v_addc_co_u32_e32 v12, vcc, 0, v5, vcc
	v_add_co_u32_e32 v2, vcc, s6, v11
	v_addc_co_u32_e32 v3, vcc, v12, v3, vcc
	v_cmp_eq_u64_e32 vcc, 0, v[2:3]
	v_cndmask_b32_e32 v3, v3, v12, vcc
	v_cndmask_b32_e32 v2, v2, v11, vcc
	v_and_b32_e32 v5, v3, v5
	v_and_b32_e32 v4, v2, v4
	v_mul_lo_u32 v5, v5, 24
	v_mul_hi_u32 v11, v4, 24
	v_mul_lo_u32 v12, v4, 24
	s_waitcnt vmcnt(1)
	v_mov_b32_e32 v4, v9
	v_add_u32_e32 v5, v11, v5
	s_waitcnt vmcnt(0)
	v_add_co_u32_e32 v6, vcc, v6, v12
	v_addc_co_u32_e32 v7, vcc, v7, v5, vcc
	global_store_dwordx2 v[6:7], v[9:10], off
	v_mov_b32_e32 v5, v10
	s_waitcnt vmcnt(0)
	global_atomic_cmpswap_x2 v[4:5], v8, v[2:5], s[44:45] offset:24 glc
	s_waitcnt vmcnt(0)
	v_cmp_ne_u64_e32 vcc, v[4:5], v[9:10]
	s_and_b64 exec, exec, vcc
	s_cbranch_execz .LBB11_1617
.LBB11_1616:                            ; =>This Inner Loop Header: Depth=1
	s_sleep 1
	global_store_dwordx2 v[6:7], v[4:5], off
	s_waitcnt vmcnt(0)
	global_atomic_cmpswap_x2 v[9:10], v8, v[2:5], s[44:45] offset:24 glc
	s_waitcnt vmcnt(0)
	v_cmp_eq_u64_e32 vcc, v[9:10], v[4:5]
	v_mov_b32_e32 v4, v9
	s_or_b64 s[4:5], vcc, s[4:5]
	v_mov_b32_e32 v5, v10
	s_andn2_b64 exec, exec, s[4:5]
	s_cbranch_execnz .LBB11_1616
.LBB11_1617:
	s_or_b64 exec, exec, s[8:9]
	s_and_b64 vcc, exec, s[46:47]
	s_cbranch_vccz .LBB11_1702
; %bb.1618:
	s_waitcnt vmcnt(0)
	v_and_b32_e32 v31, 2, v0
	v_mov_b32_e32 v28, 0
	v_and_b32_e32 v2, -3, v0
	v_mov_b32_e32 v3, v1
	s_mov_b64 s[8:9], 3
	v_mov_b32_e32 v6, 2
	v_mov_b32_e32 v7, 1
	s_getpc_b64 s[6:7]
	s_add_u32 s6, s6, .str.8@rel32@lo+4
	s_addc_u32 s7, s7, .str.8@rel32@hi+12
	s_branch .LBB11_1620
.LBB11_1619:                            ;   in Loop: Header=BB11_1620 Depth=1
	s_or_b64 exec, exec, s[14:15]
	s_sub_u32 s8, s8, s10
	s_subb_u32 s9, s9, s11
	s_add_u32 s6, s6, s10
	s_addc_u32 s7, s7, s11
	s_cmp_lg_u64 s[8:9], 0
	s_cbranch_scc0 .LBB11_1701
.LBB11_1620:                            ; =>This Loop Header: Depth=1
                                        ;     Child Loop BB11_1623 Depth 2
                                        ;     Child Loop BB11_1630 Depth 2
	;; [unrolled: 1-line block ×11, first 2 shown]
	v_cmp_lt_u64_e64 s[4:5], s[8:9], 56
	v_cmp_gt_u64_e64 s[12:13], s[8:9], 7
	s_and_b64 s[4:5], s[4:5], exec
	s_cselect_b32 s11, s9, 0
	s_cselect_b32 s10, s8, 56
	s_and_b64 vcc, exec, s[12:13]
	s_cbranch_vccnz .LBB11_1625
; %bb.1621:                             ;   in Loop: Header=BB11_1620 Depth=1
	v_mov_b32_e32 v10, 0
	s_cmp_eq_u64 s[8:9], 0
	v_mov_b32_e32 v11, 0
	s_mov_b64 s[4:5], 0
	s_cbranch_scc1 .LBB11_1624
; %bb.1622:                             ;   in Loop: Header=BB11_1620 Depth=1
	v_mov_b32_e32 v10, 0
	s_lshl_b64 s[12:13], s[10:11], 3
	s_mov_b64 s[14:15], 0
	v_mov_b32_e32 v11, 0
	s_mov_b64 s[16:17], s[6:7]
.LBB11_1623:                            ;   Parent Loop BB11_1620 Depth=1
                                        ; =>  This Inner Loop Header: Depth=2
	global_load_ubyte v4, v28, s[16:17]
	s_waitcnt vmcnt(0)
	v_and_b32_e32 v27, 0xffff, v4
	v_lshlrev_b64 v[4:5], s14, v[27:28]
	s_add_u32 s14, s14, 8
	s_addc_u32 s15, s15, 0
	s_add_u32 s16, s16, 1
	s_addc_u32 s17, s17, 0
	v_or_b32_e32 v10, v4, v10
	s_cmp_lg_u32 s12, s14
	v_or_b32_e32 v11, v5, v11
	s_cbranch_scc1 .LBB11_1623
.LBB11_1624:                            ;   in Loop: Header=BB11_1620 Depth=1
	s_mov_b32 s16, 0
	s_andn2_b64 vcc, exec, s[4:5]
	s_mov_b64 s[4:5], s[6:7]
	s_cbranch_vccz .LBB11_1626
	s_branch .LBB11_1627
.LBB11_1625:                            ;   in Loop: Header=BB11_1620 Depth=1
                                        ; implicit-def: $vgpr10_vgpr11
                                        ; implicit-def: $sgpr16
	s_mov_b64 s[4:5], s[6:7]
.LBB11_1626:                            ;   in Loop: Header=BB11_1620 Depth=1
	global_load_dwordx2 v[10:11], v28, s[6:7]
	s_add_i32 s16, s10, -8
	s_add_u32 s4, s6, 8
	s_addc_u32 s5, s7, 0
.LBB11_1627:                            ;   in Loop: Header=BB11_1620 Depth=1
	s_cmp_gt_u32 s16, 7
	s_cbranch_scc1 .LBB11_1631
; %bb.1628:                             ;   in Loop: Header=BB11_1620 Depth=1
	s_cmp_eq_u32 s16, 0
	s_cbranch_scc1 .LBB11_1632
; %bb.1629:                             ;   in Loop: Header=BB11_1620 Depth=1
	v_mov_b32_e32 v12, 0
	s_mov_b64 s[12:13], 0
	v_mov_b32_e32 v13, 0
	s_mov_b64 s[14:15], 0
.LBB11_1630:                            ;   Parent Loop BB11_1620 Depth=1
                                        ; =>  This Inner Loop Header: Depth=2
	s_add_u32 s18, s4, s14
	s_addc_u32 s19, s5, s15
	global_load_ubyte v4, v28, s[18:19]
	s_add_u32 s14, s14, 1
	s_addc_u32 s15, s15, 0
	s_waitcnt vmcnt(0)
	v_and_b32_e32 v27, 0xffff, v4
	v_lshlrev_b64 v[4:5], s12, v[27:28]
	s_add_u32 s12, s12, 8
	s_addc_u32 s13, s13, 0
	v_or_b32_e32 v12, v4, v12
	s_cmp_lg_u32 s16, s14
	v_or_b32_e32 v13, v5, v13
	s_cbranch_scc1 .LBB11_1630
	s_branch .LBB11_1633
.LBB11_1631:                            ;   in Loop: Header=BB11_1620 Depth=1
                                        ; implicit-def: $vgpr12_vgpr13
                                        ; implicit-def: $sgpr17
	s_branch .LBB11_1634
.LBB11_1632:                            ;   in Loop: Header=BB11_1620 Depth=1
	v_mov_b32_e32 v12, 0
	v_mov_b32_e32 v13, 0
.LBB11_1633:                            ;   in Loop: Header=BB11_1620 Depth=1
	s_mov_b32 s17, 0
	s_cbranch_execnz .LBB11_1635
.LBB11_1634:                            ;   in Loop: Header=BB11_1620 Depth=1
	global_load_dwordx2 v[12:13], v28, s[4:5]
	s_add_i32 s17, s16, -8
	s_add_u32 s4, s4, 8
	s_addc_u32 s5, s5, 0
.LBB11_1635:                            ;   in Loop: Header=BB11_1620 Depth=1
	s_cmp_gt_u32 s17, 7
	s_cbranch_scc1 .LBB11_1639
; %bb.1636:                             ;   in Loop: Header=BB11_1620 Depth=1
	s_cmp_eq_u32 s17, 0
	s_cbranch_scc1 .LBB11_1640
; %bb.1637:                             ;   in Loop: Header=BB11_1620 Depth=1
	v_mov_b32_e32 v14, 0
	s_mov_b64 s[12:13], 0
	v_mov_b32_e32 v15, 0
	s_mov_b64 s[14:15], 0
.LBB11_1638:                            ;   Parent Loop BB11_1620 Depth=1
                                        ; =>  This Inner Loop Header: Depth=2
	s_add_u32 s18, s4, s14
	s_addc_u32 s19, s5, s15
	global_load_ubyte v4, v28, s[18:19]
	s_add_u32 s14, s14, 1
	s_addc_u32 s15, s15, 0
	s_waitcnt vmcnt(0)
	v_and_b32_e32 v27, 0xffff, v4
	v_lshlrev_b64 v[4:5], s12, v[27:28]
	s_add_u32 s12, s12, 8
	s_addc_u32 s13, s13, 0
	v_or_b32_e32 v14, v4, v14
	s_cmp_lg_u32 s17, s14
	v_or_b32_e32 v15, v5, v15
	s_cbranch_scc1 .LBB11_1638
	s_branch .LBB11_1641
.LBB11_1639:                            ;   in Loop: Header=BB11_1620 Depth=1
                                        ; implicit-def: $sgpr16
	s_branch .LBB11_1642
.LBB11_1640:                            ;   in Loop: Header=BB11_1620 Depth=1
	v_mov_b32_e32 v14, 0
	v_mov_b32_e32 v15, 0
.LBB11_1641:                            ;   in Loop: Header=BB11_1620 Depth=1
	s_mov_b32 s16, 0
	s_cbranch_execnz .LBB11_1643
.LBB11_1642:                            ;   in Loop: Header=BB11_1620 Depth=1
	global_load_dwordx2 v[14:15], v28, s[4:5]
	s_add_i32 s16, s17, -8
	s_add_u32 s4, s4, 8
	s_addc_u32 s5, s5, 0
.LBB11_1643:                            ;   in Loop: Header=BB11_1620 Depth=1
	s_cmp_gt_u32 s16, 7
	s_cbranch_scc1 .LBB11_1647
; %bb.1644:                             ;   in Loop: Header=BB11_1620 Depth=1
	s_cmp_eq_u32 s16, 0
	s_cbranch_scc1 .LBB11_1648
; %bb.1645:                             ;   in Loop: Header=BB11_1620 Depth=1
	v_mov_b32_e32 v16, 0
	s_mov_b64 s[12:13], 0
	v_mov_b32_e32 v17, 0
	s_mov_b64 s[14:15], 0
.LBB11_1646:                            ;   Parent Loop BB11_1620 Depth=1
                                        ; =>  This Inner Loop Header: Depth=2
	s_add_u32 s18, s4, s14
	s_addc_u32 s19, s5, s15
	global_load_ubyte v4, v28, s[18:19]
	s_add_u32 s14, s14, 1
	s_addc_u32 s15, s15, 0
	s_waitcnt vmcnt(0)
	v_and_b32_e32 v27, 0xffff, v4
	v_lshlrev_b64 v[4:5], s12, v[27:28]
	s_add_u32 s12, s12, 8
	s_addc_u32 s13, s13, 0
	v_or_b32_e32 v16, v4, v16
	s_cmp_lg_u32 s16, s14
	v_or_b32_e32 v17, v5, v17
	s_cbranch_scc1 .LBB11_1646
	s_branch .LBB11_1649
.LBB11_1647:                            ;   in Loop: Header=BB11_1620 Depth=1
                                        ; implicit-def: $vgpr16_vgpr17
                                        ; implicit-def: $sgpr17
	s_branch .LBB11_1650
.LBB11_1648:                            ;   in Loop: Header=BB11_1620 Depth=1
	v_mov_b32_e32 v16, 0
	v_mov_b32_e32 v17, 0
.LBB11_1649:                            ;   in Loop: Header=BB11_1620 Depth=1
	s_mov_b32 s17, 0
	s_cbranch_execnz .LBB11_1651
.LBB11_1650:                            ;   in Loop: Header=BB11_1620 Depth=1
	global_load_dwordx2 v[16:17], v28, s[4:5]
	s_add_i32 s17, s16, -8
	s_add_u32 s4, s4, 8
	s_addc_u32 s5, s5, 0
.LBB11_1651:                            ;   in Loop: Header=BB11_1620 Depth=1
	s_cmp_gt_u32 s17, 7
	s_cbranch_scc1 .LBB11_1655
; %bb.1652:                             ;   in Loop: Header=BB11_1620 Depth=1
	s_cmp_eq_u32 s17, 0
	s_cbranch_scc1 .LBB11_1656
; %bb.1653:                             ;   in Loop: Header=BB11_1620 Depth=1
	v_mov_b32_e32 v18, 0
	s_mov_b64 s[12:13], 0
	v_mov_b32_e32 v19, 0
	s_mov_b64 s[14:15], 0
.LBB11_1654:                            ;   Parent Loop BB11_1620 Depth=1
                                        ; =>  This Inner Loop Header: Depth=2
	s_add_u32 s18, s4, s14
	s_addc_u32 s19, s5, s15
	global_load_ubyte v4, v28, s[18:19]
	s_add_u32 s14, s14, 1
	s_addc_u32 s15, s15, 0
	s_waitcnt vmcnt(0)
	v_and_b32_e32 v27, 0xffff, v4
	v_lshlrev_b64 v[4:5], s12, v[27:28]
	s_add_u32 s12, s12, 8
	s_addc_u32 s13, s13, 0
	v_or_b32_e32 v18, v4, v18
	s_cmp_lg_u32 s17, s14
	v_or_b32_e32 v19, v5, v19
	s_cbranch_scc1 .LBB11_1654
	s_branch .LBB11_1657
.LBB11_1655:                            ;   in Loop: Header=BB11_1620 Depth=1
                                        ; implicit-def: $sgpr16
	s_branch .LBB11_1658
.LBB11_1656:                            ;   in Loop: Header=BB11_1620 Depth=1
	v_mov_b32_e32 v18, 0
	v_mov_b32_e32 v19, 0
.LBB11_1657:                            ;   in Loop: Header=BB11_1620 Depth=1
	s_mov_b32 s16, 0
	s_cbranch_execnz .LBB11_1659
.LBB11_1658:                            ;   in Loop: Header=BB11_1620 Depth=1
	global_load_dwordx2 v[18:19], v28, s[4:5]
	s_add_i32 s16, s17, -8
	s_add_u32 s4, s4, 8
	s_addc_u32 s5, s5, 0
.LBB11_1659:                            ;   in Loop: Header=BB11_1620 Depth=1
	s_cmp_gt_u32 s16, 7
	s_cbranch_scc1 .LBB11_1663
; %bb.1660:                             ;   in Loop: Header=BB11_1620 Depth=1
	s_cmp_eq_u32 s16, 0
	s_cbranch_scc1 .LBB11_1664
; %bb.1661:                             ;   in Loop: Header=BB11_1620 Depth=1
	v_mov_b32_e32 v20, 0
	s_mov_b64 s[12:13], 0
	v_mov_b32_e32 v21, 0
	s_mov_b64 s[14:15], 0
.LBB11_1662:                            ;   Parent Loop BB11_1620 Depth=1
                                        ; =>  This Inner Loop Header: Depth=2
	s_add_u32 s18, s4, s14
	s_addc_u32 s19, s5, s15
	global_load_ubyte v4, v28, s[18:19]
	s_add_u32 s14, s14, 1
	s_addc_u32 s15, s15, 0
	s_waitcnt vmcnt(0)
	v_and_b32_e32 v27, 0xffff, v4
	v_lshlrev_b64 v[4:5], s12, v[27:28]
	s_add_u32 s12, s12, 8
	s_addc_u32 s13, s13, 0
	v_or_b32_e32 v20, v4, v20
	s_cmp_lg_u32 s16, s14
	v_or_b32_e32 v21, v5, v21
	s_cbranch_scc1 .LBB11_1662
	s_branch .LBB11_1665
.LBB11_1663:                            ;   in Loop: Header=BB11_1620 Depth=1
                                        ; implicit-def: $vgpr20_vgpr21
                                        ; implicit-def: $sgpr17
	s_branch .LBB11_1666
.LBB11_1664:                            ;   in Loop: Header=BB11_1620 Depth=1
	v_mov_b32_e32 v20, 0
	v_mov_b32_e32 v21, 0
.LBB11_1665:                            ;   in Loop: Header=BB11_1620 Depth=1
	s_mov_b32 s17, 0
	s_cbranch_execnz .LBB11_1667
.LBB11_1666:                            ;   in Loop: Header=BB11_1620 Depth=1
	global_load_dwordx2 v[20:21], v28, s[4:5]
	s_add_i32 s17, s16, -8
	s_add_u32 s4, s4, 8
	s_addc_u32 s5, s5, 0
.LBB11_1667:                            ;   in Loop: Header=BB11_1620 Depth=1
	s_cmp_gt_u32 s17, 7
	s_cbranch_scc1 .LBB11_1671
; %bb.1668:                             ;   in Loop: Header=BB11_1620 Depth=1
	s_cmp_eq_u32 s17, 0
	s_cbranch_scc1 .LBB11_1672
; %bb.1669:                             ;   in Loop: Header=BB11_1620 Depth=1
	v_mov_b32_e32 v22, 0
	s_mov_b64 s[12:13], 0
	v_mov_b32_e32 v23, 0
	s_mov_b64 s[14:15], s[4:5]
.LBB11_1670:                            ;   Parent Loop BB11_1620 Depth=1
                                        ; =>  This Inner Loop Header: Depth=2
	global_load_ubyte v4, v28, s[14:15]
	s_add_i32 s17, s17, -1
	s_waitcnt vmcnt(0)
	v_and_b32_e32 v27, 0xffff, v4
	v_lshlrev_b64 v[4:5], s12, v[27:28]
	s_add_u32 s12, s12, 8
	s_addc_u32 s13, s13, 0
	s_add_u32 s14, s14, 1
	s_addc_u32 s15, s15, 0
	v_or_b32_e32 v22, v4, v22
	s_cmp_lg_u32 s17, 0
	v_or_b32_e32 v23, v5, v23
	s_cbranch_scc1 .LBB11_1670
	s_branch .LBB11_1673
.LBB11_1671:                            ;   in Loop: Header=BB11_1620 Depth=1
	s_branch .LBB11_1674
.LBB11_1672:                            ;   in Loop: Header=BB11_1620 Depth=1
	v_mov_b32_e32 v22, 0
	v_mov_b32_e32 v23, 0
.LBB11_1673:                            ;   in Loop: Header=BB11_1620 Depth=1
	s_cbranch_execnz .LBB11_1675
.LBB11_1674:                            ;   in Loop: Header=BB11_1620 Depth=1
	global_load_dwordx2 v[22:23], v28, s[4:5]
.LBB11_1675:                            ;   in Loop: Header=BB11_1620 Depth=1
	v_readfirstlane_b32 s4, v42
	s_waitcnt vmcnt(0)
	v_mov_b32_e32 v4, 0
	v_mov_b32_e32 v5, 0
	v_cmp_eq_u32_e64 s[4:5], s4, v42
	s_and_saveexec_b64 s[12:13], s[4:5]
	s_cbranch_execz .LBB11_1681
; %bb.1676:                             ;   in Loop: Header=BB11_1620 Depth=1
	global_load_dwordx2 v[26:27], v28, s[44:45] offset:24 glc
	s_waitcnt vmcnt(0)
	buffer_wbinvl1_vol
	global_load_dwordx2 v[4:5], v28, s[44:45] offset:40
	global_load_dwordx2 v[8:9], v28, s[44:45]
	s_waitcnt vmcnt(1)
	v_and_b32_e32 v4, v4, v26
	v_and_b32_e32 v5, v5, v27
	v_mul_lo_u32 v5, v5, 24
	v_mul_hi_u32 v24, v4, 24
	v_mul_lo_u32 v4, v4, 24
	v_add_u32_e32 v5, v24, v5
	s_waitcnt vmcnt(0)
	v_add_co_u32_e32 v4, vcc, v8, v4
	v_addc_co_u32_e32 v5, vcc, v9, v5, vcc
	global_load_dwordx2 v[24:25], v[4:5], off glc
	s_waitcnt vmcnt(0)
	global_atomic_cmpswap_x2 v[4:5], v28, v[24:27], s[44:45] offset:24 glc
	s_waitcnt vmcnt(0)
	buffer_wbinvl1_vol
	v_cmp_ne_u64_e32 vcc, v[4:5], v[26:27]
	s_and_saveexec_b64 s[14:15], vcc
	s_cbranch_execz .LBB11_1680
; %bb.1677:                             ;   in Loop: Header=BB11_1620 Depth=1
	s_mov_b64 s[16:17], 0
.LBB11_1678:                            ;   Parent Loop BB11_1620 Depth=1
                                        ; =>  This Inner Loop Header: Depth=2
	s_sleep 1
	global_load_dwordx2 v[8:9], v28, s[44:45] offset:40
	global_load_dwordx2 v[24:25], v28, s[44:45]
	v_mov_b32_e32 v27, v5
	v_mov_b32_e32 v26, v4
	s_waitcnt vmcnt(1)
	v_and_b32_e32 v4, v8, v26
	s_waitcnt vmcnt(0)
	v_mad_u64_u32 v[4:5], s[18:19], v4, 24, v[24:25]
	v_and_b32_e32 v8, v9, v27
	v_mad_u64_u32 v[8:9], s[18:19], v8, 24, v[5:6]
	v_mov_b32_e32 v5, v8
	global_load_dwordx2 v[24:25], v[4:5], off glc
	s_waitcnt vmcnt(0)
	global_atomic_cmpswap_x2 v[4:5], v28, v[24:27], s[44:45] offset:24 glc
	s_waitcnt vmcnt(0)
	buffer_wbinvl1_vol
	v_cmp_eq_u64_e32 vcc, v[4:5], v[26:27]
	s_or_b64 s[16:17], vcc, s[16:17]
	s_andn2_b64 exec, exec, s[16:17]
	s_cbranch_execnz .LBB11_1678
; %bb.1679:                             ;   in Loop: Header=BB11_1620 Depth=1
	s_or_b64 exec, exec, s[16:17]
.LBB11_1680:                            ;   in Loop: Header=BB11_1620 Depth=1
	s_or_b64 exec, exec, s[14:15]
.LBB11_1681:                            ;   in Loop: Header=BB11_1620 Depth=1
	s_or_b64 exec, exec, s[12:13]
	global_load_dwordx2 v[8:9], v28, s[44:45] offset:40
	global_load_dwordx4 v[24:27], v28, s[44:45]
	v_readfirstlane_b32 s12, v4
	v_readfirstlane_b32 s13, v5
	s_mov_b64 s[16:17], exec
	s_waitcnt vmcnt(1)
	v_readfirstlane_b32 s14, v8
	v_readfirstlane_b32 s15, v9
	s_and_b64 s[14:15], s[12:13], s[14:15]
	s_mul_i32 s18, s15, 24
	s_mul_hi_u32 s19, s14, 24
	s_mul_i32 s20, s14, 24
	s_add_i32 s18, s19, s18
	v_mov_b32_e32 v4, s18
	s_waitcnt vmcnt(0)
	v_add_co_u32_e32 v29, vcc, s20, v24
	v_addc_co_u32_e32 v30, vcc, v25, v4, vcc
	s_and_saveexec_b64 s[18:19], s[4:5]
	s_cbranch_execz .LBB11_1683
; %bb.1682:                             ;   in Loop: Header=BB11_1620 Depth=1
	v_mov_b32_e32 v4, s16
	v_mov_b32_e32 v5, s17
	global_store_dwordx4 v[29:30], v[4:7], off offset:8
.LBB11_1683:                            ;   in Loop: Header=BB11_1620 Depth=1
	s_or_b64 exec, exec, s[18:19]
	v_cmp_gt_u64_e64 vcc, s[8:9], 56
	v_or_b32_e32 v4, 0, v3
	v_cndmask_b32_e32 v9, v4, v3, vcc
	v_or_b32_e32 v3, v2, v31
	s_lshl_b32 s16, s10, 2
	v_cndmask_b32_e32 v2, v3, v2, vcc
	s_add_i32 s16, s16, 28
	s_and_b32 s16, s16, 0x1e0
	v_and_b32_e32 v2, 0xffffff1f, v2
	s_lshl_b64 s[14:15], s[14:15], 12
	v_or_b32_e32 v8, s16, v2
	v_mov_b32_e32 v2, s15
	v_add_co_u32_e32 v26, vcc, s14, v26
	v_addc_co_u32_e32 v32, vcc, v27, v2, vcc
	v_readfirstlane_b32 s14, v26
	v_readfirstlane_b32 s15, v32
	s_nop 4
	global_store_dwordx4 v41, v[8:11], s[14:15]
	global_store_dwordx4 v41, v[12:15], s[14:15] offset:16
	global_store_dwordx4 v41, v[16:19], s[14:15] offset:32
	;; [unrolled: 1-line block ×3, first 2 shown]
	s_and_saveexec_b64 s[14:15], s[4:5]
	s_cbranch_execz .LBB11_1691
; %bb.1684:                             ;   in Loop: Header=BB11_1620 Depth=1
	global_load_dwordx2 v[12:13], v28, s[44:45] offset:32 glc
	global_load_dwordx2 v[2:3], v28, s[44:45] offset:40
	v_mov_b32_e32 v10, s12
	v_mov_b32_e32 v11, s13
	s_waitcnt vmcnt(0)
	v_readfirstlane_b32 s16, v2
	v_readfirstlane_b32 s17, v3
	s_and_b64 s[16:17], s[16:17], s[12:13]
	s_mul_i32 s17, s17, 24
	s_mul_hi_u32 s18, s16, 24
	s_mul_i32 s16, s16, 24
	s_add_i32 s17, s18, s17
	v_mov_b32_e32 v2, s17
	v_add_co_u32_e32 v8, vcc, s16, v24
	v_addc_co_u32_e32 v9, vcc, v25, v2, vcc
	global_store_dwordx2 v[8:9], v[12:13], off
	s_waitcnt vmcnt(0)
	global_atomic_cmpswap_x2 v[4:5], v28, v[10:13], s[44:45] offset:32 glc
	s_waitcnt vmcnt(0)
	v_cmp_ne_u64_e32 vcc, v[4:5], v[12:13]
	s_and_saveexec_b64 s[16:17], vcc
	s_cbranch_execz .LBB11_1687
; %bb.1685:                             ;   in Loop: Header=BB11_1620 Depth=1
	s_mov_b64 s[18:19], 0
.LBB11_1686:                            ;   Parent Loop BB11_1620 Depth=1
                                        ; =>  This Inner Loop Header: Depth=2
	s_sleep 1
	global_store_dwordx2 v[8:9], v[4:5], off
	v_mov_b32_e32 v2, s12
	v_mov_b32_e32 v3, s13
	s_waitcnt vmcnt(0)
	global_atomic_cmpswap_x2 v[2:3], v28, v[2:5], s[44:45] offset:32 glc
	s_waitcnt vmcnt(0)
	v_cmp_eq_u64_e32 vcc, v[2:3], v[4:5]
	v_mov_b32_e32 v5, v3
	s_or_b64 s[18:19], vcc, s[18:19]
	v_mov_b32_e32 v4, v2
	s_andn2_b64 exec, exec, s[18:19]
	s_cbranch_execnz .LBB11_1686
.LBB11_1687:                            ;   in Loop: Header=BB11_1620 Depth=1
	s_or_b64 exec, exec, s[16:17]
	global_load_dwordx2 v[2:3], v28, s[44:45] offset:16
	s_mov_b64 s[18:19], exec
	v_mbcnt_lo_u32_b32 v4, s18, 0
	v_mbcnt_hi_u32_b32 v4, s19, v4
	v_cmp_eq_u32_e32 vcc, 0, v4
	s_and_saveexec_b64 s[16:17], vcc
	s_cbranch_execz .LBB11_1689
; %bb.1688:                             ;   in Loop: Header=BB11_1620 Depth=1
	s_bcnt1_i32_b64 s18, s[18:19]
	v_mov_b32_e32 v27, s18
	s_waitcnt vmcnt(0)
	global_atomic_add_x2 v[2:3], v[27:28], off offset:8
.LBB11_1689:                            ;   in Loop: Header=BB11_1620 Depth=1
	s_or_b64 exec, exec, s[16:17]
	s_waitcnt vmcnt(0)
	global_load_dwordx2 v[4:5], v[2:3], off offset:16
	s_waitcnt vmcnt(0)
	v_cmp_eq_u64_e32 vcc, 0, v[4:5]
	s_cbranch_vccnz .LBB11_1691
; %bb.1690:                             ;   in Loop: Header=BB11_1620 Depth=1
	global_load_dword v27, v[2:3], off offset:24
	s_waitcnt vmcnt(0)
	v_and_b32_e32 v2, 0xffffff, v27
	v_readfirstlane_b32 m0, v2
	global_store_dwordx2 v[4:5], v[27:28], off
	s_sendmsg sendmsg(MSG_INTERRUPT)
.LBB11_1691:                            ;   in Loop: Header=BB11_1620 Depth=1
	s_or_b64 exec, exec, s[14:15]
	v_add_co_u32_e32 v2, vcc, v26, v41
	v_addc_co_u32_e32 v3, vcc, 0, v32, vcc
	s_branch .LBB11_1695
.LBB11_1692:                            ;   in Loop: Header=BB11_1695 Depth=2
	s_or_b64 exec, exec, s[14:15]
	v_readfirstlane_b32 s14, v4
	s_cmp_eq_u32 s14, 0
	s_cbranch_scc1 .LBB11_1694
; %bb.1693:                             ;   in Loop: Header=BB11_1695 Depth=2
	s_sleep 1
	s_cbranch_execnz .LBB11_1695
	s_branch .LBB11_1697
.LBB11_1694:                            ;   in Loop: Header=BB11_1620 Depth=1
	s_branch .LBB11_1697
.LBB11_1695:                            ;   Parent Loop BB11_1620 Depth=1
                                        ; =>  This Inner Loop Header: Depth=2
	v_mov_b32_e32 v4, 1
	s_and_saveexec_b64 s[14:15], s[4:5]
	s_cbranch_execz .LBB11_1692
; %bb.1696:                             ;   in Loop: Header=BB11_1695 Depth=2
	global_load_dword v4, v[29:30], off offset:20 glc
	s_waitcnt vmcnt(0)
	buffer_wbinvl1_vol
	v_and_b32_e32 v4, 1, v4
	s_branch .LBB11_1692
.LBB11_1697:                            ;   in Loop: Header=BB11_1620 Depth=1
	global_load_dwordx4 v[2:5], v[2:3], off
	s_and_saveexec_b64 s[14:15], s[4:5]
	s_cbranch_execz .LBB11_1619
; %bb.1698:                             ;   in Loop: Header=BB11_1620 Depth=1
	global_load_dwordx2 v[4:5], v28, s[44:45] offset:40
	global_load_dwordx2 v[12:13], v28, s[44:45] offset:24 glc
	global_load_dwordx2 v[14:15], v28, s[44:45]
	v_mov_b32_e32 v9, s13
	s_waitcnt vmcnt(2)
	v_add_co_u32_e32 v10, vcc, 1, v4
	v_addc_co_u32_e32 v11, vcc, 0, v5, vcc
	v_add_co_u32_e32 v8, vcc, s12, v10
	v_addc_co_u32_e32 v9, vcc, v11, v9, vcc
	v_cmp_eq_u64_e32 vcc, 0, v[8:9]
	v_cndmask_b32_e32 v9, v9, v11, vcc
	v_cndmask_b32_e32 v8, v8, v10, vcc
	v_and_b32_e32 v5, v9, v5
	v_and_b32_e32 v4, v8, v4
	v_mul_lo_u32 v5, v5, 24
	v_mul_hi_u32 v11, v4, 24
	v_mul_lo_u32 v4, v4, 24
	s_waitcnt vmcnt(1)
	v_mov_b32_e32 v10, v12
	v_add_u32_e32 v5, v11, v5
	s_waitcnt vmcnt(0)
	v_add_co_u32_e32 v4, vcc, v14, v4
	v_addc_co_u32_e32 v5, vcc, v15, v5, vcc
	global_store_dwordx2 v[4:5], v[12:13], off
	v_mov_b32_e32 v11, v13
	s_waitcnt vmcnt(0)
	global_atomic_cmpswap_x2 v[10:11], v28, v[8:11], s[44:45] offset:24 glc
	s_waitcnt vmcnt(0)
	v_cmp_ne_u64_e32 vcc, v[10:11], v[12:13]
	s_and_b64 exec, exec, vcc
	s_cbranch_execz .LBB11_1619
; %bb.1699:                             ;   in Loop: Header=BB11_1620 Depth=1
	s_mov_b64 s[4:5], 0
.LBB11_1700:                            ;   Parent Loop BB11_1620 Depth=1
                                        ; =>  This Inner Loop Header: Depth=2
	s_sleep 1
	global_store_dwordx2 v[4:5], v[10:11], off
	s_waitcnt vmcnt(0)
	global_atomic_cmpswap_x2 v[12:13], v28, v[8:11], s[44:45] offset:24 glc
	s_waitcnt vmcnt(0)
	v_cmp_eq_u64_e32 vcc, v[12:13], v[10:11]
	v_mov_b32_e32 v10, v12
	s_or_b64 s[4:5], vcc, s[4:5]
	v_mov_b32_e32 v11, v13
	s_andn2_b64 exec, exec, s[4:5]
	s_cbranch_execnz .LBB11_1700
	s_branch .LBB11_1619
.LBB11_1701:
	s_mov_b64 s[4:5], 0
	s_branch .LBB11_1703
.LBB11_1702:
	s_mov_b64 s[4:5], -1
                                        ; implicit-def: $vgpr2_vgpr3
.LBB11_1703:
	s_and_b64 vcc, exec, s[4:5]
	s_cbranch_vccz .LBB11_1730
; %bb.1704:
	v_readfirstlane_b32 s4, v42
	v_mov_b32_e32 v8, 0
	v_mov_b32_e32 v9, 0
	v_cmp_eq_u32_e64 s[4:5], s4, v42
	s_and_saveexec_b64 s[6:7], s[4:5]
	s_cbranch_execz .LBB11_1710
; %bb.1705:
	s_waitcnt vmcnt(0)
	v_mov_b32_e32 v2, 0
	global_load_dwordx2 v[5:6], v2, s[44:45] offset:24 glc
	s_waitcnt vmcnt(0)
	buffer_wbinvl1_vol
	global_load_dwordx2 v[3:4], v2, s[44:45] offset:40
	global_load_dwordx2 v[7:8], v2, s[44:45]
	s_waitcnt vmcnt(1)
	v_and_b32_e32 v3, v3, v5
	v_and_b32_e32 v4, v4, v6
	v_mul_lo_u32 v4, v4, 24
	v_mul_hi_u32 v9, v3, 24
	v_mul_lo_u32 v3, v3, 24
	v_add_u32_e32 v4, v9, v4
	s_waitcnt vmcnt(0)
	v_add_co_u32_e32 v3, vcc, v7, v3
	v_addc_co_u32_e32 v4, vcc, v8, v4, vcc
	global_load_dwordx2 v[3:4], v[3:4], off glc
	s_waitcnt vmcnt(0)
	global_atomic_cmpswap_x2 v[8:9], v2, v[3:6], s[44:45] offset:24 glc
	s_waitcnt vmcnt(0)
	buffer_wbinvl1_vol
	v_cmp_ne_u64_e32 vcc, v[8:9], v[5:6]
	s_and_saveexec_b64 s[8:9], vcc
	s_cbranch_execz .LBB11_1709
; %bb.1706:
	s_mov_b64 s[10:11], 0
.LBB11_1707:                            ; =>This Inner Loop Header: Depth=1
	s_sleep 1
	global_load_dwordx2 v[3:4], v2, s[44:45] offset:40
	global_load_dwordx2 v[10:11], v2, s[44:45]
	v_mov_b32_e32 v5, v8
	v_mov_b32_e32 v6, v9
	s_waitcnt vmcnt(1)
	v_and_b32_e32 v3, v3, v5
	s_waitcnt vmcnt(0)
	v_mad_u64_u32 v[7:8], s[12:13], v3, 24, v[10:11]
	v_and_b32_e32 v4, v4, v6
	v_mov_b32_e32 v3, v8
	v_mad_u64_u32 v[3:4], s[12:13], v4, 24, v[3:4]
	v_mov_b32_e32 v8, v3
	global_load_dwordx2 v[3:4], v[7:8], off glc
	s_waitcnt vmcnt(0)
	global_atomic_cmpswap_x2 v[8:9], v2, v[3:6], s[44:45] offset:24 glc
	s_waitcnt vmcnt(0)
	buffer_wbinvl1_vol
	v_cmp_eq_u64_e32 vcc, v[8:9], v[5:6]
	s_or_b64 s[10:11], vcc, s[10:11]
	s_andn2_b64 exec, exec, s[10:11]
	s_cbranch_execnz .LBB11_1707
; %bb.1708:
	s_or_b64 exec, exec, s[10:11]
.LBB11_1709:
	s_or_b64 exec, exec, s[8:9]
.LBB11_1710:
	s_or_b64 exec, exec, s[6:7]
	s_waitcnt vmcnt(0)
	v_mov_b32_e32 v2, 0
	global_load_dwordx2 v[10:11], v2, s[44:45] offset:40
	global_load_dwordx4 v[4:7], v2, s[44:45]
	v_readfirstlane_b32 s6, v8
	v_readfirstlane_b32 s7, v9
	s_mov_b64 s[8:9], exec
	s_waitcnt vmcnt(1)
	v_readfirstlane_b32 s10, v10
	v_readfirstlane_b32 s11, v11
	s_and_b64 s[10:11], s[6:7], s[10:11]
	s_mul_i32 s12, s11, 24
	s_mul_hi_u32 s13, s10, 24
	s_mul_i32 s14, s10, 24
	s_add_i32 s12, s13, s12
	v_mov_b32_e32 v3, s12
	s_waitcnt vmcnt(0)
	v_add_co_u32_e32 v8, vcc, s14, v4
	v_addc_co_u32_e32 v9, vcc, v5, v3, vcc
	s_and_saveexec_b64 s[12:13], s[4:5]
	s_cbranch_execz .LBB11_1712
; %bb.1711:
	v_mov_b32_e32 v11, s9
	v_mov_b32_e32 v10, s8
	;; [unrolled: 1-line block ×4, first 2 shown]
	global_store_dwordx4 v[8:9], v[10:13], off offset:8
.LBB11_1712:
	s_or_b64 exec, exec, s[12:13]
	s_lshl_b64 s[8:9], s[10:11], 12
	v_mov_b32_e32 v3, s9
	v_add_co_u32_e32 v10, vcc, s8, v6
	v_addc_co_u32_e32 v11, vcc, v7, v3, vcc
	s_movk_i32 s8, 0xff1f
	v_and_or_b32 v0, v0, s8, 32
	s_mov_b32 s8, 0
	v_mov_b32_e32 v3, v2
	v_readfirstlane_b32 s12, v10
	v_readfirstlane_b32 s13, v11
	v_add_co_u32_e32 v6, vcc, v10, v41
	s_mov_b32 s9, s8
	s_mov_b32 s10, s8
	;; [unrolled: 1-line block ×3, first 2 shown]
	s_nop 0
	global_store_dwordx4 v41, v[0:3], s[12:13]
	v_addc_co_u32_e32 v7, vcc, 0, v11, vcc
	v_mov_b32_e32 v0, s8
	v_mov_b32_e32 v1, s9
	;; [unrolled: 1-line block ×4, first 2 shown]
	global_store_dwordx4 v41, v[0:3], s[12:13] offset:16
	global_store_dwordx4 v41, v[0:3], s[12:13] offset:32
	;; [unrolled: 1-line block ×3, first 2 shown]
	s_and_saveexec_b64 s[8:9], s[4:5]
	s_cbranch_execz .LBB11_1720
; %bb.1713:
	v_mov_b32_e32 v10, 0
	global_load_dwordx2 v[13:14], v10, s[44:45] offset:32 glc
	global_load_dwordx2 v[0:1], v10, s[44:45] offset:40
	v_mov_b32_e32 v11, s6
	v_mov_b32_e32 v12, s7
	s_waitcnt vmcnt(0)
	v_readfirstlane_b32 s10, v0
	v_readfirstlane_b32 s11, v1
	s_and_b64 s[10:11], s[10:11], s[6:7]
	s_mul_i32 s11, s11, 24
	s_mul_hi_u32 s12, s10, 24
	s_mul_i32 s10, s10, 24
	s_add_i32 s11, s12, s11
	v_mov_b32_e32 v0, s11
	v_add_co_u32_e32 v4, vcc, s10, v4
	v_addc_co_u32_e32 v5, vcc, v5, v0, vcc
	global_store_dwordx2 v[4:5], v[13:14], off
	s_waitcnt vmcnt(0)
	global_atomic_cmpswap_x2 v[2:3], v10, v[11:14], s[44:45] offset:32 glc
	s_waitcnt vmcnt(0)
	v_cmp_ne_u64_e32 vcc, v[2:3], v[13:14]
	s_and_saveexec_b64 s[10:11], vcc
	s_cbranch_execz .LBB11_1716
; %bb.1714:
	s_mov_b64 s[12:13], 0
.LBB11_1715:                            ; =>This Inner Loop Header: Depth=1
	s_sleep 1
	global_store_dwordx2 v[4:5], v[2:3], off
	v_mov_b32_e32 v0, s6
	v_mov_b32_e32 v1, s7
	s_waitcnt vmcnt(0)
	global_atomic_cmpswap_x2 v[0:1], v10, v[0:3], s[44:45] offset:32 glc
	s_waitcnt vmcnt(0)
	v_cmp_eq_u64_e32 vcc, v[0:1], v[2:3]
	v_mov_b32_e32 v3, v1
	s_or_b64 s[12:13], vcc, s[12:13]
	v_mov_b32_e32 v2, v0
	s_andn2_b64 exec, exec, s[12:13]
	s_cbranch_execnz .LBB11_1715
.LBB11_1716:
	s_or_b64 exec, exec, s[10:11]
	v_mov_b32_e32 v3, 0
	global_load_dwordx2 v[0:1], v3, s[44:45] offset:16
	s_mov_b64 s[10:11], exec
	v_mbcnt_lo_u32_b32 v2, s10, 0
	v_mbcnt_hi_u32_b32 v2, s11, v2
	v_cmp_eq_u32_e32 vcc, 0, v2
	s_and_saveexec_b64 s[12:13], vcc
	s_cbranch_execz .LBB11_1718
; %bb.1717:
	s_bcnt1_i32_b64 s10, s[10:11]
	v_mov_b32_e32 v2, s10
	s_waitcnt vmcnt(0)
	global_atomic_add_x2 v[0:1], v[2:3], off offset:8
.LBB11_1718:
	s_or_b64 exec, exec, s[12:13]
	s_waitcnt vmcnt(0)
	global_load_dwordx2 v[2:3], v[0:1], off offset:16
	s_waitcnt vmcnt(0)
	v_cmp_eq_u64_e32 vcc, 0, v[2:3]
	s_cbranch_vccnz .LBB11_1720
; %bb.1719:
	global_load_dword v0, v[0:1], off offset:24
	v_mov_b32_e32 v1, 0
	s_waitcnt vmcnt(0)
	global_store_dwordx2 v[2:3], v[0:1], off
	v_and_b32_e32 v0, 0xffffff, v0
	v_readfirstlane_b32 m0, v0
	s_sendmsg sendmsg(MSG_INTERRUPT)
.LBB11_1720:
	s_or_b64 exec, exec, s[8:9]
	s_branch .LBB11_1724
.LBB11_1721:                            ;   in Loop: Header=BB11_1724 Depth=1
	s_or_b64 exec, exec, s[8:9]
	v_readfirstlane_b32 s8, v0
	s_cmp_eq_u32 s8, 0
	s_cbranch_scc1 .LBB11_1723
; %bb.1722:                             ;   in Loop: Header=BB11_1724 Depth=1
	s_sleep 1
	s_cbranch_execnz .LBB11_1724
	s_branch .LBB11_1726
.LBB11_1723:
	s_branch .LBB11_1726
.LBB11_1724:                            ; =>This Inner Loop Header: Depth=1
	v_mov_b32_e32 v0, 1
	s_and_saveexec_b64 s[8:9], s[4:5]
	s_cbranch_execz .LBB11_1721
; %bb.1725:                             ;   in Loop: Header=BB11_1724 Depth=1
	global_load_dword v0, v[8:9], off offset:20 glc
	s_waitcnt vmcnt(0)
	buffer_wbinvl1_vol
	v_and_b32_e32 v0, 1, v0
	s_branch .LBB11_1721
.LBB11_1726:
	global_load_dwordx2 v[2:3], v[6:7], off
	s_and_saveexec_b64 s[8:9], s[4:5]
	s_cbranch_execz .LBB11_1729
; %bb.1727:
	v_mov_b32_e32 v8, 0
	global_load_dwordx2 v[0:1], v8, s[44:45] offset:40
	global_load_dwordx2 v[9:10], v8, s[44:45] offset:24 glc
	global_load_dwordx2 v[11:12], v8, s[44:45]
	v_mov_b32_e32 v5, s7
	s_mov_b64 s[4:5], 0
	s_waitcnt vmcnt(2)
	v_add_co_u32_e32 v6, vcc, 1, v0
	v_addc_co_u32_e32 v7, vcc, 0, v1, vcc
	v_add_co_u32_e32 v4, vcc, s6, v6
	v_addc_co_u32_e32 v5, vcc, v7, v5, vcc
	v_cmp_eq_u64_e32 vcc, 0, v[4:5]
	v_cndmask_b32_e32 v5, v5, v7, vcc
	v_cndmask_b32_e32 v4, v4, v6, vcc
	v_and_b32_e32 v1, v5, v1
	v_and_b32_e32 v0, v4, v0
	v_mul_lo_u32 v1, v1, 24
	v_mul_hi_u32 v7, v0, 24
	v_mul_lo_u32 v0, v0, 24
	s_waitcnt vmcnt(1)
	v_mov_b32_e32 v6, v9
	v_add_u32_e32 v1, v7, v1
	s_waitcnt vmcnt(0)
	v_add_co_u32_e32 v0, vcc, v11, v0
	v_addc_co_u32_e32 v1, vcc, v12, v1, vcc
	global_store_dwordx2 v[0:1], v[9:10], off
	v_mov_b32_e32 v7, v10
	s_waitcnt vmcnt(0)
	global_atomic_cmpswap_x2 v[6:7], v8, v[4:7], s[44:45] offset:24 glc
	s_waitcnt vmcnt(0)
	v_cmp_ne_u64_e32 vcc, v[6:7], v[9:10]
	s_and_b64 exec, exec, vcc
	s_cbranch_execz .LBB11_1729
.LBB11_1728:                            ; =>This Inner Loop Header: Depth=1
	s_sleep 1
	global_store_dwordx2 v[0:1], v[6:7], off
	s_waitcnt vmcnt(0)
	global_atomic_cmpswap_x2 v[9:10], v8, v[4:7], s[44:45] offset:24 glc
	s_waitcnt vmcnt(0)
	v_cmp_eq_u64_e32 vcc, v[9:10], v[6:7]
	v_mov_b32_e32 v6, v9
	s_or_b64 s[4:5], vcc, s[4:5]
	v_mov_b32_e32 v7, v10
	s_andn2_b64 exec, exec, s[4:5]
	s_cbranch_execnz .LBB11_1728
.LBB11_1729:
	s_or_b64 exec, exec, s[8:9]
.LBB11_1730:
	v_readfirstlane_b32 s4, v42
	s_waitcnt vmcnt(0)
	v_mov_b32_e32 v0, 0
	v_mov_b32_e32 v1, 0
	v_cmp_eq_u32_e64 s[4:5], s4, v42
	s_and_saveexec_b64 s[6:7], s[4:5]
	s_cbranch_execz .LBB11_1736
; %bb.1731:
	v_mov_b32_e32 v4, 0
	global_load_dwordx2 v[7:8], v4, s[44:45] offset:24 glc
	s_waitcnt vmcnt(0)
	buffer_wbinvl1_vol
	global_load_dwordx2 v[0:1], v4, s[44:45] offset:40
	global_load_dwordx2 v[5:6], v4, s[44:45]
	s_waitcnt vmcnt(1)
	v_and_b32_e32 v0, v0, v7
	v_and_b32_e32 v1, v1, v8
	v_mul_lo_u32 v1, v1, 24
	v_mul_hi_u32 v9, v0, 24
	v_mul_lo_u32 v0, v0, 24
	v_add_u32_e32 v1, v9, v1
	s_waitcnt vmcnt(0)
	v_add_co_u32_e32 v0, vcc, v5, v0
	v_addc_co_u32_e32 v1, vcc, v6, v1, vcc
	global_load_dwordx2 v[5:6], v[0:1], off glc
	s_waitcnt vmcnt(0)
	global_atomic_cmpswap_x2 v[0:1], v4, v[5:8], s[44:45] offset:24 glc
	s_waitcnt vmcnt(0)
	buffer_wbinvl1_vol
	v_cmp_ne_u64_e32 vcc, v[0:1], v[7:8]
	s_and_saveexec_b64 s[8:9], vcc
	s_cbranch_execz .LBB11_1735
; %bb.1732:
	s_mov_b64 s[10:11], 0
.LBB11_1733:                            ; =>This Inner Loop Header: Depth=1
	s_sleep 1
	global_load_dwordx2 v[5:6], v4, s[44:45] offset:40
	global_load_dwordx2 v[9:10], v4, s[44:45]
	v_mov_b32_e32 v8, v1
	v_mov_b32_e32 v7, v0
	s_waitcnt vmcnt(1)
	v_and_b32_e32 v0, v5, v7
	s_waitcnt vmcnt(0)
	v_mad_u64_u32 v[0:1], s[12:13], v0, 24, v[9:10]
	v_and_b32_e32 v5, v6, v8
	v_mad_u64_u32 v[5:6], s[12:13], v5, 24, v[1:2]
	v_mov_b32_e32 v1, v5
	global_load_dwordx2 v[5:6], v[0:1], off glc
	s_waitcnt vmcnt(0)
	global_atomic_cmpswap_x2 v[0:1], v4, v[5:8], s[44:45] offset:24 glc
	s_waitcnt vmcnt(0)
	buffer_wbinvl1_vol
	v_cmp_eq_u64_e32 vcc, v[0:1], v[7:8]
	s_or_b64 s[10:11], vcc, s[10:11]
	s_andn2_b64 exec, exec, s[10:11]
	s_cbranch_execnz .LBB11_1733
; %bb.1734:
	s_or_b64 exec, exec, s[10:11]
.LBB11_1735:
	s_or_b64 exec, exec, s[8:9]
.LBB11_1736:
	s_or_b64 exec, exec, s[6:7]
	v_mov_b32_e32 v5, 0
	global_load_dwordx2 v[10:11], v5, s[44:45] offset:40
	global_load_dwordx4 v[6:9], v5, s[44:45]
	v_readfirstlane_b32 s6, v0
	v_readfirstlane_b32 s7, v1
	s_mov_b64 s[8:9], exec
	s_waitcnt vmcnt(1)
	v_readfirstlane_b32 s10, v10
	v_readfirstlane_b32 s11, v11
	s_and_b64 s[10:11], s[6:7], s[10:11]
	s_mul_i32 s12, s11, 24
	s_mul_hi_u32 s13, s10, 24
	s_mul_i32 s14, s10, 24
	s_add_i32 s12, s13, s12
	v_mov_b32_e32 v0, s12
	s_waitcnt vmcnt(0)
	v_add_co_u32_e32 v10, vcc, s14, v6
	v_addc_co_u32_e32 v11, vcc, v7, v0, vcc
	s_and_saveexec_b64 s[12:13], s[4:5]
	s_cbranch_execz .LBB11_1738
; %bb.1737:
	v_mov_b32_e32 v13, s9
	v_mov_b32_e32 v12, s8
	;; [unrolled: 1-line block ×4, first 2 shown]
	global_store_dwordx4 v[10:11], v[12:15], off offset:8
.LBB11_1738:
	s_or_b64 exec, exec, s[12:13]
	s_lshl_b64 s[8:9], s[10:11], 12
	v_mov_b32_e32 v0, s9
	v_add_co_u32_e32 v1, vcc, s8, v8
	v_addc_co_u32_e32 v0, vcc, v9, v0, vcc
	s_movk_i32 s8, 0xff1d
	v_and_or_b32 v2, v2, s8, 34
	s_mov_b32 s8, 0
	v_mov_b32_e32 v4, 10
	v_readfirstlane_b32 s12, v1
	v_readfirstlane_b32 s13, v0
	s_mov_b32 s9, s8
	s_mov_b32 s10, s8
	;; [unrolled: 1-line block ×3, first 2 shown]
	s_nop 1
	global_store_dwordx4 v41, v[2:5], s[12:13]
	v_mov_b32_e32 v0, s8
	v_mov_b32_e32 v1, s9
	;; [unrolled: 1-line block ×4, first 2 shown]
	global_store_dwordx4 v41, v[0:3], s[12:13] offset:16
	global_store_dwordx4 v41, v[0:3], s[12:13] offset:32
	;; [unrolled: 1-line block ×3, first 2 shown]
	s_and_saveexec_b64 s[8:9], s[4:5]
	s_cbranch_execz .LBB11_1746
; %bb.1739:
	v_mov_b32_e32 v8, 0
	global_load_dwordx2 v[14:15], v8, s[44:45] offset:32 glc
	global_load_dwordx2 v[0:1], v8, s[44:45] offset:40
	v_mov_b32_e32 v12, s6
	v_mov_b32_e32 v13, s7
	s_waitcnt vmcnt(0)
	v_readfirstlane_b32 s10, v0
	v_readfirstlane_b32 s11, v1
	s_and_b64 s[10:11], s[10:11], s[6:7]
	s_mul_i32 s11, s11, 24
	s_mul_hi_u32 s12, s10, 24
	s_mul_i32 s10, s10, 24
	s_add_i32 s11, s12, s11
	v_mov_b32_e32 v0, s11
	v_add_co_u32_e32 v4, vcc, s10, v6
	v_addc_co_u32_e32 v5, vcc, v7, v0, vcc
	global_store_dwordx2 v[4:5], v[14:15], off
	s_waitcnt vmcnt(0)
	global_atomic_cmpswap_x2 v[2:3], v8, v[12:15], s[44:45] offset:32 glc
	s_waitcnt vmcnt(0)
	v_cmp_ne_u64_e32 vcc, v[2:3], v[14:15]
	s_and_saveexec_b64 s[10:11], vcc
	s_cbranch_execz .LBB11_1742
; %bb.1740:
	s_mov_b64 s[12:13], 0
.LBB11_1741:                            ; =>This Inner Loop Header: Depth=1
	s_sleep 1
	global_store_dwordx2 v[4:5], v[2:3], off
	v_mov_b32_e32 v0, s6
	v_mov_b32_e32 v1, s7
	s_waitcnt vmcnt(0)
	global_atomic_cmpswap_x2 v[0:1], v8, v[0:3], s[44:45] offset:32 glc
	s_waitcnt vmcnt(0)
	v_cmp_eq_u64_e32 vcc, v[0:1], v[2:3]
	v_mov_b32_e32 v3, v1
	s_or_b64 s[12:13], vcc, s[12:13]
	v_mov_b32_e32 v2, v0
	s_andn2_b64 exec, exec, s[12:13]
	s_cbranch_execnz .LBB11_1741
.LBB11_1742:
	s_or_b64 exec, exec, s[10:11]
	v_mov_b32_e32 v3, 0
	global_load_dwordx2 v[0:1], v3, s[44:45] offset:16
	s_mov_b64 s[10:11], exec
	v_mbcnt_lo_u32_b32 v2, s10, 0
	v_mbcnt_hi_u32_b32 v2, s11, v2
	v_cmp_eq_u32_e32 vcc, 0, v2
	s_and_saveexec_b64 s[12:13], vcc
	s_cbranch_execz .LBB11_1744
; %bb.1743:
	s_bcnt1_i32_b64 s10, s[10:11]
	v_mov_b32_e32 v2, s10
	s_waitcnt vmcnt(0)
	global_atomic_add_x2 v[0:1], v[2:3], off offset:8
.LBB11_1744:
	s_or_b64 exec, exec, s[12:13]
	s_waitcnt vmcnt(0)
	global_load_dwordx2 v[2:3], v[0:1], off offset:16
	s_waitcnt vmcnt(0)
	v_cmp_eq_u64_e32 vcc, 0, v[2:3]
	s_cbranch_vccnz .LBB11_1746
; %bb.1745:
	global_load_dword v0, v[0:1], off offset:24
	v_mov_b32_e32 v1, 0
	s_waitcnt vmcnt(0)
	global_store_dwordx2 v[2:3], v[0:1], off
	v_and_b32_e32 v0, 0xffffff, v0
	v_readfirstlane_b32 m0, v0
	s_sendmsg sendmsg(MSG_INTERRUPT)
.LBB11_1746:
	s_or_b64 exec, exec, s[8:9]
	s_branch .LBB11_1750
.LBB11_1747:                            ;   in Loop: Header=BB11_1750 Depth=1
	s_or_b64 exec, exec, s[8:9]
	v_readfirstlane_b32 s8, v0
	s_cmp_eq_u32 s8, 0
	s_cbranch_scc1 .LBB11_1749
; %bb.1748:                             ;   in Loop: Header=BB11_1750 Depth=1
	s_sleep 1
	s_cbranch_execnz .LBB11_1750
	s_branch .LBB11_1752
.LBB11_1749:
	s_branch .LBB11_1752
.LBB11_1750:                            ; =>This Inner Loop Header: Depth=1
	v_mov_b32_e32 v0, 1
	s_and_saveexec_b64 s[8:9], s[4:5]
	s_cbranch_execz .LBB11_1747
; %bb.1751:                             ;   in Loop: Header=BB11_1750 Depth=1
	global_load_dword v0, v[10:11], off offset:20 glc
	s_waitcnt vmcnt(0)
	buffer_wbinvl1_vol
	v_and_b32_e32 v0, 1, v0
	s_branch .LBB11_1747
.LBB11_1752:
	s_and_saveexec_b64 s[8:9], s[4:5]
	s_cbranch_execz .LBB11_1755
; %bb.1753:
	v_mov_b32_e32 v6, 0
	global_load_dwordx2 v[2:3], v6, s[44:45] offset:40
	global_load_dwordx2 v[7:8], v6, s[44:45] offset:24 glc
	global_load_dwordx2 v[4:5], v6, s[44:45]
	v_mov_b32_e32 v1, s7
	s_mov_b64 s[4:5], 0
	s_waitcnt vmcnt(2)
	v_add_co_u32_e32 v9, vcc, 1, v2
	v_addc_co_u32_e32 v10, vcc, 0, v3, vcc
	v_add_co_u32_e32 v0, vcc, s6, v9
	v_addc_co_u32_e32 v1, vcc, v10, v1, vcc
	v_cmp_eq_u64_e32 vcc, 0, v[0:1]
	v_cndmask_b32_e32 v1, v1, v10, vcc
	v_cndmask_b32_e32 v0, v0, v9, vcc
	v_and_b32_e32 v3, v1, v3
	v_and_b32_e32 v2, v0, v2
	v_mul_lo_u32 v3, v3, 24
	v_mul_hi_u32 v9, v2, 24
	v_mul_lo_u32 v10, v2, 24
	s_waitcnt vmcnt(1)
	v_mov_b32_e32 v2, v7
	v_add_u32_e32 v3, v9, v3
	s_waitcnt vmcnt(0)
	v_add_co_u32_e32 v4, vcc, v4, v10
	v_addc_co_u32_e32 v5, vcc, v5, v3, vcc
	global_store_dwordx2 v[4:5], v[7:8], off
	v_mov_b32_e32 v3, v8
	s_waitcnt vmcnt(0)
	global_atomic_cmpswap_x2 v[2:3], v6, v[0:3], s[44:45] offset:24 glc
	s_waitcnt vmcnt(0)
	v_cmp_ne_u64_e32 vcc, v[2:3], v[7:8]
	s_and_b64 exec, exec, vcc
	s_cbranch_execz .LBB11_1755
.LBB11_1754:                            ; =>This Inner Loop Header: Depth=1
	s_sleep 1
	global_store_dwordx2 v[4:5], v[2:3], off
	s_waitcnt vmcnt(0)
	global_atomic_cmpswap_x2 v[7:8], v6, v[0:3], s[44:45] offset:24 glc
	s_waitcnt vmcnt(0)
	v_cmp_eq_u64_e32 vcc, v[7:8], v[2:3]
	v_mov_b32_e32 v2, v7
	s_or_b64 s[4:5], vcc, s[4:5]
	v_mov_b32_e32 v3, v8
	s_andn2_b64 exec, exec, s[4:5]
	s_cbranch_execnz .LBB11_1754
.LBB11_1755:
	s_or_b64 exec, exec, s[8:9]
	buffer_load_dword v0, off, s[0:3], 0 offset:424
	buffer_load_dword v1, off, s[0:3], 0 offset:428
	s_waitcnt vmcnt(0)
	flat_load_dword v2, v[0:1]
	s_waitcnt vmcnt(0) lgkmcnt(0)
	v_add_u32_e32 v2, 1, v2
	flat_store_dword v[0:1], v2
.LBB11_1756:
	s_or_b64 exec, exec, s[42:43]
	s_add_u32 s8, s54, 16
	s_addc_u32 s9, s55, 0
	s_mov_b32 s12, s58
	s_mov_b32 s13, s57
	;; [unrolled: 1-line block ×3, first 2 shown]
	s_getpc_b64 s[4:5]
	s_add_u32 s4, s4, _ZN8migraphx4test4failEv@rel32@lo+4
	s_addc_u32 s5, s5, _ZN8migraphx4test4failEv@rel32@hi+12
	s_swappc_b64 s[30:31], s[4:5]
	; divergent unreachable
.LBB11_1757:
	s_or_saveexec_b64 s[6:7], s[40:41]
	s_mov_b64 s[4:5], 0
	s_xor_b64 exec, exec, s[6:7]
; %bb.1758:
	s_mov_b64 s[4:5], exec
; %bb.1759:
	s_or_b64 exec, exec, s[6:7]
	s_and_saveexec_b64 s[6:7], s[4:5]
	s_endpgm
	.section	.rodata,"a",@progbits
	.p2align	6, 0x0
	.amdhsa_kernel gpu_test_kernel
		.amdhsa_group_segment_fixed_size 25600
		.amdhsa_private_segment_fixed_size 480
		.amdhsa_kernarg_size 272
		.amdhsa_user_sgpr_count 10
		.amdhsa_user_sgpr_private_segment_buffer 1
		.amdhsa_user_sgpr_dispatch_ptr 1
		.amdhsa_user_sgpr_queue_ptr 0
		.amdhsa_user_sgpr_kernarg_segment_ptr 1
		.amdhsa_user_sgpr_dispatch_id 0
		.amdhsa_user_sgpr_flat_scratch_init 1
		.amdhsa_user_sgpr_private_segment_size 0
		.amdhsa_uses_dynamic_stack 0
		.amdhsa_system_sgpr_private_segment_wavefront_offset 1
		.amdhsa_system_sgpr_workgroup_id_x 1
		.amdhsa_system_sgpr_workgroup_id_y 1
		.amdhsa_system_sgpr_workgroup_id_z 1
		.amdhsa_system_sgpr_workgroup_info 0
		.amdhsa_system_vgpr_workitem_id 2
		.amdhsa_next_free_vgpr 52
		.amdhsa_next_free_sgpr 70
		.amdhsa_reserve_vcc 1
		.amdhsa_reserve_flat_scratch 1
		.amdhsa_float_round_mode_32 0
		.amdhsa_float_round_mode_16_64 0
		.amdhsa_float_denorm_mode_32 3
		.amdhsa_float_denorm_mode_16_64 3
		.amdhsa_dx10_clamp 1
		.amdhsa_ieee_mode 1
		.amdhsa_fp16_overflow 0
		.amdhsa_exception_fp_ieee_invalid_op 0
		.amdhsa_exception_fp_denorm_src 0
		.amdhsa_exception_fp_ieee_div_zero 0
		.amdhsa_exception_fp_ieee_overflow 0
		.amdhsa_exception_fp_ieee_underflow 0
		.amdhsa_exception_fp_ieee_inexact 0
		.amdhsa_exception_int_div_zero 0
	.end_amdhsa_kernel
	.text
.Lfunc_end11:
	.size	gpu_test_kernel, .Lfunc_end11-gpu_test_kernel
                                        ; -- End function
	.section	.AMDGPU.csdata,"",@progbits
; Kernel info:
; codeLenInByte = 62692
; NumSgprs: 76
; NumVgprs: 52
; ScratchSize: 480
; MemoryBound: 0
; FloatMode: 240
; IeeeMode: 1
; LDSByteSize: 25600 bytes/workgroup (compile time only)
; SGPRBlocks: 9
; VGPRBlocks: 12
; NumSGPRsForWavesPerEU: 76
; NumVGPRsForWavesPerEU: 52
; Occupancy: 4
; WaveLimiterHint : 1
; COMPUTE_PGM_RSRC2:SCRATCH_EN: 1
; COMPUTE_PGM_RSRC2:USER_SGPR: 10
; COMPUTE_PGM_RSRC2:TRAP_HANDLER: 0
; COMPUTE_PGM_RSRC2:TGID_X_EN: 1
; COMPUTE_PGM_RSRC2:TGID_Y_EN: 1
; COMPUTE_PGM_RSRC2:TGID_Z_EN: 1
; COMPUTE_PGM_RSRC2:TIDIG_COMP_CNT: 2
	.type	__PRETTY_FUNCTION__._ZL21array_different_typesRN8migraphx4test12test_managerE,@object ; @__PRETTY_FUNCTION__._ZL21array_different_typesRN8migraphx4test12test_managerE
	.section	.rodata.str1.1,"aMS",@progbits,1
__PRETTY_FUNCTION__._ZL21array_different_typesRN8migraphx4test12test_managerE:
	.asciz	"void array_different_types(migraphx::test::test_manager &)"
	.size	__PRETTY_FUNCTION__._ZL21array_different_typesRN8migraphx4test12test_managerE, 59

	.type	.str.1,@object                  ; @.str.1
.str.1:
	.asciz	"/root/src/amdgpu-assembly/repos/ROCm__AMDMIGraphX/_shim/test_array_13_shim.cpp"
	.size	.str.1, 79

	.type	.str.2,@object                  ; @.str.2
.str.2:
	.asciz	"migraphx::float_equal(arr_float[1], 2.0f)"
	.size	.str.2, 42

	.type	.str.3,@object                  ; @.str.3
.str.3:
	.asciz	"arr_char[2] == 'c'"
	.size	.str.3, 19

	.type	.str.4,@object                  ; @.str.4
.str.4:
	.asciz	"    FAILED: "
	.size	.str.4, 13

	.type	.str.5,@object                  ; @.str.5
.str.5:
	.asciz	" [ "
	.size	.str.5, 4

	.type	.str.6,@object                  ; @.str.6
.str.6:
	.asciz	" ]"
	.size	.str.6, 3

	.type	.str.7,@object                  ; @.str.7
.str.7:
	.asciz	"%s"
	.size	.str.7, 3

	.type	.str.8,@object                  ; @.str.8
.str.8:
	.asciz	"%c"
	.size	.str.8, 3

	.type	.str.9,@object                  ; @.str.9
.str.9:
	.asciz	"%li"
	.size	.str.9, 4

	.type	.str.10,@object                 ; @.str.10
.str.10:
	.asciz	" "
	.size	.str.10, 2

	.type	.str.12,@object                 ; @.str.12
.str.12:
	.asciz	"true"
	.size	.str.12, 5

	.type	.str.13,@object                 ; @.str.13
.str.13:
	.asciz	"false"
	.size	.str.13, 6

	.type	.str.14,@object                 ; @.str.14
.str.14:
	.asciz	"=="
	.size	.str.14, 3

	.type	__PRETTY_FUNCTION__._ZL27array_mixed_type_operationsRN8migraphx4test12test_managerE,@object ; @__PRETTY_FUNCTION__._ZL27array_mixed_type_operationsRN8migraphx4test12test_managerE
__PRETTY_FUNCTION__._ZL27array_mixed_type_operationsRN8migraphx4test12test_managerE:
	.asciz	"void array_mixed_type_operations(migraphx::test::test_manager &)"
	.size	__PRETTY_FUNCTION__._ZL27array_mixed_type_operationsRN8migraphx4test12test_managerE, 65

	.type	.str.16,@object                 ; @.str.16
.str.16:
	.asciz	"migraphx::float_equal(result[1], 3.5)"
	.size	.str.16, 38

	.type	.str.17,@object                 ; @.str.17
.str.17:
	.asciz	"migraphx::float_equal(result[2], 4.5)"
	.size	.str.17, 38

	.type	__PRETTY_FUNCTION__._ZL16array_large_sizeRN8migraphx4test12test_managerE,@object ; @__PRETTY_FUNCTION__._ZL16array_large_sizeRN8migraphx4test12test_managerE
__PRETTY_FUNCTION__._ZL16array_large_sizeRN8migraphx4test12test_managerE:
	.asciz	"void array_large_size(migraphx::test::test_manager &)"
	.size	__PRETTY_FUNCTION__._ZL16array_large_sizeRN8migraphx4test12test_managerE, 54

	.type	.str.19,@object                 ; @.str.19
.str.19:
	.asciz	"large_arr[0] == 42"
	.size	.str.19, 19

	.type	.str.20,@object                 ; @.str.20
.str.20:
	.asciz	"large_arr[50] == 42"
	.size	.str.20, 20

	.type	.str.21,@object                 ; @.str.21
.str.21:
	.asciz	"large_arr[99] == 42"
	.size	.str.21, 20

	.type	.str.22,@object                 ; @.str.22
.str.22:
	.asciz	"%lu"
	.size	.str.22, 4

	.type	__PRETTY_FUNCTION__._ZL20array_single_elementRN8migraphx4test12test_managerE,@object ; @__PRETTY_FUNCTION__._ZL20array_single_elementRN8migraphx4test12test_managerE
__PRETTY_FUNCTION__._ZL20array_single_elementRN8migraphx4test12test_managerE:
	.asciz	"void array_single_element(migraphx::test::test_manager &)"
	.size	__PRETTY_FUNCTION__._ZL20array_single_elementRN8migraphx4test12test_managerE, 58

	.type	.str.24,@object                 ; @.str.24
.str.24:
	.asciz	"arr.back() == 42"
	.size	.str.24, 17

	.type	.str.25,@object                 ; @.str.25
.str.25:
	.asciz	"arr.size() == 1"
	.size	.str.25, 16

	.type	.str.27,@object                 ; @.str.27
.str.27:
	.asciz	"arr.product() == 42"
	.size	.str.27, 20

	.type	.str.28,@object                 ; @.str.28
.str.28:
	.asciz	"doubled[0] == 84"
	.size	.str.28, 17

	.type	__PRETTY_FUNCTION__._ZL21array_math_edge_casesRN8migraphx4test12test_managerE,@object ; @__PRETTY_FUNCTION__._ZL21array_math_edge_casesRN8migraphx4test12test_managerE
__PRETTY_FUNCTION__._ZL21array_math_edge_casesRN8migraphx4test12test_managerE:
	.asciz	"void array_math_edge_cases(migraphx::test::test_manager &)"
	.size	__PRETTY_FUNCTION__._ZL21array_math_edge_casesRN8migraphx4test12test_managerE, 59

	.type	.str.30,@object                 ; @.str.30
.str.30:
	.asciz	"zeros.dot(zeros) == 0"
	.size	.str.30, 22

	.type	.str.31,@object                 ; @.str.31
.str.31:
	.asciz	"ones.product() == 1"
	.size	.str.31, 20

	.type	.str.32,@object                 ; @.str.32
.str.32:
	.asciz	"mixed.product() == 6"
	.size	.str.32, 21

	.type	__PRETTY_FUNCTION__._ZL22array_type_conversionsRN8migraphx4test12test_managerE,@object ; @__PRETTY_FUNCTION__._ZL22array_type_conversionsRN8migraphx4test12test_managerE
__PRETTY_FUNCTION__._ZL22array_type_conversionsRN8migraphx4test12test_managerE:
	.asciz	"void array_type_conversions(migraphx::test::test_manager &)"
	.size	__PRETTY_FUNCTION__._ZL22array_type_conversionsRN8migraphx4test12test_managerE, 60

	.type	.str.33,@object                 ; @.str.33
.str.33:
	.asciz	"migraphx::float_equal(result[1], 4.5)"
	.size	.str.33, 38

	.type	.str.34,@object                 ; @.str.34
.str.34:
	.asciz	"migraphx::float_equal(result[2], 6.5)"
	.size	.str.34, 38

	.type	__hip_cuid_a748432b8b5fbe02,@object ; @__hip_cuid_a748432b8b5fbe02
	.section	.bss,"aw",@nobits
	.globl	__hip_cuid_a748432b8b5fbe02
__hip_cuid_a748432b8b5fbe02:
	.byte	0                               ; 0x0
	.size	__hip_cuid_a748432b8b5fbe02, 1

	.ident	"AMD clang version 19.0.0git (https://github.com/RadeonOpenCompute/llvm-project roc-6.4.0 25133 c7fe45cf4b819c5991fe208aaa96edf142730f1d)"
	.section	".note.GNU-stack","",@progbits
	.addrsig
	.addrsig_sym __hip_cuid_a748432b8b5fbe02
	.amdgpu_metadata
---
amdhsa.kernels:
  - .args:
      - .offset:         0
        .size:           4
        .value_kind:     by_value
      - .address_space:  global
        .offset:         8
        .size:           8
        .value_kind:     global_buffer
      - .offset:         16
        .size:           4
        .value_kind:     hidden_block_count_x
      - .offset:         20
        .size:           4
        .value_kind:     hidden_block_count_y
      - .offset:         24
        .size:           4
        .value_kind:     hidden_block_count_z
      - .offset:         28
        .size:           2
        .value_kind:     hidden_group_size_x
      - .offset:         30
        .size:           2
        .value_kind:     hidden_group_size_y
      - .offset:         32
        .size:           2
        .value_kind:     hidden_group_size_z
      - .offset:         34
        .size:           2
        .value_kind:     hidden_remainder_x
      - .offset:         36
        .size:           2
        .value_kind:     hidden_remainder_y
      - .offset:         38
        .size:           2
        .value_kind:     hidden_remainder_z
      - .offset:         56
        .size:           8
        .value_kind:     hidden_global_offset_x
      - .offset:         64
        .size:           8
        .value_kind:     hidden_global_offset_y
      - .offset:         72
        .size:           8
        .value_kind:     hidden_global_offset_z
      - .offset:         80
        .size:           2
        .value_kind:     hidden_grid_dims
      - .offset:         96
        .size:           8
        .value_kind:     hidden_hostcall_buffer
    .group_segment_fixed_size: 25600
    .kernarg_segment_align: 8
    .kernarg_segment_size: 272
    .language:       OpenCL C
    .language_version:
      - 2
      - 0
    .max_flat_workgroup_size: 1024
    .name:           gpu_test_kernel
    .private_segment_fixed_size: 480
    .sgpr_count:     76
    .sgpr_spill_count: 0
    .symbol:         gpu_test_kernel.kd
    .uniform_work_group_size: 1
    .uses_dynamic_stack: false
    .vgpr_count:     52
    .vgpr_spill_count: 0
    .wavefront_size: 64
amdhsa.target:   amdgcn-amd-amdhsa--gfx906
amdhsa.version:
  - 1
  - 2
...

	.end_amdgpu_metadata
